;; amdgpu-corpus repo=pytorch/pytorch kind=compiled arch=gfx1030 opt=O3
	.amdgcn_target "amdgcn-amd-amdhsa--gfx1030"
	.amdhsa_code_object_version 6
	.section	.text._ZN2at6native12_GLOBAL__N_125multi_tensor_apply_kernelINS1_28TensorListScalarListMetadataIhLi1EEENS1_25BinaryOpScalarListFunctorIhLi1ELi1ELi0EEEJSt4plusIhEEEEvT_T0_DpT1_,"axG",@progbits,_ZN2at6native12_GLOBAL__N_125multi_tensor_apply_kernelINS1_28TensorListScalarListMetadataIhLi1EEENS1_25BinaryOpScalarListFunctorIhLi1ELi1ELi0EEEJSt4plusIhEEEEvT_T0_DpT1_,comdat
	.globl	_ZN2at6native12_GLOBAL__N_125multi_tensor_apply_kernelINS1_28TensorListScalarListMetadataIhLi1EEENS1_25BinaryOpScalarListFunctorIhLi1ELi1ELi0EEEJSt4plusIhEEEEvT_T0_DpT1_ ; -- Begin function _ZN2at6native12_GLOBAL__N_125multi_tensor_apply_kernelINS1_28TensorListScalarListMetadataIhLi1EEENS1_25BinaryOpScalarListFunctorIhLi1ELi1ELi0EEEJSt4plusIhEEEEvT_T0_DpT1_
	.p2align	8
	.type	_ZN2at6native12_GLOBAL__N_125multi_tensor_apply_kernelINS1_28TensorListScalarListMetadataIhLi1EEENS1_25BinaryOpScalarListFunctorIhLi1ELi1ELi0EEEJSt4plusIhEEEEvT_T0_DpT1_,@function
_ZN2at6native12_GLOBAL__N_125multi_tensor_apply_kernelINS1_28TensorListScalarListMetadataIhLi1EEENS1_25BinaryOpScalarListFunctorIhLi1ELi1ELi0EEEJSt4plusIhEEEEvT_T0_DpT1_: ; @_ZN2at6native12_GLOBAL__N_125multi_tensor_apply_kernelINS1_28TensorListScalarListMetadataIhLi1EEENS1_25BinaryOpScalarListFunctorIhLi1ELi1ELi0EEEJSt4plusIhEEEEvT_T0_DpT1_
; %bb.0:
	v_mov_b32_e32 v1, s6
	s_mul_i32 s2, s6, 3
	s_mul_hi_u32 s3, s6, 3
	global_load_ubyte v3, v1, s[4:5] offset:1632
	s_waitcnt vmcnt(0)
	v_add_co_u32 v1, s0, s4, v3
	v_add_co_ci_u32_e64 v2, null, s5, 0, s0
	s_add_u32 s0, s4, s6
	s_addc_u32 s1, s5, 0
	s_add_u32 s0, s0, s2
	global_load_ubyte v4, v[1:2], off offset:1536
	v_readfirstlane_b32 s2, v3
	s_addc_u32 s1, s1, s3
	s_load_dword s0, s[0:1], 0x7a0
	s_lshl_b32 s1, s2, 3
	s_clause 0x1
	s_load_dwordx2 s[2:3], s[4:5], s1 offset:0x300
	s_load_dwordx2 s[6:7], s[4:5], s1 offset:0x0
	s_waitcnt lgkmcnt(0)
	s_ashr_i32 s1, s0, 31
	s_lshl_b64 s[8:9], s[0:1], 16
	s_sub_u32 s10, s2, s8
	s_subb_u32 s11, s3, s9
	s_or_b32 s0, s2, s6
	s_and_b32 s0, s0, 3
	s_cmp_eq_u32 s0, 0
	s_cbranch_scc1 .LBB0_21
; %bb.1:
	v_cmp_lt_i64_e64 s0, s[10:11], 1
	s_and_b32 vcc_lo, exec_lo, s0
	s_cbranch_vccnz .LBB0_20
; %bb.2:
	s_load_dword s0, s[4:5], 0xcb4
	v_cmp_gt_i64_e64 s1, 0x10000, s[10:11]
	v_add_co_u32 v12, s2, s8, v0
	v_add_co_ci_u32_e64 v13, null, s9, 0, s2
	v_cmp_gt_u64_e64 s2, 0x10000, s[10:11]
	s_and_b32 s1, s1, exec_lo
	s_cselect_b32 s13, s11, 0
	s_cselect_b32 s12, s10, 0x10000
	v_add_co_u32 v1, vcc_lo, s6, v12
	v_add_co_ci_u32_e64 v2, null, s7, v13, vcc_lo
	s_waitcnt lgkmcnt(0)
	s_and_b32 s0, s0, 0xffff
	s_and_b32 s1, s2, exec_lo
	s_mul_i32 s2, s0, 3
	s_cselect_b32 s15, s11, 0
	s_cselect_b32 s14, s10, 0x10000
	s_lshl_b32 s1, s0, 1
	s_lshl_b32 s18, s0, 2
	s_add_u32 s3, s8, s2
	s_addc_u32 s16, s9, 0
	s_add_u32 s3, s6, s3
	v_add_co_u32 v6, s2, s2, v0
	s_addc_u32 s16, s7, s16
	v_add_co_u32 v3, s3, s3, v0
	v_add_co_ci_u32_e64 v7, null, 0, 0, s2
	s_add_u32 s2, s8, s1
	v_add_co_ci_u32_e64 v5, null, s16, 0, s3
	s_addc_u32 s3, s9, 0
	s_add_u32 s2, s6, s2
	v_add_co_u32 v10, s1, s1, v0
	s_addc_u32 s3, s7, s3
	v_add_co_u32 v8, s2, s2, v0
	v_add_co_ci_u32_e64 v11, null, 0, 0, s1
	s_add_u32 s1, s6, s0
	v_add_co_ci_u32_e64 v9, null, s3, 0, s2
	s_addc_u32 s2, s7, 0
	v_add_co_u32 v12, vcc_lo, s1, v12
	v_add_co_u32 v14, s0, v0, s0
	v_add_co_ci_u32_e64 v13, null, s2, v13, vcc_lo
	v_add_co_ci_u32_e64 v15, null, 0, 0, s0
	s_mov_b64 s[16:17], 0
	s_branch .LBB0_4
.LBB0_3:                                ;   in Loop: Header=BB0_4 Depth=1
	s_or_b32 exec_lo, exec_lo, s0
	s_add_u32 s16, s16, s18
	s_addc_u32 s17, s17, 0
	v_cmp_lt_i64_e64 s0, s[16:17], s[12:13]
	s_and_b32 vcc_lo, exec_lo, s0
	s_cbranch_vccz .LBB0_20
.LBB0_4:                                ; =>This Inner Loop Header: Depth=1
	s_waitcnt vmcnt(0)
	v_add_co_u32 v16, s0, v0, s16
	v_add_co_ci_u32_e64 v17, null, 0, s17, s0
	v_cmp_gt_u64_e32 vcc_lo, s[14:15], v[16:17]
	v_mov_b32_e32 v17, 0
	s_and_saveexec_b32 s1, vcc_lo
	s_cbranch_execz .LBB0_6
; %bb.5:                                ;   in Loop: Header=BB0_4 Depth=1
	v_add_co_u32 v16, s0, v1, s16
	v_add_co_ci_u32_e64 v17, null, s17, v2, s0
	global_load_ubyte v17, v[16:17], off
.LBB0_6:                                ;   in Loop: Header=BB0_4 Depth=1
	s_or_b32 exec_lo, exec_lo, s1
	v_add_co_u32 v18, s0, v14, s16
	v_add_co_ci_u32_e64 v19, null, s17, v15, s0
	v_mov_b32_e32 v16, 0
	v_cmp_gt_u64_e64 s0, s[14:15], v[18:19]
	v_mov_b32_e32 v18, 0
	s_and_saveexec_b32 s2, s0
	s_cbranch_execz .LBB0_8
; %bb.7:                                ;   in Loop: Header=BB0_4 Depth=1
	v_add_co_u32 v18, s1, v12, s16
	v_add_co_ci_u32_e64 v19, null, s17, v13, s1
	global_load_ubyte v18, v[18:19], off
.LBB0_8:                                ;   in Loop: Header=BB0_4 Depth=1
	s_or_b32 exec_lo, exec_lo, s2
	v_add_co_u32 v19, s1, v10, s16
	v_add_co_ci_u32_e64 v20, null, s17, v11, s1
	v_cmp_gt_u64_e64 s1, s[14:15], v[19:20]
	s_and_saveexec_b32 s3, s1
	s_cbranch_execz .LBB0_10
; %bb.9:                                ;   in Loop: Header=BB0_4 Depth=1
	v_add_co_u32 v19, s2, v8, s16
	v_add_co_ci_u32_e64 v20, null, s17, v9, s2
	global_load_ubyte v16, v[19:20], off
.LBB0_10:                               ;   in Loop: Header=BB0_4 Depth=1
	s_or_b32 exec_lo, exec_lo, s3
	v_add_co_u32 v19, s2, v6, s16
	v_add_co_ci_u32_e64 v20, null, s17, v7, s2
	v_cmp_gt_u64_e64 s2, s[14:15], v[19:20]
	v_mov_b32_e32 v19, 0
	s_and_saveexec_b32 s19, s2
	s_cbranch_execnz .LBB0_15
; %bb.11:                               ;   in Loop: Header=BB0_4 Depth=1
	s_or_b32 exec_lo, exec_lo, s19
	s_and_saveexec_b32 s3, vcc_lo
	s_cbranch_execnz .LBB0_16
.LBB0_12:                               ;   in Loop: Header=BB0_4 Depth=1
	s_or_b32 exec_lo, exec_lo, s3
	s_and_saveexec_b32 s3, s0
	s_cbranch_execnz .LBB0_17
.LBB0_13:                               ;   in Loop: Header=BB0_4 Depth=1
	s_or_b32 exec_lo, exec_lo, s3
	s_and_saveexec_b32 s0, s1
	s_cbranch_execnz .LBB0_18
.LBB0_14:                               ;   in Loop: Header=BB0_4 Depth=1
	s_or_b32 exec_lo, exec_lo, s0
	s_and_saveexec_b32 s0, s2
	s_cbranch_execz .LBB0_3
	s_branch .LBB0_19
.LBB0_15:                               ;   in Loop: Header=BB0_4 Depth=1
	v_add_co_u32 v19, s3, v3, s16
	v_add_co_ci_u32_e64 v20, null, s17, v5, s3
	global_load_ubyte v19, v[19:20], off
	s_or_b32 exec_lo, exec_lo, s19
	s_and_saveexec_b32 s3, vcc_lo
	s_cbranch_execz .LBB0_12
.LBB0_16:                               ;   in Loop: Header=BB0_4 Depth=1
	v_add_co_u32 v20, vcc_lo, v1, s16
	s_waitcnt vmcnt(0)
	v_add_nc_u16 v17, v17, v4
	v_add_co_ci_u32_e64 v21, null, s17, v2, vcc_lo
	global_store_byte v[20:21], v17, off
	s_or_b32 exec_lo, exec_lo, s3
	s_and_saveexec_b32 s3, s0
	s_cbranch_execz .LBB0_13
.LBB0_17:                               ;   in Loop: Header=BB0_4 Depth=1
	s_waitcnt vmcnt(0)
	v_add_co_u32 v17, vcc_lo, v12, s16
	v_add_nc_u16 v20, v18, v4
	v_add_co_ci_u32_e64 v18, null, s17, v13, vcc_lo
	global_store_byte v[17:18], v20, off
	s_or_b32 exec_lo, exec_lo, s3
	s_and_saveexec_b32 s0, s1
	s_cbranch_execz .LBB0_14
.LBB0_18:                               ;   in Loop: Header=BB0_4 Depth=1
	s_waitcnt vmcnt(0)
	v_add_nc_u16 v18, v16, v4
	v_add_co_u32 v16, vcc_lo, v8, s16
	v_add_co_ci_u32_e64 v17, null, s17, v9, vcc_lo
	global_store_byte v[16:17], v18, off
	s_or_b32 exec_lo, exec_lo, s0
	s_and_saveexec_b32 s0, s2
	s_cbranch_execz .LBB0_3
.LBB0_19:                               ;   in Loop: Header=BB0_4 Depth=1
	s_waitcnt vmcnt(0)
	v_add_co_u32 v16, vcc_lo, v3, s16
	v_add_nc_u16 v18, v19, v4
	v_add_co_ci_u32_e64 v17, null, s17, v5, vcc_lo
	global_store_byte v[16:17], v18, off
	s_branch .LBB0_3
.LBB0_20:
	s_cbranch_execz .LBB0_22
	s_branch .LBB0_25
.LBB0_21:
.LBB0_22:
	v_cmp_gt_i64_e64 s0, 0x10000, s[10:11]
	v_mov_b32_e32 v3, 0
	v_lshlrev_b32_e32 v2, 2, v0
	s_mov_b32 s1, 0
	s_and_b32 s0, s0, exec_lo
	s_cselect_b32 s3, s11, 0
	s_cselect_b32 s2, s10, 0x10000
	s_mov_b32 s0, exec_lo
	v_cmpx_gt_i64_e64 s[2:3], v[2:3]
	s_cbranch_execz .LBB0_25
; %bb.23:
	s_load_dword s0, s[4:5], 0xcb4
	v_mov_b32_e32 v1, v3
	s_waitcnt lgkmcnt(0)
	s_and_b32 s4, s0, 0xffff
	s_add_u32 s0, s6, s8
	s_addc_u32 s5, s7, s9
	v_add_co_u32 v2, s0, s0, v2
	v_add_co_ci_u32_e64 v3, null, s5, 0, s0
	s_lshl_b32 s5, s4, 2
	s_inst_prefetch 0x1
	.p2align	6
.LBB0_24:                               ; =>This Inner Loop Header: Depth=1
	global_load_dword v5, v[2:3], off
	v_add_co_u32 v0, vcc_lo, v0, s4
	v_add_co_ci_u32_e64 v1, null, 0, v1, vcc_lo
	s_waitcnt vmcnt(0)
	v_lshrrev_b32_e32 v6, 8, v5
	v_lshrrev_b32_e32 v7, 24, v5
	;; [unrolled: 1-line block ×3, first 2 shown]
	v_add_nc_u16 v5, v4, v5
	v_add_nc_u16 v6, v4, v6
	v_add_nc_u16 v7, v4, v7
	v_add_nc_u16 v8, v4, v8
	v_lshlrev_b16 v6, 8, v6
	v_lshlrev_b16 v7, 8, v7
	v_or_b32_sdwa v9, v5, v6 dst_sel:DWORD dst_unused:UNUSED_PAD src0_sel:BYTE_0 src1_sel:DWORD
	v_or_b32_sdwa v7, v8, v7 dst_sel:WORD_1 dst_unused:UNUSED_PAD src0_sel:BYTE_0 src1_sel:DWORD
	v_lshlrev_b64 v[5:6], 2, v[0:1]
	v_or_b32_sdwa v7, v9, v7 dst_sel:DWORD dst_unused:UNUSED_PAD src0_sel:WORD_0 src1_sel:DWORD
	v_cmp_le_i64_e32 vcc_lo, s[2:3], v[5:6]
	global_store_dword v[2:3], v7, off
	v_add_co_u32 v2, s0, v2, s5
	v_add_co_ci_u32_e64 v3, null, 0, v3, s0
	s_or_b32 s1, vcc_lo, s1
	s_andn2_b32 exec_lo, exec_lo, s1
	s_cbranch_execnz .LBB0_24
.LBB0_25:
	s_inst_prefetch 0x2
	s_endpgm
	.section	.rodata,"a",@progbits
	.p2align	6, 0x0
	.amdhsa_kernel _ZN2at6native12_GLOBAL__N_125multi_tensor_apply_kernelINS1_28TensorListScalarListMetadataIhLi1EEENS1_25BinaryOpScalarListFunctorIhLi1ELi1ELi0EEEJSt4plusIhEEEEvT_T0_DpT1_
		.amdhsa_group_segment_fixed_size 0
		.amdhsa_private_segment_fixed_size 0
		.amdhsa_kernarg_size 3496
		.amdhsa_user_sgpr_count 6
		.amdhsa_user_sgpr_private_segment_buffer 1
		.amdhsa_user_sgpr_dispatch_ptr 0
		.amdhsa_user_sgpr_queue_ptr 0
		.amdhsa_user_sgpr_kernarg_segment_ptr 1
		.amdhsa_user_sgpr_dispatch_id 0
		.amdhsa_user_sgpr_flat_scratch_init 0
		.amdhsa_user_sgpr_private_segment_size 0
		.amdhsa_wavefront_size32 1
		.amdhsa_uses_dynamic_stack 0
		.amdhsa_system_sgpr_private_segment_wavefront_offset 0
		.amdhsa_system_sgpr_workgroup_id_x 1
		.amdhsa_system_sgpr_workgroup_id_y 0
		.amdhsa_system_sgpr_workgroup_id_z 0
		.amdhsa_system_sgpr_workgroup_info 0
		.amdhsa_system_vgpr_workitem_id 0
		.amdhsa_next_free_vgpr 22
		.amdhsa_next_free_sgpr 20
		.amdhsa_reserve_vcc 1
		.amdhsa_reserve_flat_scratch 0
		.amdhsa_float_round_mode_32 0
		.amdhsa_float_round_mode_16_64 0
		.amdhsa_float_denorm_mode_32 3
		.amdhsa_float_denorm_mode_16_64 3
		.amdhsa_dx10_clamp 1
		.amdhsa_ieee_mode 1
		.amdhsa_fp16_overflow 0
		.amdhsa_workgroup_processor_mode 1
		.amdhsa_memory_ordered 1
		.amdhsa_forward_progress 1
		.amdhsa_shared_vgpr_count 0
		.amdhsa_exception_fp_ieee_invalid_op 0
		.amdhsa_exception_fp_denorm_src 0
		.amdhsa_exception_fp_ieee_div_zero 0
		.amdhsa_exception_fp_ieee_overflow 0
		.amdhsa_exception_fp_ieee_underflow 0
		.amdhsa_exception_fp_ieee_inexact 0
		.amdhsa_exception_int_div_zero 0
	.end_amdhsa_kernel
	.section	.text._ZN2at6native12_GLOBAL__N_125multi_tensor_apply_kernelINS1_28TensorListScalarListMetadataIhLi1EEENS1_25BinaryOpScalarListFunctorIhLi1ELi1ELi0EEEJSt4plusIhEEEEvT_T0_DpT1_,"axG",@progbits,_ZN2at6native12_GLOBAL__N_125multi_tensor_apply_kernelINS1_28TensorListScalarListMetadataIhLi1EEENS1_25BinaryOpScalarListFunctorIhLi1ELi1ELi0EEEJSt4plusIhEEEEvT_T0_DpT1_,comdat
.Lfunc_end0:
	.size	_ZN2at6native12_GLOBAL__N_125multi_tensor_apply_kernelINS1_28TensorListScalarListMetadataIhLi1EEENS1_25BinaryOpScalarListFunctorIhLi1ELi1ELi0EEEJSt4plusIhEEEEvT_T0_DpT1_, .Lfunc_end0-_ZN2at6native12_GLOBAL__N_125multi_tensor_apply_kernelINS1_28TensorListScalarListMetadataIhLi1EEENS1_25BinaryOpScalarListFunctorIhLi1ELi1ELi0EEEJSt4plusIhEEEEvT_T0_DpT1_
                                        ; -- End function
	.set _ZN2at6native12_GLOBAL__N_125multi_tensor_apply_kernelINS1_28TensorListScalarListMetadataIhLi1EEENS1_25BinaryOpScalarListFunctorIhLi1ELi1ELi0EEEJSt4plusIhEEEEvT_T0_DpT1_.num_vgpr, 22
	.set _ZN2at6native12_GLOBAL__N_125multi_tensor_apply_kernelINS1_28TensorListScalarListMetadataIhLi1EEENS1_25BinaryOpScalarListFunctorIhLi1ELi1ELi0EEEJSt4plusIhEEEEvT_T0_DpT1_.num_agpr, 0
	.set _ZN2at6native12_GLOBAL__N_125multi_tensor_apply_kernelINS1_28TensorListScalarListMetadataIhLi1EEENS1_25BinaryOpScalarListFunctorIhLi1ELi1ELi0EEEJSt4plusIhEEEEvT_T0_DpT1_.numbered_sgpr, 20
	.set _ZN2at6native12_GLOBAL__N_125multi_tensor_apply_kernelINS1_28TensorListScalarListMetadataIhLi1EEENS1_25BinaryOpScalarListFunctorIhLi1ELi1ELi0EEEJSt4plusIhEEEEvT_T0_DpT1_.num_named_barrier, 0
	.set _ZN2at6native12_GLOBAL__N_125multi_tensor_apply_kernelINS1_28TensorListScalarListMetadataIhLi1EEENS1_25BinaryOpScalarListFunctorIhLi1ELi1ELi0EEEJSt4plusIhEEEEvT_T0_DpT1_.private_seg_size, 0
	.set _ZN2at6native12_GLOBAL__N_125multi_tensor_apply_kernelINS1_28TensorListScalarListMetadataIhLi1EEENS1_25BinaryOpScalarListFunctorIhLi1ELi1ELi0EEEJSt4plusIhEEEEvT_T0_DpT1_.uses_vcc, 1
	.set _ZN2at6native12_GLOBAL__N_125multi_tensor_apply_kernelINS1_28TensorListScalarListMetadataIhLi1EEENS1_25BinaryOpScalarListFunctorIhLi1ELi1ELi0EEEJSt4plusIhEEEEvT_T0_DpT1_.uses_flat_scratch, 0
	.set _ZN2at6native12_GLOBAL__N_125multi_tensor_apply_kernelINS1_28TensorListScalarListMetadataIhLi1EEENS1_25BinaryOpScalarListFunctorIhLi1ELi1ELi0EEEJSt4plusIhEEEEvT_T0_DpT1_.has_dyn_sized_stack, 0
	.set _ZN2at6native12_GLOBAL__N_125multi_tensor_apply_kernelINS1_28TensorListScalarListMetadataIhLi1EEENS1_25BinaryOpScalarListFunctorIhLi1ELi1ELi0EEEJSt4plusIhEEEEvT_T0_DpT1_.has_recursion, 0
	.set _ZN2at6native12_GLOBAL__N_125multi_tensor_apply_kernelINS1_28TensorListScalarListMetadataIhLi1EEENS1_25BinaryOpScalarListFunctorIhLi1ELi1ELi0EEEJSt4plusIhEEEEvT_T0_DpT1_.has_indirect_call, 0
	.section	.AMDGPU.csdata,"",@progbits
; Kernel info:
; codeLenInByte = 1256
; TotalNumSgprs: 22
; NumVgprs: 22
; ScratchSize: 0
; MemoryBound: 0
; FloatMode: 240
; IeeeMode: 1
; LDSByteSize: 0 bytes/workgroup (compile time only)
; SGPRBlocks: 0
; VGPRBlocks: 2
; NumSGPRsForWavesPerEU: 22
; NumVGPRsForWavesPerEU: 22
; Occupancy: 16
; WaveLimiterHint : 0
; COMPUTE_PGM_RSRC2:SCRATCH_EN: 0
; COMPUTE_PGM_RSRC2:USER_SGPR: 6
; COMPUTE_PGM_RSRC2:TRAP_HANDLER: 0
; COMPUTE_PGM_RSRC2:TGID_X_EN: 1
; COMPUTE_PGM_RSRC2:TGID_Y_EN: 0
; COMPUTE_PGM_RSRC2:TGID_Z_EN: 0
; COMPUTE_PGM_RSRC2:TIDIG_COMP_CNT: 0
	.section	.text._ZN2at6native12_GLOBAL__N_125multi_tensor_apply_kernelINS1_28TensorListScalarListMetadataIaLi1EEENS1_25BinaryOpScalarListFunctorIaLi1ELi1ELi0EEEJSt4plusIaEEEEvT_T0_DpT1_,"axG",@progbits,_ZN2at6native12_GLOBAL__N_125multi_tensor_apply_kernelINS1_28TensorListScalarListMetadataIaLi1EEENS1_25BinaryOpScalarListFunctorIaLi1ELi1ELi0EEEJSt4plusIaEEEEvT_T0_DpT1_,comdat
	.globl	_ZN2at6native12_GLOBAL__N_125multi_tensor_apply_kernelINS1_28TensorListScalarListMetadataIaLi1EEENS1_25BinaryOpScalarListFunctorIaLi1ELi1ELi0EEEJSt4plusIaEEEEvT_T0_DpT1_ ; -- Begin function _ZN2at6native12_GLOBAL__N_125multi_tensor_apply_kernelINS1_28TensorListScalarListMetadataIaLi1EEENS1_25BinaryOpScalarListFunctorIaLi1ELi1ELi0EEEJSt4plusIaEEEEvT_T0_DpT1_
	.p2align	8
	.type	_ZN2at6native12_GLOBAL__N_125multi_tensor_apply_kernelINS1_28TensorListScalarListMetadataIaLi1EEENS1_25BinaryOpScalarListFunctorIaLi1ELi1ELi0EEEJSt4plusIaEEEEvT_T0_DpT1_,@function
_ZN2at6native12_GLOBAL__N_125multi_tensor_apply_kernelINS1_28TensorListScalarListMetadataIaLi1EEENS1_25BinaryOpScalarListFunctorIaLi1ELi1ELi0EEEJSt4plusIaEEEEvT_T0_DpT1_: ; @_ZN2at6native12_GLOBAL__N_125multi_tensor_apply_kernelINS1_28TensorListScalarListMetadataIaLi1EEENS1_25BinaryOpScalarListFunctorIaLi1ELi1ELi0EEEJSt4plusIaEEEEvT_T0_DpT1_
; %bb.0:
	v_mov_b32_e32 v1, s6
	s_mul_i32 s2, s6, 3
	s_mul_hi_u32 s3, s6, 3
	global_load_ubyte v3, v1, s[4:5] offset:1632
	s_waitcnt vmcnt(0)
	v_add_co_u32 v1, s0, s4, v3
	v_add_co_ci_u32_e64 v2, null, s5, 0, s0
	s_add_u32 s0, s4, s6
	s_addc_u32 s1, s5, 0
	s_add_u32 s0, s0, s2
	global_load_ubyte v4, v[1:2], off offset:1536
	v_readfirstlane_b32 s2, v3
	s_addc_u32 s1, s1, s3
	s_load_dword s0, s[0:1], 0x7a0
	s_lshl_b32 s1, s2, 3
	s_clause 0x1
	s_load_dwordx2 s[2:3], s[4:5], s1 offset:0x300
	s_load_dwordx2 s[6:7], s[4:5], s1 offset:0x0
	s_waitcnt lgkmcnt(0)
	s_ashr_i32 s1, s0, 31
	s_lshl_b64 s[8:9], s[0:1], 16
	s_sub_u32 s10, s2, s8
	s_subb_u32 s11, s3, s9
	s_or_b32 s0, s2, s6
	s_and_b32 s0, s0, 3
	s_cmp_eq_u32 s0, 0
	s_cbranch_scc1 .LBB1_21
; %bb.1:
	v_cmp_lt_i64_e64 s0, s[10:11], 1
	s_and_b32 vcc_lo, exec_lo, s0
	s_cbranch_vccnz .LBB1_20
; %bb.2:
	s_load_dword s0, s[4:5], 0xcb4
	v_cmp_gt_i64_e64 s1, 0x10000, s[10:11]
	v_add_co_u32 v12, s2, s8, v0
	v_add_co_ci_u32_e64 v13, null, s9, 0, s2
	v_cmp_gt_u64_e64 s2, 0x10000, s[10:11]
	s_and_b32 s1, s1, exec_lo
	s_cselect_b32 s13, s11, 0
	s_cselect_b32 s12, s10, 0x10000
	v_add_co_u32 v1, vcc_lo, s6, v12
	v_add_co_ci_u32_e64 v2, null, s7, v13, vcc_lo
	s_waitcnt lgkmcnt(0)
	s_and_b32 s0, s0, 0xffff
	s_and_b32 s1, s2, exec_lo
	s_mul_i32 s2, s0, 3
	s_cselect_b32 s15, s11, 0
	s_cselect_b32 s14, s10, 0x10000
	s_lshl_b32 s1, s0, 1
	s_lshl_b32 s18, s0, 2
	s_add_u32 s3, s8, s2
	s_addc_u32 s16, s9, 0
	s_add_u32 s3, s6, s3
	v_add_co_u32 v6, s2, s2, v0
	s_addc_u32 s16, s7, s16
	v_add_co_u32 v3, s3, s3, v0
	v_add_co_ci_u32_e64 v7, null, 0, 0, s2
	s_add_u32 s2, s8, s1
	v_add_co_ci_u32_e64 v5, null, s16, 0, s3
	s_addc_u32 s3, s9, 0
	s_add_u32 s2, s6, s2
	v_add_co_u32 v10, s1, s1, v0
	s_addc_u32 s3, s7, s3
	v_add_co_u32 v8, s2, s2, v0
	v_add_co_ci_u32_e64 v11, null, 0, 0, s1
	s_add_u32 s1, s6, s0
	v_add_co_ci_u32_e64 v9, null, s3, 0, s2
	s_addc_u32 s2, s7, 0
	v_add_co_u32 v12, vcc_lo, s1, v12
	v_add_co_u32 v14, s0, v0, s0
	v_add_co_ci_u32_e64 v13, null, s2, v13, vcc_lo
	v_add_co_ci_u32_e64 v15, null, 0, 0, s0
	s_mov_b64 s[16:17], 0
	s_branch .LBB1_4
.LBB1_3:                                ;   in Loop: Header=BB1_4 Depth=1
	s_or_b32 exec_lo, exec_lo, s0
	s_add_u32 s16, s16, s18
	s_addc_u32 s17, s17, 0
	v_cmp_lt_i64_e64 s0, s[16:17], s[12:13]
	s_and_b32 vcc_lo, exec_lo, s0
	s_cbranch_vccz .LBB1_20
.LBB1_4:                                ; =>This Inner Loop Header: Depth=1
	s_waitcnt vmcnt(0)
	v_add_co_u32 v16, s0, v0, s16
	v_add_co_ci_u32_e64 v17, null, 0, s17, s0
	v_cmp_gt_u64_e32 vcc_lo, s[14:15], v[16:17]
	v_mov_b32_e32 v17, 0
	s_and_saveexec_b32 s1, vcc_lo
	s_cbranch_execz .LBB1_6
; %bb.5:                                ;   in Loop: Header=BB1_4 Depth=1
	v_add_co_u32 v16, s0, v1, s16
	v_add_co_ci_u32_e64 v17, null, s17, v2, s0
	global_load_ubyte v17, v[16:17], off
.LBB1_6:                                ;   in Loop: Header=BB1_4 Depth=1
	s_or_b32 exec_lo, exec_lo, s1
	v_add_co_u32 v18, s0, v14, s16
	v_add_co_ci_u32_e64 v19, null, s17, v15, s0
	v_mov_b32_e32 v16, 0
	v_cmp_gt_u64_e64 s0, s[14:15], v[18:19]
	v_mov_b32_e32 v18, 0
	s_and_saveexec_b32 s2, s0
	s_cbranch_execz .LBB1_8
; %bb.7:                                ;   in Loop: Header=BB1_4 Depth=1
	v_add_co_u32 v18, s1, v12, s16
	v_add_co_ci_u32_e64 v19, null, s17, v13, s1
	global_load_ubyte v18, v[18:19], off
.LBB1_8:                                ;   in Loop: Header=BB1_4 Depth=1
	s_or_b32 exec_lo, exec_lo, s2
	v_add_co_u32 v19, s1, v10, s16
	v_add_co_ci_u32_e64 v20, null, s17, v11, s1
	v_cmp_gt_u64_e64 s1, s[14:15], v[19:20]
	s_and_saveexec_b32 s3, s1
	s_cbranch_execz .LBB1_10
; %bb.9:                                ;   in Loop: Header=BB1_4 Depth=1
	v_add_co_u32 v19, s2, v8, s16
	v_add_co_ci_u32_e64 v20, null, s17, v9, s2
	global_load_ubyte v16, v[19:20], off
.LBB1_10:                               ;   in Loop: Header=BB1_4 Depth=1
	s_or_b32 exec_lo, exec_lo, s3
	v_add_co_u32 v19, s2, v6, s16
	v_add_co_ci_u32_e64 v20, null, s17, v7, s2
	v_cmp_gt_u64_e64 s2, s[14:15], v[19:20]
	v_mov_b32_e32 v19, 0
	s_and_saveexec_b32 s19, s2
	s_cbranch_execnz .LBB1_15
; %bb.11:                               ;   in Loop: Header=BB1_4 Depth=1
	s_or_b32 exec_lo, exec_lo, s19
	s_and_saveexec_b32 s3, vcc_lo
	s_cbranch_execnz .LBB1_16
.LBB1_12:                               ;   in Loop: Header=BB1_4 Depth=1
	s_or_b32 exec_lo, exec_lo, s3
	s_and_saveexec_b32 s3, s0
	s_cbranch_execnz .LBB1_17
.LBB1_13:                               ;   in Loop: Header=BB1_4 Depth=1
	s_or_b32 exec_lo, exec_lo, s3
	s_and_saveexec_b32 s0, s1
	s_cbranch_execnz .LBB1_18
.LBB1_14:                               ;   in Loop: Header=BB1_4 Depth=1
	s_or_b32 exec_lo, exec_lo, s0
	s_and_saveexec_b32 s0, s2
	s_cbranch_execz .LBB1_3
	s_branch .LBB1_19
.LBB1_15:                               ;   in Loop: Header=BB1_4 Depth=1
	v_add_co_u32 v19, s3, v3, s16
	v_add_co_ci_u32_e64 v20, null, s17, v5, s3
	global_load_ubyte v19, v[19:20], off
	s_or_b32 exec_lo, exec_lo, s19
	s_and_saveexec_b32 s3, vcc_lo
	s_cbranch_execz .LBB1_12
.LBB1_16:                               ;   in Loop: Header=BB1_4 Depth=1
	v_add_co_u32 v20, vcc_lo, v1, s16
	s_waitcnt vmcnt(0)
	v_add_nc_u16 v17, v17, v4
	v_add_co_ci_u32_e64 v21, null, s17, v2, vcc_lo
	global_store_byte v[20:21], v17, off
	s_or_b32 exec_lo, exec_lo, s3
	s_and_saveexec_b32 s3, s0
	s_cbranch_execz .LBB1_13
.LBB1_17:                               ;   in Loop: Header=BB1_4 Depth=1
	s_waitcnt vmcnt(0)
	v_add_co_u32 v17, vcc_lo, v12, s16
	v_add_nc_u16 v20, v18, v4
	v_add_co_ci_u32_e64 v18, null, s17, v13, vcc_lo
	global_store_byte v[17:18], v20, off
	s_or_b32 exec_lo, exec_lo, s3
	s_and_saveexec_b32 s0, s1
	s_cbranch_execz .LBB1_14
.LBB1_18:                               ;   in Loop: Header=BB1_4 Depth=1
	s_waitcnt vmcnt(0)
	v_add_nc_u16 v18, v16, v4
	v_add_co_u32 v16, vcc_lo, v8, s16
	v_add_co_ci_u32_e64 v17, null, s17, v9, vcc_lo
	global_store_byte v[16:17], v18, off
	s_or_b32 exec_lo, exec_lo, s0
	s_and_saveexec_b32 s0, s2
	s_cbranch_execz .LBB1_3
.LBB1_19:                               ;   in Loop: Header=BB1_4 Depth=1
	s_waitcnt vmcnt(0)
	v_add_co_u32 v16, vcc_lo, v3, s16
	v_add_nc_u16 v18, v19, v4
	v_add_co_ci_u32_e64 v17, null, s17, v5, vcc_lo
	global_store_byte v[16:17], v18, off
	s_branch .LBB1_3
.LBB1_20:
	s_cbranch_execz .LBB1_22
	s_branch .LBB1_25
.LBB1_21:
.LBB1_22:
	v_cmp_gt_i64_e64 s0, 0x10000, s[10:11]
	v_mov_b32_e32 v3, 0
	v_lshlrev_b32_e32 v2, 2, v0
	s_mov_b32 s1, 0
	s_and_b32 s0, s0, exec_lo
	s_cselect_b32 s3, s11, 0
	s_cselect_b32 s2, s10, 0x10000
	s_mov_b32 s0, exec_lo
	v_cmpx_gt_i64_e64 s[2:3], v[2:3]
	s_cbranch_execz .LBB1_25
; %bb.23:
	s_load_dword s0, s[4:5], 0xcb4
	v_mov_b32_e32 v1, v3
	s_waitcnt lgkmcnt(0)
	s_and_b32 s4, s0, 0xffff
	s_add_u32 s0, s6, s8
	s_addc_u32 s5, s7, s9
	v_add_co_u32 v2, s0, s0, v2
	v_add_co_ci_u32_e64 v3, null, s5, 0, s0
	s_lshl_b32 s5, s4, 2
	s_inst_prefetch 0x1
	.p2align	6
.LBB1_24:                               ; =>This Inner Loop Header: Depth=1
	global_load_dword v5, v[2:3], off
	v_add_co_u32 v0, vcc_lo, v0, s4
	v_add_co_ci_u32_e64 v1, null, 0, v1, vcc_lo
	s_waitcnt vmcnt(0)
	v_lshrrev_b32_e32 v6, 8, v5
	v_lshrrev_b32_e32 v7, 24, v5
	v_lshrrev_b32_e32 v8, 16, v5
	v_add_nc_u16 v5, v4, v5
	v_add_nc_u16 v6, v4, v6
	;; [unrolled: 1-line block ×4, first 2 shown]
	v_lshlrev_b16 v6, 8, v6
	v_lshlrev_b16 v7, 8, v7
	v_or_b32_sdwa v9, v5, v6 dst_sel:DWORD dst_unused:UNUSED_PAD src0_sel:BYTE_0 src1_sel:DWORD
	v_or_b32_sdwa v7, v8, v7 dst_sel:WORD_1 dst_unused:UNUSED_PAD src0_sel:BYTE_0 src1_sel:DWORD
	v_lshlrev_b64 v[5:6], 2, v[0:1]
	v_or_b32_sdwa v7, v9, v7 dst_sel:DWORD dst_unused:UNUSED_PAD src0_sel:WORD_0 src1_sel:DWORD
	v_cmp_le_i64_e32 vcc_lo, s[2:3], v[5:6]
	global_store_dword v[2:3], v7, off
	v_add_co_u32 v2, s0, v2, s5
	v_add_co_ci_u32_e64 v3, null, 0, v3, s0
	s_or_b32 s1, vcc_lo, s1
	s_andn2_b32 exec_lo, exec_lo, s1
	s_cbranch_execnz .LBB1_24
.LBB1_25:
	s_inst_prefetch 0x2
	s_endpgm
	.section	.rodata,"a",@progbits
	.p2align	6, 0x0
	.amdhsa_kernel _ZN2at6native12_GLOBAL__N_125multi_tensor_apply_kernelINS1_28TensorListScalarListMetadataIaLi1EEENS1_25BinaryOpScalarListFunctorIaLi1ELi1ELi0EEEJSt4plusIaEEEEvT_T0_DpT1_
		.amdhsa_group_segment_fixed_size 0
		.amdhsa_private_segment_fixed_size 0
		.amdhsa_kernarg_size 3496
		.amdhsa_user_sgpr_count 6
		.amdhsa_user_sgpr_private_segment_buffer 1
		.amdhsa_user_sgpr_dispatch_ptr 0
		.amdhsa_user_sgpr_queue_ptr 0
		.amdhsa_user_sgpr_kernarg_segment_ptr 1
		.amdhsa_user_sgpr_dispatch_id 0
		.amdhsa_user_sgpr_flat_scratch_init 0
		.amdhsa_user_sgpr_private_segment_size 0
		.amdhsa_wavefront_size32 1
		.amdhsa_uses_dynamic_stack 0
		.amdhsa_system_sgpr_private_segment_wavefront_offset 0
		.amdhsa_system_sgpr_workgroup_id_x 1
		.amdhsa_system_sgpr_workgroup_id_y 0
		.amdhsa_system_sgpr_workgroup_id_z 0
		.amdhsa_system_sgpr_workgroup_info 0
		.amdhsa_system_vgpr_workitem_id 0
		.amdhsa_next_free_vgpr 22
		.amdhsa_next_free_sgpr 20
		.amdhsa_reserve_vcc 1
		.amdhsa_reserve_flat_scratch 0
		.amdhsa_float_round_mode_32 0
		.amdhsa_float_round_mode_16_64 0
		.amdhsa_float_denorm_mode_32 3
		.amdhsa_float_denorm_mode_16_64 3
		.amdhsa_dx10_clamp 1
		.amdhsa_ieee_mode 1
		.amdhsa_fp16_overflow 0
		.amdhsa_workgroup_processor_mode 1
		.amdhsa_memory_ordered 1
		.amdhsa_forward_progress 1
		.amdhsa_shared_vgpr_count 0
		.amdhsa_exception_fp_ieee_invalid_op 0
		.amdhsa_exception_fp_denorm_src 0
		.amdhsa_exception_fp_ieee_div_zero 0
		.amdhsa_exception_fp_ieee_overflow 0
		.amdhsa_exception_fp_ieee_underflow 0
		.amdhsa_exception_fp_ieee_inexact 0
		.amdhsa_exception_int_div_zero 0
	.end_amdhsa_kernel
	.section	.text._ZN2at6native12_GLOBAL__N_125multi_tensor_apply_kernelINS1_28TensorListScalarListMetadataIaLi1EEENS1_25BinaryOpScalarListFunctorIaLi1ELi1ELi0EEEJSt4plusIaEEEEvT_T0_DpT1_,"axG",@progbits,_ZN2at6native12_GLOBAL__N_125multi_tensor_apply_kernelINS1_28TensorListScalarListMetadataIaLi1EEENS1_25BinaryOpScalarListFunctorIaLi1ELi1ELi0EEEJSt4plusIaEEEEvT_T0_DpT1_,comdat
.Lfunc_end1:
	.size	_ZN2at6native12_GLOBAL__N_125multi_tensor_apply_kernelINS1_28TensorListScalarListMetadataIaLi1EEENS1_25BinaryOpScalarListFunctorIaLi1ELi1ELi0EEEJSt4plusIaEEEEvT_T0_DpT1_, .Lfunc_end1-_ZN2at6native12_GLOBAL__N_125multi_tensor_apply_kernelINS1_28TensorListScalarListMetadataIaLi1EEENS1_25BinaryOpScalarListFunctorIaLi1ELi1ELi0EEEJSt4plusIaEEEEvT_T0_DpT1_
                                        ; -- End function
	.set _ZN2at6native12_GLOBAL__N_125multi_tensor_apply_kernelINS1_28TensorListScalarListMetadataIaLi1EEENS1_25BinaryOpScalarListFunctorIaLi1ELi1ELi0EEEJSt4plusIaEEEEvT_T0_DpT1_.num_vgpr, 22
	.set _ZN2at6native12_GLOBAL__N_125multi_tensor_apply_kernelINS1_28TensorListScalarListMetadataIaLi1EEENS1_25BinaryOpScalarListFunctorIaLi1ELi1ELi0EEEJSt4plusIaEEEEvT_T0_DpT1_.num_agpr, 0
	.set _ZN2at6native12_GLOBAL__N_125multi_tensor_apply_kernelINS1_28TensorListScalarListMetadataIaLi1EEENS1_25BinaryOpScalarListFunctorIaLi1ELi1ELi0EEEJSt4plusIaEEEEvT_T0_DpT1_.numbered_sgpr, 20
	.set _ZN2at6native12_GLOBAL__N_125multi_tensor_apply_kernelINS1_28TensorListScalarListMetadataIaLi1EEENS1_25BinaryOpScalarListFunctorIaLi1ELi1ELi0EEEJSt4plusIaEEEEvT_T0_DpT1_.num_named_barrier, 0
	.set _ZN2at6native12_GLOBAL__N_125multi_tensor_apply_kernelINS1_28TensorListScalarListMetadataIaLi1EEENS1_25BinaryOpScalarListFunctorIaLi1ELi1ELi0EEEJSt4plusIaEEEEvT_T0_DpT1_.private_seg_size, 0
	.set _ZN2at6native12_GLOBAL__N_125multi_tensor_apply_kernelINS1_28TensorListScalarListMetadataIaLi1EEENS1_25BinaryOpScalarListFunctorIaLi1ELi1ELi0EEEJSt4plusIaEEEEvT_T0_DpT1_.uses_vcc, 1
	.set _ZN2at6native12_GLOBAL__N_125multi_tensor_apply_kernelINS1_28TensorListScalarListMetadataIaLi1EEENS1_25BinaryOpScalarListFunctorIaLi1ELi1ELi0EEEJSt4plusIaEEEEvT_T0_DpT1_.uses_flat_scratch, 0
	.set _ZN2at6native12_GLOBAL__N_125multi_tensor_apply_kernelINS1_28TensorListScalarListMetadataIaLi1EEENS1_25BinaryOpScalarListFunctorIaLi1ELi1ELi0EEEJSt4plusIaEEEEvT_T0_DpT1_.has_dyn_sized_stack, 0
	.set _ZN2at6native12_GLOBAL__N_125multi_tensor_apply_kernelINS1_28TensorListScalarListMetadataIaLi1EEENS1_25BinaryOpScalarListFunctorIaLi1ELi1ELi0EEEJSt4plusIaEEEEvT_T0_DpT1_.has_recursion, 0
	.set _ZN2at6native12_GLOBAL__N_125multi_tensor_apply_kernelINS1_28TensorListScalarListMetadataIaLi1EEENS1_25BinaryOpScalarListFunctorIaLi1ELi1ELi0EEEJSt4plusIaEEEEvT_T0_DpT1_.has_indirect_call, 0
	.section	.AMDGPU.csdata,"",@progbits
; Kernel info:
; codeLenInByte = 1256
; TotalNumSgprs: 22
; NumVgprs: 22
; ScratchSize: 0
; MemoryBound: 0
; FloatMode: 240
; IeeeMode: 1
; LDSByteSize: 0 bytes/workgroup (compile time only)
; SGPRBlocks: 0
; VGPRBlocks: 2
; NumSGPRsForWavesPerEU: 22
; NumVGPRsForWavesPerEU: 22
; Occupancy: 16
; WaveLimiterHint : 0
; COMPUTE_PGM_RSRC2:SCRATCH_EN: 0
; COMPUTE_PGM_RSRC2:USER_SGPR: 6
; COMPUTE_PGM_RSRC2:TRAP_HANDLER: 0
; COMPUTE_PGM_RSRC2:TGID_X_EN: 1
; COMPUTE_PGM_RSRC2:TGID_Y_EN: 0
; COMPUTE_PGM_RSRC2:TGID_Z_EN: 0
; COMPUTE_PGM_RSRC2:TIDIG_COMP_CNT: 0
	.section	.text._ZN2at6native12_GLOBAL__N_125multi_tensor_apply_kernelINS1_28TensorListScalarListMetadataIiLi1EEENS1_25BinaryOpScalarListFunctorIiLi1ELi1ELi0EEEJSt4plusIiEEEEvT_T0_DpT1_,"axG",@progbits,_ZN2at6native12_GLOBAL__N_125multi_tensor_apply_kernelINS1_28TensorListScalarListMetadataIiLi1EEENS1_25BinaryOpScalarListFunctorIiLi1ELi1ELi0EEEJSt4plusIiEEEEvT_T0_DpT1_,comdat
	.globl	_ZN2at6native12_GLOBAL__N_125multi_tensor_apply_kernelINS1_28TensorListScalarListMetadataIiLi1EEENS1_25BinaryOpScalarListFunctorIiLi1ELi1ELi0EEEJSt4plusIiEEEEvT_T0_DpT1_ ; -- Begin function _ZN2at6native12_GLOBAL__N_125multi_tensor_apply_kernelINS1_28TensorListScalarListMetadataIiLi1EEENS1_25BinaryOpScalarListFunctorIiLi1ELi1ELi0EEEJSt4plusIiEEEEvT_T0_DpT1_
	.p2align	8
	.type	_ZN2at6native12_GLOBAL__N_125multi_tensor_apply_kernelINS1_28TensorListScalarListMetadataIiLi1EEENS1_25BinaryOpScalarListFunctorIiLi1ELi1ELi0EEEJSt4plusIiEEEEvT_T0_DpT1_,@function
_ZN2at6native12_GLOBAL__N_125multi_tensor_apply_kernelINS1_28TensorListScalarListMetadataIiLi1EEENS1_25BinaryOpScalarListFunctorIiLi1ELi1ELi0EEEJSt4plusIiEEEEvT_T0_DpT1_: ; @_ZN2at6native12_GLOBAL__N_125multi_tensor_apply_kernelINS1_28TensorListScalarListMetadataIiLi1EEENS1_25BinaryOpScalarListFunctorIiLi1ELi1ELi0EEEJSt4plusIiEEEEvT_T0_DpT1_
; %bb.0:
	v_mov_b32_e32 v1, s6
	s_add_u32 s0, s4, s6
	s_mul_i32 s1, s6, 3
	s_mul_hi_u32 s2, s6, 3
	s_addc_u32 s3, s5, 0
	global_load_ubyte v1, v1, s[4:5] offset:1920
	s_add_u32 s0, s0, s1
	s_addc_u32 s1, s3, s2
	s_mov_b32 s13, 0
	s_load_dword s0, s[0:1], 0x8c0
	s_waitcnt vmcnt(0)
	v_readfirstlane_b32 s1, v1
	v_lshlrev_b32_e32 v1, 2, v1
	s_lshl_b32 s8, s1, 3
	v_sub_co_u32 v1, s1, 0, v1
	v_sub_co_ci_u32_e64 v2, null, 0, 0, s1
	s_waitcnt lgkmcnt(0)
	s_ashr_i32 s1, s0, 31
	s_clause 0x1
	s_load_dwordx2 s[2:3], s[4:5], s8 offset:0x300
	s_load_dwordx2 s[6:7], s[4:5], s8 offset:0x0
	s_add_u32 s8, s4, s8
	s_addc_u32 s9, s5, 0
	v_add_co_u32 v1, vcc_lo, s8, v1
	v_add_co_ci_u32_e64 v2, null, s9, v2, vcc_lo
	v_readfirstlane_b32 s8, v1
	v_readfirstlane_b32 s9, v2
	s_load_dword s18, s[8:9], 0x600
	s_lshl_b64 s[8:9], s[0:1], 18
	s_lshl_b64 s[0:1], s[0:1], 16
	s_waitcnt lgkmcnt(0)
	s_and_b32 s12, s6, 15
	s_sub_u32 s10, s2, s0
	s_subb_u32 s11, s3, s1
	s_and_b32 s0, s2, 3
	s_mov_b32 s1, s13
	s_or_b64 s[0:1], s[12:13], s[0:1]
	s_cmp_eq_u64 s[0:1], 0
	s_cbranch_scc1 .LBB2_21
; %bb.1:
	v_cmp_lt_i64_e64 s0, s[10:11], 1
	s_and_b32 vcc_lo, exec_lo, s0
	s_cbranch_vccnz .LBB2_20
; %bb.2:
	s_load_dword s0, s[4:5], 0xdd4
	v_cmp_gt_i64_e64 s1, 0x10000, s[10:11]
	v_cmp_gt_u64_e64 s2, 0x10000, s[10:11]
	v_lshlrev_b32_e32 v1, 2, v0
	s_and_b32 s1, s1, exec_lo
	s_cselect_b32 s13, s11, 0
	s_cselect_b32 s12, s10, 0x10000
	s_waitcnt lgkmcnt(0)
	s_and_b32 s0, s0, 0xffff
	s_and_b32 s1, s2, exec_lo
	v_add_co_u32 v5, s3, v0, s0
	s_cselect_b32 s15, s11, 0
	s_cselect_b32 s14, s10, 0x10000
	s_lshl_b32 s1, s0, 1
	v_lshlrev_b32_e32 v3, 2, v5
	s_mul_i32 s2, s0, 3
	s_lshl_b32 s19, s0, 2
	s_add_u32 s16, s6, s8
	v_add_co_u32 v6, s2, s2, v0
	v_add_co_u32 v9, s1, s1, v0
	s_addc_u32 s17, s7, s9
	v_add_co_ci_u32_e64 v7, null, 0, 0, s2
	v_add_co_u32 v1, s2, s16, v1
	v_add_co_ci_u32_e64 v10, null, 0, 0, s1
	v_add_co_u32 v3, s1, s16, v3
	v_add_co_ci_u32_e64 v2, null, s17, 0, s2
	v_add_co_ci_u32_e64 v8, null, 0, 0, s3
	v_add_co_ci_u32_e64 v4, null, s17, 0, s1
	s_lshl_b32 s20, s0, 4
	s_mul_i32 s21, s0, 12
	s_lshl_b32 s22, s0, 3
	s_mov_b64 s[16:17], 0
	s_branch .LBB2_4
.LBB2_3:                                ;   in Loop: Header=BB2_4 Depth=1
	s_or_b32 exec_lo, exec_lo, s0
	s_add_u32 s16, s16, s19
	s_addc_u32 s17, s17, 0
	v_add_co_u32 v1, vcc_lo, v1, s20
	v_cmp_lt_i64_e64 s0, s[16:17], s[12:13]
	v_add_co_ci_u32_e64 v2, null, 0, v2, vcc_lo
	v_add_co_u32 v3, vcc_lo, v3, s20
	v_add_co_ci_u32_e64 v4, null, 0, v4, vcc_lo
	s_and_b32 vcc_lo, exec_lo, s0
	s_cbranch_vccz .LBB2_20
.LBB2_4:                                ; =>This Inner Loop Header: Depth=1
	s_waitcnt vmcnt(0)
	v_add_co_u32 v11, s0, v0, s16
	v_add_co_ci_u32_e64 v12, null, 0, s17, s0
	v_cmp_gt_u64_e32 vcc_lo, s[14:15], v[11:12]
	v_mov_b32_e32 v11, 0
	s_and_saveexec_b32 s0, vcc_lo
	s_cbranch_execz .LBB2_6
; %bb.5:                                ;   in Loop: Header=BB2_4 Depth=1
	global_load_dword v11, v[1:2], off
.LBB2_6:                                ;   in Loop: Header=BB2_4 Depth=1
	s_or_b32 exec_lo, exec_lo, s0
	v_add_co_u32 v12, s0, v5, s16
	v_add_co_ci_u32_e64 v13, null, s17, v8, s0
	v_cmp_gt_u64_e64 s0, s[14:15], v[12:13]
	v_mov_b32_e32 v12, 0
	v_mov_b32_e32 v13, 0
	s_and_saveexec_b32 s1, s0
	s_cbranch_execz .LBB2_8
; %bb.7:                                ;   in Loop: Header=BB2_4 Depth=1
	global_load_dword v13, v[3:4], off
.LBB2_8:                                ;   in Loop: Header=BB2_4 Depth=1
	s_or_b32 exec_lo, exec_lo, s1
	v_add_co_u32 v14, s1, v9, s16
	v_add_co_ci_u32_e64 v15, null, s17, v10, s1
	v_cmp_gt_u64_e64 s1, s[14:15], v[14:15]
	s_and_saveexec_b32 s3, s1
	s_cbranch_execz .LBB2_10
; %bb.9:                                ;   in Loop: Header=BB2_4 Depth=1
	v_add_co_u32 v14, s2, v1, s22
	v_add_co_ci_u32_e64 v15, null, 0, v2, s2
	global_load_dword v12, v[14:15], off
.LBB2_10:                               ;   in Loop: Header=BB2_4 Depth=1
	s_or_b32 exec_lo, exec_lo, s3
	v_add_co_u32 v14, s2, v6, s16
	v_add_co_ci_u32_e64 v15, null, s17, v7, s2
	v_cmp_gt_u64_e64 s2, s[14:15], v[14:15]
	v_mov_b32_e32 v14, 0
	s_and_saveexec_b32 s23, s2
	s_cbranch_execnz .LBB2_15
; %bb.11:                               ;   in Loop: Header=BB2_4 Depth=1
	s_or_b32 exec_lo, exec_lo, s23
	s_and_saveexec_b32 s3, vcc_lo
	s_cbranch_execnz .LBB2_16
.LBB2_12:                               ;   in Loop: Header=BB2_4 Depth=1
	s_or_b32 exec_lo, exec_lo, s3
	s_and_saveexec_b32 s3, s0
	s_cbranch_execnz .LBB2_17
.LBB2_13:                               ;   in Loop: Header=BB2_4 Depth=1
	s_or_b32 exec_lo, exec_lo, s3
	s_and_saveexec_b32 s0, s1
	s_cbranch_execnz .LBB2_18
.LBB2_14:                               ;   in Loop: Header=BB2_4 Depth=1
	s_or_b32 exec_lo, exec_lo, s0
	s_and_saveexec_b32 s0, s2
	s_cbranch_execz .LBB2_3
	s_branch .LBB2_19
.LBB2_15:                               ;   in Loop: Header=BB2_4 Depth=1
	v_add_co_u32 v14, s3, v1, s21
	v_add_co_ci_u32_e64 v15, null, 0, v2, s3
	global_load_dword v14, v[14:15], off
	s_or_b32 exec_lo, exec_lo, s23
	s_and_saveexec_b32 s3, vcc_lo
	s_cbranch_execz .LBB2_12
.LBB2_16:                               ;   in Loop: Header=BB2_4 Depth=1
	s_waitcnt vmcnt(0)
	v_add_nc_u32_e32 v11, s18, v11
	global_store_dword v[1:2], v11, off
	s_or_b32 exec_lo, exec_lo, s3
	s_and_saveexec_b32 s3, s0
	s_cbranch_execz .LBB2_13
.LBB2_17:                               ;   in Loop: Header=BB2_4 Depth=1
	s_waitcnt vmcnt(0)
	v_add_nc_u32_e32 v11, s18, v13
	global_store_dword v[3:4], v11, off
	s_or_b32 exec_lo, exec_lo, s3
	s_and_saveexec_b32 s0, s1
	s_cbranch_execz .LBB2_14
.LBB2_18:                               ;   in Loop: Header=BB2_4 Depth=1
	s_waitcnt vmcnt(0)
	v_add_co_u32 v11, vcc_lo, v1, s22
	v_add_nc_u32_e32 v13, s18, v12
	v_add_co_ci_u32_e64 v12, null, 0, v2, vcc_lo
	global_store_dword v[11:12], v13, off
	s_or_b32 exec_lo, exec_lo, s0
	s_and_saveexec_b32 s0, s2
	s_cbranch_execz .LBB2_3
.LBB2_19:                               ;   in Loop: Header=BB2_4 Depth=1
	s_waitcnt vmcnt(0)
	v_add_co_u32 v11, vcc_lo, v1, s21
	v_add_nc_u32_e32 v13, s18, v14
	v_add_co_ci_u32_e64 v12, null, 0, v2, vcc_lo
	global_store_dword v[11:12], v13, off
	s_branch .LBB2_3
.LBB2_20:
	s_cbranch_execz .LBB2_22
	s_branch .LBB2_25
.LBB2_21:
.LBB2_22:
	v_cmp_gt_i64_e64 s0, 0x10000, s[10:11]
	v_mov_b32_e32 v2, 0
	v_lshlrev_b32_e32 v1, 2, v0
	s_mov_b32 s1, 0
	s_and_b32 s0, s0, exec_lo
	s_cselect_b32 s3, s11, 0
	s_cselect_b32 s2, s10, 0x10000
	s_mov_b32 s0, exec_lo
	v_cmpx_gt_i64_e64 s[2:3], v[1:2]
	s_cbranch_execz .LBB2_25
; %bb.23:
	s_load_dword s0, s[4:5], 0xdd4
	v_lshlrev_b32_e32 v1, 4, v0
	s_waitcnt lgkmcnt(0)
	s_and_b32 s4, s0, 0xffff
	s_add_u32 s0, s6, s8
	s_addc_u32 s5, s7, s9
	v_add_co_u32 v3, s0, s0, v1
	v_add_co_ci_u32_e64 v4, null, s5, 0, s0
	v_mov_b32_e32 v1, v2
	v_add_co_u32 v2, vcc_lo, v3, 8
	v_add_co_ci_u32_e64 v3, null, 0, v4, vcc_lo
	s_lshl_b32 s5, s4, 4
	.p2align	6
.LBB2_24:                               ; =>This Inner Loop Header: Depth=1
	global_load_dwordx4 v[4:7], v[2:3], off offset:-8
	v_add_co_u32 v0, vcc_lo, v0, s4
	v_add_co_ci_u32_e64 v1, null, 0, v1, vcc_lo
	v_lshlrev_b64 v[8:9], 2, v[0:1]
	v_cmp_le_i64_e32 vcc_lo, s[2:3], v[8:9]
	s_or_b32 s1, vcc_lo, s1
	s_waitcnt vmcnt(0)
	v_add_nc_u32_e32 v4, s18, v4
	v_add_nc_u32_e32 v5, s18, v5
	;; [unrolled: 1-line block ×4, first 2 shown]
	global_store_dwordx4 v[2:3], v[4:7], off offset:-8
	v_add_co_u32 v2, s0, v2, s5
	v_add_co_ci_u32_e64 v3, null, 0, v3, s0
	s_andn2_b32 exec_lo, exec_lo, s1
	s_cbranch_execnz .LBB2_24
.LBB2_25:
	s_endpgm
	.section	.rodata,"a",@progbits
	.p2align	6, 0x0
	.amdhsa_kernel _ZN2at6native12_GLOBAL__N_125multi_tensor_apply_kernelINS1_28TensorListScalarListMetadataIiLi1EEENS1_25BinaryOpScalarListFunctorIiLi1ELi1ELi0EEEJSt4plusIiEEEEvT_T0_DpT1_
		.amdhsa_group_segment_fixed_size 0
		.amdhsa_private_segment_fixed_size 0
		.amdhsa_kernarg_size 3784
		.amdhsa_user_sgpr_count 6
		.amdhsa_user_sgpr_private_segment_buffer 1
		.amdhsa_user_sgpr_dispatch_ptr 0
		.amdhsa_user_sgpr_queue_ptr 0
		.amdhsa_user_sgpr_kernarg_segment_ptr 1
		.amdhsa_user_sgpr_dispatch_id 0
		.amdhsa_user_sgpr_flat_scratch_init 0
		.amdhsa_user_sgpr_private_segment_size 0
		.amdhsa_wavefront_size32 1
		.amdhsa_uses_dynamic_stack 0
		.amdhsa_system_sgpr_private_segment_wavefront_offset 0
		.amdhsa_system_sgpr_workgroup_id_x 1
		.amdhsa_system_sgpr_workgroup_id_y 0
		.amdhsa_system_sgpr_workgroup_id_z 0
		.amdhsa_system_sgpr_workgroup_info 0
		.amdhsa_system_vgpr_workitem_id 0
		.amdhsa_next_free_vgpr 16
		.amdhsa_next_free_sgpr 24
		.amdhsa_reserve_vcc 1
		.amdhsa_reserve_flat_scratch 0
		.amdhsa_float_round_mode_32 0
		.amdhsa_float_round_mode_16_64 0
		.amdhsa_float_denorm_mode_32 3
		.amdhsa_float_denorm_mode_16_64 3
		.amdhsa_dx10_clamp 1
		.amdhsa_ieee_mode 1
		.amdhsa_fp16_overflow 0
		.amdhsa_workgroup_processor_mode 1
		.amdhsa_memory_ordered 1
		.amdhsa_forward_progress 1
		.amdhsa_shared_vgpr_count 0
		.amdhsa_exception_fp_ieee_invalid_op 0
		.amdhsa_exception_fp_denorm_src 0
		.amdhsa_exception_fp_ieee_div_zero 0
		.amdhsa_exception_fp_ieee_overflow 0
		.amdhsa_exception_fp_ieee_underflow 0
		.amdhsa_exception_fp_ieee_inexact 0
		.amdhsa_exception_int_div_zero 0
	.end_amdhsa_kernel
	.section	.text._ZN2at6native12_GLOBAL__N_125multi_tensor_apply_kernelINS1_28TensorListScalarListMetadataIiLi1EEENS1_25BinaryOpScalarListFunctorIiLi1ELi1ELi0EEEJSt4plusIiEEEEvT_T0_DpT1_,"axG",@progbits,_ZN2at6native12_GLOBAL__N_125multi_tensor_apply_kernelINS1_28TensorListScalarListMetadataIiLi1EEENS1_25BinaryOpScalarListFunctorIiLi1ELi1ELi0EEEJSt4plusIiEEEEvT_T0_DpT1_,comdat
.Lfunc_end2:
	.size	_ZN2at6native12_GLOBAL__N_125multi_tensor_apply_kernelINS1_28TensorListScalarListMetadataIiLi1EEENS1_25BinaryOpScalarListFunctorIiLi1ELi1ELi0EEEJSt4plusIiEEEEvT_T0_DpT1_, .Lfunc_end2-_ZN2at6native12_GLOBAL__N_125multi_tensor_apply_kernelINS1_28TensorListScalarListMetadataIiLi1EEENS1_25BinaryOpScalarListFunctorIiLi1ELi1ELi0EEEJSt4plusIiEEEEvT_T0_DpT1_
                                        ; -- End function
	.set _ZN2at6native12_GLOBAL__N_125multi_tensor_apply_kernelINS1_28TensorListScalarListMetadataIiLi1EEENS1_25BinaryOpScalarListFunctorIiLi1ELi1ELi0EEEJSt4plusIiEEEEvT_T0_DpT1_.num_vgpr, 16
	.set _ZN2at6native12_GLOBAL__N_125multi_tensor_apply_kernelINS1_28TensorListScalarListMetadataIiLi1EEENS1_25BinaryOpScalarListFunctorIiLi1ELi1ELi0EEEJSt4plusIiEEEEvT_T0_DpT1_.num_agpr, 0
	.set _ZN2at6native12_GLOBAL__N_125multi_tensor_apply_kernelINS1_28TensorListScalarListMetadataIiLi1EEENS1_25BinaryOpScalarListFunctorIiLi1ELi1ELi0EEEJSt4plusIiEEEEvT_T0_DpT1_.numbered_sgpr, 24
	.set _ZN2at6native12_GLOBAL__N_125multi_tensor_apply_kernelINS1_28TensorListScalarListMetadataIiLi1EEENS1_25BinaryOpScalarListFunctorIiLi1ELi1ELi0EEEJSt4plusIiEEEEvT_T0_DpT1_.num_named_barrier, 0
	.set _ZN2at6native12_GLOBAL__N_125multi_tensor_apply_kernelINS1_28TensorListScalarListMetadataIiLi1EEENS1_25BinaryOpScalarListFunctorIiLi1ELi1ELi0EEEJSt4plusIiEEEEvT_T0_DpT1_.private_seg_size, 0
	.set _ZN2at6native12_GLOBAL__N_125multi_tensor_apply_kernelINS1_28TensorListScalarListMetadataIiLi1EEENS1_25BinaryOpScalarListFunctorIiLi1ELi1ELi0EEEJSt4plusIiEEEEvT_T0_DpT1_.uses_vcc, 1
	.set _ZN2at6native12_GLOBAL__N_125multi_tensor_apply_kernelINS1_28TensorListScalarListMetadataIiLi1EEENS1_25BinaryOpScalarListFunctorIiLi1ELi1ELi0EEEJSt4plusIiEEEEvT_T0_DpT1_.uses_flat_scratch, 0
	.set _ZN2at6native12_GLOBAL__N_125multi_tensor_apply_kernelINS1_28TensorListScalarListMetadataIiLi1EEENS1_25BinaryOpScalarListFunctorIiLi1ELi1ELi0EEEJSt4plusIiEEEEvT_T0_DpT1_.has_dyn_sized_stack, 0
	.set _ZN2at6native12_GLOBAL__N_125multi_tensor_apply_kernelINS1_28TensorListScalarListMetadataIiLi1EEENS1_25BinaryOpScalarListFunctorIiLi1ELi1ELi0EEEJSt4plusIiEEEEvT_T0_DpT1_.has_recursion, 0
	.set _ZN2at6native12_GLOBAL__N_125multi_tensor_apply_kernelINS1_28TensorListScalarListMetadataIiLi1EEENS1_25BinaryOpScalarListFunctorIiLi1ELi1ELi0EEEJSt4plusIiEEEEvT_T0_DpT1_.has_indirect_call, 0
	.section	.AMDGPU.csdata,"",@progbits
; Kernel info:
; codeLenInByte = 1184
; TotalNumSgprs: 26
; NumVgprs: 16
; ScratchSize: 0
; MemoryBound: 0
; FloatMode: 240
; IeeeMode: 1
; LDSByteSize: 0 bytes/workgroup (compile time only)
; SGPRBlocks: 0
; VGPRBlocks: 1
; NumSGPRsForWavesPerEU: 26
; NumVGPRsForWavesPerEU: 16
; Occupancy: 16
; WaveLimiterHint : 0
; COMPUTE_PGM_RSRC2:SCRATCH_EN: 0
; COMPUTE_PGM_RSRC2:USER_SGPR: 6
; COMPUTE_PGM_RSRC2:TRAP_HANDLER: 0
; COMPUTE_PGM_RSRC2:TGID_X_EN: 1
; COMPUTE_PGM_RSRC2:TGID_Y_EN: 0
; COMPUTE_PGM_RSRC2:TGID_Z_EN: 0
; COMPUTE_PGM_RSRC2:TIDIG_COMP_CNT: 0
	.section	.text._ZN2at6native12_GLOBAL__N_125multi_tensor_apply_kernelINS1_28TensorListScalarListMetadataIlLi1EEENS1_25BinaryOpScalarListFunctorIlLi1ELi1ELi0EEEJSt4plusIlEEEEvT_T0_DpT1_,"axG",@progbits,_ZN2at6native12_GLOBAL__N_125multi_tensor_apply_kernelINS1_28TensorListScalarListMetadataIlLi1EEENS1_25BinaryOpScalarListFunctorIlLi1ELi1ELi0EEEJSt4plusIlEEEEvT_T0_DpT1_,comdat
	.globl	_ZN2at6native12_GLOBAL__N_125multi_tensor_apply_kernelINS1_28TensorListScalarListMetadataIlLi1EEENS1_25BinaryOpScalarListFunctorIlLi1ELi1ELi0EEEJSt4plusIlEEEEvT_T0_DpT1_ ; -- Begin function _ZN2at6native12_GLOBAL__N_125multi_tensor_apply_kernelINS1_28TensorListScalarListMetadataIlLi1EEENS1_25BinaryOpScalarListFunctorIlLi1ELi1ELi0EEEJSt4plusIlEEEEvT_T0_DpT1_
	.p2align	8
	.type	_ZN2at6native12_GLOBAL__N_125multi_tensor_apply_kernelINS1_28TensorListScalarListMetadataIlLi1EEENS1_25BinaryOpScalarListFunctorIlLi1ELi1ELi0EEEJSt4plusIlEEEEvT_T0_DpT1_,@function
_ZN2at6native12_GLOBAL__N_125multi_tensor_apply_kernelINS1_28TensorListScalarListMetadataIlLi1EEENS1_25BinaryOpScalarListFunctorIlLi1ELi1ELi0EEEJSt4plusIlEEEEvT_T0_DpT1_: ; @_ZN2at6native12_GLOBAL__N_125multi_tensor_apply_kernelINS1_28TensorListScalarListMetadataIlLi1EEENS1_25BinaryOpScalarListFunctorIlLi1ELi1ELi0EEEJSt4plusIlEEEEvT_T0_DpT1_
; %bb.0:
	v_mov_b32_e32 v1, 0x800
	s_add_u32 s0, s4, s6
	s_addc_u32 s1, s5, 0
	s_mov_b32 s7, 0
	global_load_ubyte v1, v1, s[0:1] offset:256
	s_lshl_b64 s[0:1], s[6:7], 2
	s_add_u32 s0, s4, s0
	s_addc_u32 s1, s5, s1
	s_load_dword s0, s[0:1], 0xa40
	s_waitcnt vmcnt(0)
	v_readfirstlane_b32 s2, v1
	s_lshl_b32 s1, s2, 3
	s_clause 0x2
	s_load_dwordx2 s[8:9], s[4:5], s1 offset:0x600
	s_load_dwordx2 s[10:11], s[4:5], s1 offset:0x0
	s_load_dwordx2 s[2:3], s[4:5], s1 offset:0x300
	s_waitcnt lgkmcnt(0)
	s_ashr_i32 s1, s0, 31
	s_lshl_b64 s[12:13], s[0:1], 19
	s_lshl_b64 s[0:1], s[0:1], 16
	s_and_b32 s6, s10, 31
	s_sub_u32 s14, s2, s0
	s_subb_u32 s15, s3, s1
	s_and_b32 s0, s2, 3
	s_mov_b32 s1, s7
	s_or_b64 s[0:1], s[6:7], s[0:1]
	s_cmp_eq_u64 s[0:1], 0
	s_cbranch_scc1 .LBB3_21
; %bb.1:
	v_cmp_lt_i64_e64 s0, s[14:15], 1
	s_and_b32 vcc_lo, exec_lo, s0
	s_cbranch_vccnz .LBB3_20
; %bb.2:
	s_load_dword s0, s[4:5], 0xf54
	v_cmp_gt_i64_e64 s1, 0x10000, s[14:15]
	v_cmp_gt_u64_e64 s2, 0x10000, s[14:15]
	v_lshlrev_b32_e32 v1, 3, v0
	s_and_b32 s1, s1, exec_lo
	s_cselect_b32 s7, s15, 0
	s_cselect_b32 s6, s14, 0x10000
	s_waitcnt lgkmcnt(0)
	s_and_b32 s0, s0, 0xffff
	s_and_b32 s1, s2, exec_lo
	v_add_co_u32 v13, s3, v0, s0
	s_cselect_b32 s17, s15, 0
	s_cselect_b32 s16, s14, 0x10000
	s_lshl_b32 s1, s0, 1
	v_lshlrev_b32_e32 v3, 3, v13
	s_mul_i32 s2, s0, 3
	s_lshl_b32 s20, s0, 2
	s_add_u32 s18, s10, s12
	v_add_co_u32 v14, s2, s2, v0
	v_add_co_u32 v17, s1, s1, v0
	s_addc_u32 s19, s11, s13
	v_add_co_ci_u32_e64 v15, null, 0, 0, s2
	v_add_co_u32 v1, s2, s18, v1
	v_add_co_ci_u32_e64 v18, null, 0, 0, s1
	v_add_co_u32 v3, s1, s18, v3
	v_add_co_ci_u32_e64 v2, null, s19, 0, s2
	v_add_co_ci_u32_e64 v16, null, 0, 0, s3
	;; [unrolled: 1-line block ×3, first 2 shown]
	s_lshl_b32 s21, s0, 5
	s_mul_i32 s22, s0, 24
	s_lshl_b32 s23, s0, 4
	s_mov_b64 s[18:19], 0
	s_branch .LBB3_4
.LBB3_3:                                ;   in Loop: Header=BB3_4 Depth=1
	s_or_b32 exec_lo, exec_lo, s0
	s_add_u32 s18, s18, s20
	s_addc_u32 s19, s19, 0
	v_add_co_u32 v1, vcc_lo, v1, s21
	v_cmp_lt_i64_e64 s0, s[18:19], s[6:7]
	v_add_co_ci_u32_e64 v2, null, 0, v2, vcc_lo
	v_add_co_u32 v3, vcc_lo, v3, s21
	v_add_co_ci_u32_e64 v4, null, 0, v4, vcc_lo
	s_and_b32 vcc_lo, exec_lo, s0
	s_cbranch_vccz .LBB3_20
.LBB3_4:                                ; =>This Inner Loop Header: Depth=1
	s_waitcnt vmcnt(0)
	v_add_co_u32 v7, s0, v0, s18
	v_add_co_ci_u32_e64 v8, null, 0, s19, s0
	v_mov_b32_e32 v5, 0
	v_mov_b32_e32 v9, 0
	;; [unrolled: 1-line block ×3, first 2 shown]
	v_cmp_gt_u64_e32 vcc_lo, s[16:17], v[7:8]
	v_mov_b32_e32 v10, 0
	s_and_saveexec_b32 s0, vcc_lo
	s_cbranch_execz .LBB3_6
; %bb.5:                                ;   in Loop: Header=BB3_4 Depth=1
	global_load_dwordx2 v[9:10], v[1:2], off
.LBB3_6:                                ;   in Loop: Header=BB3_4 Depth=1
	s_or_b32 exec_lo, exec_lo, s0
	v_add_co_u32 v7, s0, v13, s18
	v_add_co_ci_u32_e64 v8, null, s19, v16, s0
	v_cmp_gt_u64_e64 s0, s[16:17], v[7:8]
	s_and_saveexec_b32 s1, s0
	s_cbranch_execz .LBB3_8
; %bb.7:                                ;   in Loop: Header=BB3_4 Depth=1
	global_load_dwordx2 v[5:6], v[3:4], off
.LBB3_8:                                ;   in Loop: Header=BB3_4 Depth=1
	s_or_b32 exec_lo, exec_lo, s1
	v_add_co_u32 v11, s1, v17, s18
	v_add_co_ci_u32_e64 v12, null, s19, v18, s1
	v_mov_b32_e32 v7, 0
	v_mov_b32_e32 v8, 0
	v_cmp_gt_u64_e64 s1, s[16:17], v[11:12]
	v_mov_b32_e32 v11, 0
	v_mov_b32_e32 v12, 0
	s_and_saveexec_b32 s3, s1
	s_cbranch_execz .LBB3_10
; %bb.9:                                ;   in Loop: Header=BB3_4 Depth=1
	v_add_co_u32 v11, s2, v1, s23
	v_add_co_ci_u32_e64 v12, null, 0, v2, s2
	global_load_dwordx2 v[11:12], v[11:12], off
.LBB3_10:                               ;   in Loop: Header=BB3_4 Depth=1
	s_or_b32 exec_lo, exec_lo, s3
	v_add_co_u32 v19, s2, v14, s18
	v_add_co_ci_u32_e64 v20, null, s19, v15, s2
	v_cmp_gt_u64_e64 s2, s[16:17], v[19:20]
	s_and_saveexec_b32 s24, s2
	s_cbranch_execnz .LBB3_15
; %bb.11:                               ;   in Loop: Header=BB3_4 Depth=1
	s_or_b32 exec_lo, exec_lo, s24
	s_and_saveexec_b32 s3, vcc_lo
	s_cbranch_execnz .LBB3_16
.LBB3_12:                               ;   in Loop: Header=BB3_4 Depth=1
	s_or_b32 exec_lo, exec_lo, s3
	s_and_saveexec_b32 s3, s0
	s_cbranch_execnz .LBB3_17
.LBB3_13:                               ;   in Loop: Header=BB3_4 Depth=1
	s_or_b32 exec_lo, exec_lo, s3
	s_and_saveexec_b32 s0, s1
	s_cbranch_execnz .LBB3_18
.LBB3_14:                               ;   in Loop: Header=BB3_4 Depth=1
	s_or_b32 exec_lo, exec_lo, s0
	s_and_saveexec_b32 s0, s2
	s_cbranch_execz .LBB3_3
	s_branch .LBB3_19
.LBB3_15:                               ;   in Loop: Header=BB3_4 Depth=1
	v_add_co_u32 v7, s3, v1, s22
	v_add_co_ci_u32_e64 v8, null, 0, v2, s3
	global_load_dwordx2 v[7:8], v[7:8], off
	s_or_b32 exec_lo, exec_lo, s24
	s_and_saveexec_b32 s3, vcc_lo
	s_cbranch_execz .LBB3_12
.LBB3_16:                               ;   in Loop: Header=BB3_4 Depth=1
	s_waitcnt vmcnt(0)
	v_add_co_u32 v9, vcc_lo, v9, s8
	v_add_co_ci_u32_e64 v10, null, s9, v10, vcc_lo
	global_store_dwordx2 v[1:2], v[9:10], off
	s_or_b32 exec_lo, exec_lo, s3
	s_and_saveexec_b32 s3, s0
	s_cbranch_execz .LBB3_13
.LBB3_17:                               ;   in Loop: Header=BB3_4 Depth=1
	s_waitcnt vmcnt(0)
	v_add_co_u32 v5, vcc_lo, v5, s8
	v_add_co_ci_u32_e64 v6, null, s9, v6, vcc_lo
	global_store_dwordx2 v[3:4], v[5:6], off
	s_or_b32 exec_lo, exec_lo, s3
	s_and_saveexec_b32 s0, s1
	s_cbranch_execz .LBB3_14
.LBB3_18:                               ;   in Loop: Header=BB3_4 Depth=1
	s_waitcnt vmcnt(0)
	v_add_co_u32 v5, vcc_lo, v11, s8
	v_add_co_ci_u32_e64 v6, null, s9, v12, vcc_lo
	v_add_co_u32 v9, vcc_lo, v1, s23
	v_add_co_ci_u32_e64 v10, null, 0, v2, vcc_lo
	global_store_dwordx2 v[9:10], v[5:6], off
	s_or_b32 exec_lo, exec_lo, s0
	s_and_saveexec_b32 s0, s2
	s_cbranch_execz .LBB3_3
.LBB3_19:                               ;   in Loop: Header=BB3_4 Depth=1
	s_waitcnt vmcnt(0)
	v_add_co_u32 v5, vcc_lo, v7, s8
	v_add_co_ci_u32_e64 v6, null, s9, v8, vcc_lo
	v_add_co_u32 v7, vcc_lo, v1, s22
	v_add_co_ci_u32_e64 v8, null, 0, v2, vcc_lo
	global_store_dwordx2 v[7:8], v[5:6], off
	s_branch .LBB3_3
.LBB3_20:
	s_cbranch_execz .LBB3_22
	s_branch .LBB3_25
.LBB3_21:
.LBB3_22:
	v_cmp_gt_i64_e64 s0, 0x10000, s[14:15]
	v_mov_b32_e32 v2, 0
	v_lshlrev_b32_e32 v1, 2, v0
	s_mov_b32 s1, 0
	s_and_b32 s0, s0, exec_lo
	s_cselect_b32 s3, s15, 0
	s_cselect_b32 s2, s14, 0x10000
	s_mov_b32 s0, exec_lo
	v_cmpx_gt_i64_e64 s[2:3], v[1:2]
	s_cbranch_execz .LBB3_25
; %bb.23:
	s_load_dword s0, s[4:5], 0xf54
	v_lshlrev_b32_e32 v1, 5, v0
	s_waitcnt lgkmcnt(0)
	s_and_b32 s4, s0, 0xffff
	s_add_u32 s0, s10, s12
	s_addc_u32 s5, s11, s13
	v_add_co_u32 v3, s0, s0, v1
	v_add_co_ci_u32_e64 v4, null, s5, 0, s0
	v_mov_b32_e32 v1, v2
	v_add_co_u32 v2, vcc_lo, v3, 16
	v_add_co_ci_u32_e64 v3, null, 0, v4, vcc_lo
	s_lshl_b32 s5, s4, 5
	s_inst_prefetch 0x1
	.p2align	6
.LBB3_24:                               ; =>This Inner Loop Header: Depth=1
	s_clause 0x1
	global_load_dwordx4 v[4:7], v[2:3], off offset:-16
	global_load_dwordx4 v[8:11], v[2:3], off
	v_add_co_u32 v0, vcc_lo, v0, s4
	v_add_co_ci_u32_e64 v1, null, 0, v1, vcc_lo
	s_waitcnt vmcnt(2)
	v_lshlrev_b64 v[12:13], 2, v[0:1]
	s_waitcnt vmcnt(1)
	v_add_co_u32 v4, vcc_lo, v4, s8
	v_add_co_ci_u32_e64 v5, null, s9, v5, vcc_lo
	v_add_co_u32 v6, vcc_lo, v6, s8
	v_add_co_ci_u32_e64 v7, null, s9, v7, vcc_lo
	s_waitcnt vmcnt(0)
	v_add_co_u32 v8, vcc_lo, v8, s8
	v_add_co_ci_u32_e64 v9, null, s9, v9, vcc_lo
	v_add_co_u32 v10, vcc_lo, v10, s8
	v_add_co_ci_u32_e64 v11, null, s9, v11, vcc_lo
	v_cmp_le_i64_e32 vcc_lo, s[2:3], v[12:13]
	global_store_dwordx4 v[2:3], v[4:7], off offset:-16
	global_store_dwordx4 v[2:3], v[8:11], off
	v_add_co_u32 v2, s0, v2, s5
	v_add_co_ci_u32_e64 v3, null, 0, v3, s0
	s_or_b32 s1, vcc_lo, s1
	s_andn2_b32 exec_lo, exec_lo, s1
	s_cbranch_execnz .LBB3_24
.LBB3_25:
	s_inst_prefetch 0x2
	s_endpgm
	.section	.rodata,"a",@progbits
	.p2align	6, 0x0
	.amdhsa_kernel _ZN2at6native12_GLOBAL__N_125multi_tensor_apply_kernelINS1_28TensorListScalarListMetadataIlLi1EEENS1_25BinaryOpScalarListFunctorIlLi1ELi1ELi0EEEJSt4plusIlEEEEvT_T0_DpT1_
		.amdhsa_group_segment_fixed_size 0
		.amdhsa_private_segment_fixed_size 0
		.amdhsa_kernarg_size 4168
		.amdhsa_user_sgpr_count 6
		.amdhsa_user_sgpr_private_segment_buffer 1
		.amdhsa_user_sgpr_dispatch_ptr 0
		.amdhsa_user_sgpr_queue_ptr 0
		.amdhsa_user_sgpr_kernarg_segment_ptr 1
		.amdhsa_user_sgpr_dispatch_id 0
		.amdhsa_user_sgpr_flat_scratch_init 0
		.amdhsa_user_sgpr_private_segment_size 0
		.amdhsa_wavefront_size32 1
		.amdhsa_uses_dynamic_stack 0
		.amdhsa_system_sgpr_private_segment_wavefront_offset 0
		.amdhsa_system_sgpr_workgroup_id_x 1
		.amdhsa_system_sgpr_workgroup_id_y 0
		.amdhsa_system_sgpr_workgroup_id_z 0
		.amdhsa_system_sgpr_workgroup_info 0
		.amdhsa_system_vgpr_workitem_id 0
		.amdhsa_next_free_vgpr 21
		.amdhsa_next_free_sgpr 25
		.amdhsa_reserve_vcc 1
		.amdhsa_reserve_flat_scratch 0
		.amdhsa_float_round_mode_32 0
		.amdhsa_float_round_mode_16_64 0
		.amdhsa_float_denorm_mode_32 3
		.amdhsa_float_denorm_mode_16_64 3
		.amdhsa_dx10_clamp 1
		.amdhsa_ieee_mode 1
		.amdhsa_fp16_overflow 0
		.amdhsa_workgroup_processor_mode 1
		.amdhsa_memory_ordered 1
		.amdhsa_forward_progress 1
		.amdhsa_shared_vgpr_count 0
		.amdhsa_exception_fp_ieee_invalid_op 0
		.amdhsa_exception_fp_denorm_src 0
		.amdhsa_exception_fp_ieee_div_zero 0
		.amdhsa_exception_fp_ieee_overflow 0
		.amdhsa_exception_fp_ieee_underflow 0
		.amdhsa_exception_fp_ieee_inexact 0
		.amdhsa_exception_int_div_zero 0
	.end_amdhsa_kernel
	.section	.text._ZN2at6native12_GLOBAL__N_125multi_tensor_apply_kernelINS1_28TensorListScalarListMetadataIlLi1EEENS1_25BinaryOpScalarListFunctorIlLi1ELi1ELi0EEEJSt4plusIlEEEEvT_T0_DpT1_,"axG",@progbits,_ZN2at6native12_GLOBAL__N_125multi_tensor_apply_kernelINS1_28TensorListScalarListMetadataIlLi1EEENS1_25BinaryOpScalarListFunctorIlLi1ELi1ELi0EEEJSt4plusIlEEEEvT_T0_DpT1_,comdat
.Lfunc_end3:
	.size	_ZN2at6native12_GLOBAL__N_125multi_tensor_apply_kernelINS1_28TensorListScalarListMetadataIlLi1EEENS1_25BinaryOpScalarListFunctorIlLi1ELi1ELi0EEEJSt4plusIlEEEEvT_T0_DpT1_, .Lfunc_end3-_ZN2at6native12_GLOBAL__N_125multi_tensor_apply_kernelINS1_28TensorListScalarListMetadataIlLi1EEENS1_25BinaryOpScalarListFunctorIlLi1ELi1ELi0EEEJSt4plusIlEEEEvT_T0_DpT1_
                                        ; -- End function
	.set _ZN2at6native12_GLOBAL__N_125multi_tensor_apply_kernelINS1_28TensorListScalarListMetadataIlLi1EEENS1_25BinaryOpScalarListFunctorIlLi1ELi1ELi0EEEJSt4plusIlEEEEvT_T0_DpT1_.num_vgpr, 21
	.set _ZN2at6native12_GLOBAL__N_125multi_tensor_apply_kernelINS1_28TensorListScalarListMetadataIlLi1EEENS1_25BinaryOpScalarListFunctorIlLi1ELi1ELi0EEEJSt4plusIlEEEEvT_T0_DpT1_.num_agpr, 0
	.set _ZN2at6native12_GLOBAL__N_125multi_tensor_apply_kernelINS1_28TensorListScalarListMetadataIlLi1EEENS1_25BinaryOpScalarListFunctorIlLi1ELi1ELi0EEEJSt4plusIlEEEEvT_T0_DpT1_.numbered_sgpr, 25
	.set _ZN2at6native12_GLOBAL__N_125multi_tensor_apply_kernelINS1_28TensorListScalarListMetadataIlLi1EEENS1_25BinaryOpScalarListFunctorIlLi1ELi1ELi0EEEJSt4plusIlEEEEvT_T0_DpT1_.num_named_barrier, 0
	.set _ZN2at6native12_GLOBAL__N_125multi_tensor_apply_kernelINS1_28TensorListScalarListMetadataIlLi1EEENS1_25BinaryOpScalarListFunctorIlLi1ELi1ELi0EEEJSt4plusIlEEEEvT_T0_DpT1_.private_seg_size, 0
	.set _ZN2at6native12_GLOBAL__N_125multi_tensor_apply_kernelINS1_28TensorListScalarListMetadataIlLi1EEENS1_25BinaryOpScalarListFunctorIlLi1ELi1ELi0EEEJSt4plusIlEEEEvT_T0_DpT1_.uses_vcc, 1
	.set _ZN2at6native12_GLOBAL__N_125multi_tensor_apply_kernelINS1_28TensorListScalarListMetadataIlLi1EEENS1_25BinaryOpScalarListFunctorIlLi1ELi1ELi0EEEJSt4plusIlEEEEvT_T0_DpT1_.uses_flat_scratch, 0
	.set _ZN2at6native12_GLOBAL__N_125multi_tensor_apply_kernelINS1_28TensorListScalarListMetadataIlLi1EEENS1_25BinaryOpScalarListFunctorIlLi1ELi1ELi0EEEJSt4plusIlEEEEvT_T0_DpT1_.has_dyn_sized_stack, 0
	.set _ZN2at6native12_GLOBAL__N_125multi_tensor_apply_kernelINS1_28TensorListScalarListMetadataIlLi1EEENS1_25BinaryOpScalarListFunctorIlLi1ELi1ELi0EEEJSt4plusIlEEEEvT_T0_DpT1_.has_recursion, 0
	.set _ZN2at6native12_GLOBAL__N_125multi_tensor_apply_kernelINS1_28TensorListScalarListMetadataIlLi1EEENS1_25BinaryOpScalarListFunctorIlLi1ELi1ELi0EEEJSt4plusIlEEEEvT_T0_DpT1_.has_indirect_call, 0
	.section	.AMDGPU.csdata,"",@progbits
; Kernel info:
; codeLenInByte = 1264
; TotalNumSgprs: 27
; NumVgprs: 21
; ScratchSize: 0
; MemoryBound: 0
; FloatMode: 240
; IeeeMode: 1
; LDSByteSize: 0 bytes/workgroup (compile time only)
; SGPRBlocks: 0
; VGPRBlocks: 2
; NumSGPRsForWavesPerEU: 27
; NumVGPRsForWavesPerEU: 21
; Occupancy: 16
; WaveLimiterHint : 1
; COMPUTE_PGM_RSRC2:SCRATCH_EN: 0
; COMPUTE_PGM_RSRC2:USER_SGPR: 6
; COMPUTE_PGM_RSRC2:TRAP_HANDLER: 0
; COMPUTE_PGM_RSRC2:TGID_X_EN: 1
; COMPUTE_PGM_RSRC2:TGID_Y_EN: 0
; COMPUTE_PGM_RSRC2:TGID_Z_EN: 0
; COMPUTE_PGM_RSRC2:TIDIG_COMP_CNT: 0
	.section	.text._ZN2at6native12_GLOBAL__N_125multi_tensor_apply_kernelINS1_28TensorListScalarListMetadataIsLi1EEENS1_25BinaryOpScalarListFunctorIsLi1ELi1ELi0EEEJSt4plusIsEEEEvT_T0_DpT1_,"axG",@progbits,_ZN2at6native12_GLOBAL__N_125multi_tensor_apply_kernelINS1_28TensorListScalarListMetadataIsLi1EEENS1_25BinaryOpScalarListFunctorIsLi1ELi1ELi0EEEJSt4plusIsEEEEvT_T0_DpT1_,comdat
	.globl	_ZN2at6native12_GLOBAL__N_125multi_tensor_apply_kernelINS1_28TensorListScalarListMetadataIsLi1EEENS1_25BinaryOpScalarListFunctorIsLi1ELi1ELi0EEEJSt4plusIsEEEEvT_T0_DpT1_ ; -- Begin function _ZN2at6native12_GLOBAL__N_125multi_tensor_apply_kernelINS1_28TensorListScalarListMetadataIsLi1EEENS1_25BinaryOpScalarListFunctorIsLi1ELi1ELi0EEEJSt4plusIsEEEEvT_T0_DpT1_
	.p2align	8
	.type	_ZN2at6native12_GLOBAL__N_125multi_tensor_apply_kernelINS1_28TensorListScalarListMetadataIsLi1EEENS1_25BinaryOpScalarListFunctorIsLi1ELi1ELi0EEEJSt4plusIsEEEEvT_T0_DpT1_,@function
_ZN2at6native12_GLOBAL__N_125multi_tensor_apply_kernelINS1_28TensorListScalarListMetadataIsLi1EEENS1_25BinaryOpScalarListFunctorIsLi1ELi1ELi0EEEJSt4plusIsEEEEvT_T0_DpT1_: ; @_ZN2at6native12_GLOBAL__N_125multi_tensor_apply_kernelINS1_28TensorListScalarListMetadataIsLi1EEENS1_25BinaryOpScalarListFunctorIsLi1ELi1ELi0EEEJSt4plusIsEEEEvT_T0_DpT1_
; %bb.0:
	v_mov_b32_e32 v1, s6
	s_add_u32 s0, s4, s6
	s_mul_i32 s1, s6, 3
	s_mul_hi_u32 s2, s6, 3
	s_addc_u32 s3, s5, 0
	global_load_ubyte v1, v1, s[4:5] offset:1728
	s_add_u32 s0, s0, s1
	s_addc_u32 s1, s3, s2
	s_mov_b32 s13, 0
	s_load_dword s0, s[0:1], 0x800
	s_waitcnt vmcnt(0)
	v_readfirstlane_b32 s1, v1
	v_mul_lo_u32 v2, v1, -6
	v_mul_hi_i32 v3, v1, -6
	s_lshl_b32 s6, s1, 3
	s_waitcnt lgkmcnt(0)
	s_ashr_i32 s1, s0, 31
	s_add_u32 s7, s4, s6
	s_addc_u32 s8, s5, 0
	v_add_co_u32 v1, vcc_lo, s7, v2
	v_add_co_ci_u32_e64 v2, null, s8, v3, vcc_lo
	s_load_dwordx2 s[2:3], s[4:5], s6 offset:0x300
	s_lshl_b64 s[8:9], s[0:1], 17
	s_lshl_b64 s[0:1], s[0:1], 16
	global_load_ushort v5, v[1:2], off offset:1536
	s_load_dwordx2 s[6:7], s[4:5], s6 offset:0x0
	s_waitcnt lgkmcnt(0)
	s_and_b32 s12, s6, 7
	s_sub_u32 s10, s2, s0
	s_subb_u32 s11, s3, s1
	s_and_b32 s0, s2, 3
	s_mov_b32 s1, s13
	s_or_b64 s[0:1], s[12:13], s[0:1]
	s_cmp_eq_u64 s[0:1], 0
	s_cbranch_scc1 .LBB4_21
; %bb.1:
	v_cmp_lt_i64_e64 s0, s[10:11], 1
	s_and_b32 vcc_lo, exec_lo, s0
	s_cbranch_vccnz .LBB4_20
; %bb.2:
	s_load_dword s0, s[4:5], 0xd14
	v_cmp_gt_i64_e64 s1, 0x10000, s[10:11]
	v_cmp_gt_u64_e64 s2, 0x10000, s[10:11]
	v_lshlrev_b32_e32 v1, 1, v0
	s_and_b32 s1, s1, exec_lo
	s_cselect_b32 s13, s11, 0
	s_cselect_b32 s12, s10, 0x10000
	s_waitcnt lgkmcnt(0)
	s_and_b32 s0, s0, 0xffff
	s_and_b32 s1, s2, exec_lo
	v_add_co_u32 v6, s3, v0, s0
	s_cselect_b32 s15, s11, 0
	s_cselect_b32 s14, s10, 0x10000
	s_lshl_b32 s1, s0, 1
	v_lshlrev_b32_e32 v3, 1, v6
	s_mul_i32 s2, s0, 3
	s_lshl_b32 s18, s0, 2
	s_add_u32 s16, s6, s8
	v_add_co_u32 v7, s2, s2, v0
	v_add_co_u32 v10, s1, s1, v0
	s_addc_u32 s17, s7, s9
	v_add_co_ci_u32_e64 v8, null, 0, 0, s2
	v_add_co_u32 v1, s2, s16, v1
	v_add_co_ci_u32_e64 v11, null, 0, 0, s1
	v_add_co_u32 v3, s1, s16, v3
	v_add_co_ci_u32_e64 v2, null, s17, 0, s2
	v_add_co_ci_u32_e64 v9, null, 0, 0, s3
	;; [unrolled: 1-line block ×3, first 2 shown]
	s_lshl_b32 s19, s0, 3
	s_mul_i32 s20, s0, 6
	s_mov_b64 s[16:17], 0
	s_branch .LBB4_4
.LBB4_3:                                ;   in Loop: Header=BB4_4 Depth=1
	s_or_b32 exec_lo, exec_lo, s0
	s_add_u32 s16, s16, s18
	s_addc_u32 s17, s17, 0
	v_add_co_u32 v1, vcc_lo, v1, s19
	v_cmp_lt_i64_e64 s0, s[16:17], s[12:13]
	v_add_co_ci_u32_e64 v2, null, 0, v2, vcc_lo
	v_add_co_u32 v3, vcc_lo, v3, s19
	v_add_co_ci_u32_e64 v4, null, 0, v4, vcc_lo
	s_and_b32 vcc_lo, exec_lo, s0
	s_cbranch_vccz .LBB4_20
.LBB4_4:                                ; =>This Inner Loop Header: Depth=1
	s_waitcnt vmcnt(0)
	v_add_co_u32 v12, s0, v0, s16
	v_add_co_ci_u32_e64 v13, null, 0, s17, s0
	v_cmp_gt_u64_e32 vcc_lo, s[14:15], v[12:13]
	v_mov_b32_e32 v12, 0
	s_and_saveexec_b32 s0, vcc_lo
	s_cbranch_execz .LBB4_6
; %bb.5:                                ;   in Loop: Header=BB4_4 Depth=1
	global_load_ushort v12, v[1:2], off
.LBB4_6:                                ;   in Loop: Header=BB4_4 Depth=1
	s_or_b32 exec_lo, exec_lo, s0
	v_add_co_u32 v13, s0, v6, s16
	v_add_co_ci_u32_e64 v14, null, s17, v9, s0
	v_cmp_gt_u64_e64 s0, s[14:15], v[13:14]
	v_mov_b32_e32 v13, 0
	v_mov_b32_e32 v14, 0
	s_and_saveexec_b32 s1, s0
	s_cbranch_execz .LBB4_8
; %bb.7:                                ;   in Loop: Header=BB4_4 Depth=1
	global_load_ushort v14, v[3:4], off
.LBB4_8:                                ;   in Loop: Header=BB4_4 Depth=1
	s_or_b32 exec_lo, exec_lo, s1
	v_add_co_u32 v15, s1, v10, s16
	v_add_co_ci_u32_e64 v16, null, s17, v11, s1
	v_cmp_gt_u64_e64 s1, s[14:15], v[15:16]
	s_and_saveexec_b32 s3, s1
	s_cbranch_execz .LBB4_10
; %bb.9:                                ;   in Loop: Header=BB4_4 Depth=1
	v_add_co_u32 v15, s2, v1, s18
	v_add_co_ci_u32_e64 v16, null, 0, v2, s2
	global_load_ushort v13, v[15:16], off
.LBB4_10:                               ;   in Loop: Header=BB4_4 Depth=1
	s_or_b32 exec_lo, exec_lo, s3
	v_add_co_u32 v15, s2, v7, s16
	v_add_co_ci_u32_e64 v16, null, s17, v8, s2
	v_cmp_gt_u64_e64 s2, s[14:15], v[15:16]
	v_mov_b32_e32 v15, 0
	s_and_saveexec_b32 s21, s2
	s_cbranch_execnz .LBB4_15
; %bb.11:                               ;   in Loop: Header=BB4_4 Depth=1
	s_or_b32 exec_lo, exec_lo, s21
	s_and_saveexec_b32 s3, vcc_lo
	s_cbranch_execnz .LBB4_16
.LBB4_12:                               ;   in Loop: Header=BB4_4 Depth=1
	s_or_b32 exec_lo, exec_lo, s3
	s_and_saveexec_b32 s3, s0
	s_cbranch_execnz .LBB4_17
.LBB4_13:                               ;   in Loop: Header=BB4_4 Depth=1
	s_or_b32 exec_lo, exec_lo, s3
	s_and_saveexec_b32 s0, s1
	s_cbranch_execnz .LBB4_18
.LBB4_14:                               ;   in Loop: Header=BB4_4 Depth=1
	s_or_b32 exec_lo, exec_lo, s0
	s_and_saveexec_b32 s0, s2
	s_cbranch_execz .LBB4_3
	s_branch .LBB4_19
.LBB4_15:                               ;   in Loop: Header=BB4_4 Depth=1
	v_add_co_u32 v15, s3, v1, s20
	v_add_co_ci_u32_e64 v16, null, 0, v2, s3
	global_load_ushort v15, v[15:16], off
	s_or_b32 exec_lo, exec_lo, s21
	s_and_saveexec_b32 s3, vcc_lo
	s_cbranch_execz .LBB4_12
.LBB4_16:                               ;   in Loop: Header=BB4_4 Depth=1
	s_waitcnt vmcnt(0)
	v_add_nc_u16 v12, v12, v5
	global_store_short v[1:2], v12, off
	s_or_b32 exec_lo, exec_lo, s3
	s_and_saveexec_b32 s3, s0
	s_cbranch_execz .LBB4_13
.LBB4_17:                               ;   in Loop: Header=BB4_4 Depth=1
	s_waitcnt vmcnt(0)
	v_add_nc_u16 v12, v14, v5
	global_store_short v[3:4], v12, off
	s_or_b32 exec_lo, exec_lo, s3
	s_and_saveexec_b32 s0, s1
	s_cbranch_execz .LBB4_14
.LBB4_18:                               ;   in Loop: Header=BB4_4 Depth=1
	s_waitcnt vmcnt(0)
	v_add_co_u32 v12, vcc_lo, v1, s18
	v_add_nc_u16 v14, v13, v5
	v_add_co_ci_u32_e64 v13, null, 0, v2, vcc_lo
	global_store_short v[12:13], v14, off
	s_or_b32 exec_lo, exec_lo, s0
	s_and_saveexec_b32 s0, s2
	s_cbranch_execz .LBB4_3
.LBB4_19:                               ;   in Loop: Header=BB4_4 Depth=1
	s_waitcnt vmcnt(0)
	v_add_co_u32 v12, vcc_lo, v1, s20
	v_add_nc_u16 v14, v15, v5
	v_add_co_ci_u32_e64 v13, null, 0, v2, vcc_lo
	global_store_short v[12:13], v14, off
	s_branch .LBB4_3
.LBB4_20:
	s_cbranch_execz .LBB4_22
	s_branch .LBB4_25
.LBB4_21:
.LBB4_22:
	v_cmp_gt_i64_e64 s0, 0x10000, s[10:11]
	v_mov_b32_e32 v2, 0
	v_lshlrev_b32_e32 v1, 2, v0
	s_mov_b32 s1, 0
	s_and_b32 s0, s0, exec_lo
	s_cselect_b32 s3, s11, 0
	s_cselect_b32 s2, s10, 0x10000
	s_mov_b32 s0, exec_lo
	v_cmpx_gt_i64_e64 s[2:3], v[1:2]
	s_cbranch_execz .LBB4_25
; %bb.23:
	s_load_dword s0, s[4:5], 0xd14
	v_mov_b32_e32 v1, v2
	v_lshlrev_b32_e32 v2, 3, v0
	s_waitcnt lgkmcnt(0)
	s_and_b32 s4, s0, 0xffff
	s_add_u32 s0, s6, s8
	s_addc_u32 s5, s7, s9
	v_add_co_u32 v2, s0, s0, v2
	v_add_co_ci_u32_e64 v3, null, s5, 0, s0
	s_lshl_b32 s5, s4, 3
	s_inst_prefetch 0x1
	.p2align	6
.LBB4_24:                               ; =>This Inner Loop Header: Depth=1
	global_load_dwordx2 v[6:7], v[2:3], off
	v_add_co_u32 v0, vcc_lo, v0, s4
	v_add_co_ci_u32_e64 v1, null, 0, v1, vcc_lo
	s_waitcnt vmcnt(0)
	v_lshrrev_b32_e32 v4, 16, v6
	v_lshrrev_b32_e32 v8, 16, v7
	v_add_nc_u16 v10, v5, v6
	v_add_nc_u16 v9, v5, v7
	v_lshlrev_b64 v[6:7], 2, v[0:1]
	v_add_nc_u16 v4, v5, v4
	v_add_nc_u16 v8, v5, v8
	v_cmp_le_i64_e32 vcc_lo, s[2:3], v[6:7]
	v_perm_b32 v9, v8, v9, 0x5040100
	v_perm_b32 v8, v4, v10, 0x5040100
	s_or_b32 s1, vcc_lo, s1
	global_store_dwordx2 v[2:3], v[8:9], off
	v_add_co_u32 v2, s0, v2, s5
	v_add_co_ci_u32_e64 v3, null, 0, v3, s0
	s_andn2_b32 exec_lo, exec_lo, s1
	s_cbranch_execnz .LBB4_24
.LBB4_25:
	s_inst_prefetch 0x2
	s_endpgm
	.section	.rodata,"a",@progbits
	.p2align	6, 0x0
	.amdhsa_kernel _ZN2at6native12_GLOBAL__N_125multi_tensor_apply_kernelINS1_28TensorListScalarListMetadataIsLi1EEENS1_25BinaryOpScalarListFunctorIsLi1ELi1ELi0EEEJSt4plusIsEEEEvT_T0_DpT1_
		.amdhsa_group_segment_fixed_size 0
		.amdhsa_private_segment_fixed_size 0
		.amdhsa_kernarg_size 3592
		.amdhsa_user_sgpr_count 6
		.amdhsa_user_sgpr_private_segment_buffer 1
		.amdhsa_user_sgpr_dispatch_ptr 0
		.amdhsa_user_sgpr_queue_ptr 0
		.amdhsa_user_sgpr_kernarg_segment_ptr 1
		.amdhsa_user_sgpr_dispatch_id 0
		.amdhsa_user_sgpr_flat_scratch_init 0
		.amdhsa_user_sgpr_private_segment_size 0
		.amdhsa_wavefront_size32 1
		.amdhsa_uses_dynamic_stack 0
		.amdhsa_system_sgpr_private_segment_wavefront_offset 0
		.amdhsa_system_sgpr_workgroup_id_x 1
		.amdhsa_system_sgpr_workgroup_id_y 0
		.amdhsa_system_sgpr_workgroup_id_z 0
		.amdhsa_system_sgpr_workgroup_info 0
		.amdhsa_system_vgpr_workitem_id 0
		.amdhsa_next_free_vgpr 17
		.amdhsa_next_free_sgpr 22
		.amdhsa_reserve_vcc 1
		.amdhsa_reserve_flat_scratch 0
		.amdhsa_float_round_mode_32 0
		.amdhsa_float_round_mode_16_64 0
		.amdhsa_float_denorm_mode_32 3
		.amdhsa_float_denorm_mode_16_64 3
		.amdhsa_dx10_clamp 1
		.amdhsa_ieee_mode 1
		.amdhsa_fp16_overflow 0
		.amdhsa_workgroup_processor_mode 1
		.amdhsa_memory_ordered 1
		.amdhsa_forward_progress 1
		.amdhsa_shared_vgpr_count 0
		.amdhsa_exception_fp_ieee_invalid_op 0
		.amdhsa_exception_fp_denorm_src 0
		.amdhsa_exception_fp_ieee_div_zero 0
		.amdhsa_exception_fp_ieee_overflow 0
		.amdhsa_exception_fp_ieee_underflow 0
		.amdhsa_exception_fp_ieee_inexact 0
		.amdhsa_exception_int_div_zero 0
	.end_amdhsa_kernel
	.section	.text._ZN2at6native12_GLOBAL__N_125multi_tensor_apply_kernelINS1_28TensorListScalarListMetadataIsLi1EEENS1_25BinaryOpScalarListFunctorIsLi1ELi1ELi0EEEJSt4plusIsEEEEvT_T0_DpT1_,"axG",@progbits,_ZN2at6native12_GLOBAL__N_125multi_tensor_apply_kernelINS1_28TensorListScalarListMetadataIsLi1EEENS1_25BinaryOpScalarListFunctorIsLi1ELi1ELi0EEEJSt4plusIsEEEEvT_T0_DpT1_,comdat
.Lfunc_end4:
	.size	_ZN2at6native12_GLOBAL__N_125multi_tensor_apply_kernelINS1_28TensorListScalarListMetadataIsLi1EEENS1_25BinaryOpScalarListFunctorIsLi1ELi1ELi0EEEJSt4plusIsEEEEvT_T0_DpT1_, .Lfunc_end4-_ZN2at6native12_GLOBAL__N_125multi_tensor_apply_kernelINS1_28TensorListScalarListMetadataIsLi1EEENS1_25BinaryOpScalarListFunctorIsLi1ELi1ELi0EEEJSt4plusIsEEEEvT_T0_DpT1_
                                        ; -- End function
	.set _ZN2at6native12_GLOBAL__N_125multi_tensor_apply_kernelINS1_28TensorListScalarListMetadataIsLi1EEENS1_25BinaryOpScalarListFunctorIsLi1ELi1ELi0EEEJSt4plusIsEEEEvT_T0_DpT1_.num_vgpr, 17
	.set _ZN2at6native12_GLOBAL__N_125multi_tensor_apply_kernelINS1_28TensorListScalarListMetadataIsLi1EEENS1_25BinaryOpScalarListFunctorIsLi1ELi1ELi0EEEJSt4plusIsEEEEvT_T0_DpT1_.num_agpr, 0
	.set _ZN2at6native12_GLOBAL__N_125multi_tensor_apply_kernelINS1_28TensorListScalarListMetadataIsLi1EEENS1_25BinaryOpScalarListFunctorIsLi1ELi1ELi0EEEJSt4plusIsEEEEvT_T0_DpT1_.numbered_sgpr, 22
	.set _ZN2at6native12_GLOBAL__N_125multi_tensor_apply_kernelINS1_28TensorListScalarListMetadataIsLi1EEENS1_25BinaryOpScalarListFunctorIsLi1ELi1ELi0EEEJSt4plusIsEEEEvT_T0_DpT1_.num_named_barrier, 0
	.set _ZN2at6native12_GLOBAL__N_125multi_tensor_apply_kernelINS1_28TensorListScalarListMetadataIsLi1EEENS1_25BinaryOpScalarListFunctorIsLi1ELi1ELi0EEEJSt4plusIsEEEEvT_T0_DpT1_.private_seg_size, 0
	.set _ZN2at6native12_GLOBAL__N_125multi_tensor_apply_kernelINS1_28TensorListScalarListMetadataIsLi1EEENS1_25BinaryOpScalarListFunctorIsLi1ELi1ELi0EEEJSt4plusIsEEEEvT_T0_DpT1_.uses_vcc, 1
	.set _ZN2at6native12_GLOBAL__N_125multi_tensor_apply_kernelINS1_28TensorListScalarListMetadataIsLi1EEENS1_25BinaryOpScalarListFunctorIsLi1ELi1ELi0EEEJSt4plusIsEEEEvT_T0_DpT1_.uses_flat_scratch, 0
	.set _ZN2at6native12_GLOBAL__N_125multi_tensor_apply_kernelINS1_28TensorListScalarListMetadataIsLi1EEENS1_25BinaryOpScalarListFunctorIsLi1ELi1ELi0EEEJSt4plusIsEEEEvT_T0_DpT1_.has_dyn_sized_stack, 0
	.set _ZN2at6native12_GLOBAL__N_125multi_tensor_apply_kernelINS1_28TensorListScalarListMetadataIsLi1EEENS1_25BinaryOpScalarListFunctorIsLi1ELi1ELi0EEEJSt4plusIsEEEEvT_T0_DpT1_.has_recursion, 0
	.set _ZN2at6native12_GLOBAL__N_125multi_tensor_apply_kernelINS1_28TensorListScalarListMetadataIsLi1EEENS1_25BinaryOpScalarListFunctorIsLi1ELi1ELi0EEEJSt4plusIsEEEEvT_T0_DpT1_.has_indirect_call, 0
	.section	.AMDGPU.csdata,"",@progbits
; Kernel info:
; codeLenInByte = 1172
; TotalNumSgprs: 24
; NumVgprs: 17
; ScratchSize: 0
; MemoryBound: 0
; FloatMode: 240
; IeeeMode: 1
; LDSByteSize: 0 bytes/workgroup (compile time only)
; SGPRBlocks: 0
; VGPRBlocks: 2
; NumSGPRsForWavesPerEU: 24
; NumVGPRsForWavesPerEU: 17
; Occupancy: 16
; WaveLimiterHint : 0
; COMPUTE_PGM_RSRC2:SCRATCH_EN: 0
; COMPUTE_PGM_RSRC2:USER_SGPR: 6
; COMPUTE_PGM_RSRC2:TRAP_HANDLER: 0
; COMPUTE_PGM_RSRC2:TGID_X_EN: 1
; COMPUTE_PGM_RSRC2:TGID_Y_EN: 0
; COMPUTE_PGM_RSRC2:TGID_Z_EN: 0
; COMPUTE_PGM_RSRC2:TIDIG_COMP_CNT: 0
	.section	.text._ZN2at6native12_GLOBAL__N_125multi_tensor_apply_kernelINS1_28TensorListScalarListMetadataIdLi1EEENS1_25BinaryOpScalarListFunctorIdLi1ELi1ELi0EEEJSt4plusIdEEEEvT_T0_DpT1_,"axG",@progbits,_ZN2at6native12_GLOBAL__N_125multi_tensor_apply_kernelINS1_28TensorListScalarListMetadataIdLi1EEENS1_25BinaryOpScalarListFunctorIdLi1ELi1ELi0EEEJSt4plusIdEEEEvT_T0_DpT1_,comdat
	.globl	_ZN2at6native12_GLOBAL__N_125multi_tensor_apply_kernelINS1_28TensorListScalarListMetadataIdLi1EEENS1_25BinaryOpScalarListFunctorIdLi1ELi1ELi0EEEJSt4plusIdEEEEvT_T0_DpT1_ ; -- Begin function _ZN2at6native12_GLOBAL__N_125multi_tensor_apply_kernelINS1_28TensorListScalarListMetadataIdLi1EEENS1_25BinaryOpScalarListFunctorIdLi1ELi1ELi0EEEJSt4plusIdEEEEvT_T0_DpT1_
	.p2align	8
	.type	_ZN2at6native12_GLOBAL__N_125multi_tensor_apply_kernelINS1_28TensorListScalarListMetadataIdLi1EEENS1_25BinaryOpScalarListFunctorIdLi1ELi1ELi0EEEJSt4plusIdEEEEvT_T0_DpT1_,@function
_ZN2at6native12_GLOBAL__N_125multi_tensor_apply_kernelINS1_28TensorListScalarListMetadataIdLi1EEENS1_25BinaryOpScalarListFunctorIdLi1ELi1ELi0EEEJSt4plusIdEEEEvT_T0_DpT1_: ; @_ZN2at6native12_GLOBAL__N_125multi_tensor_apply_kernelINS1_28TensorListScalarListMetadataIdLi1EEENS1_25BinaryOpScalarListFunctorIdLi1ELi1ELi0EEEJSt4plusIdEEEEvT_T0_DpT1_
; %bb.0:
	v_mov_b32_e32 v1, 0x800
	s_add_u32 s0, s4, s6
	s_addc_u32 s1, s5, 0
	s_mov_b32 s7, 0
	global_load_ubyte v1, v1, s[0:1] offset:256
	s_lshl_b64 s[0:1], s[6:7], 2
	s_add_u32 s0, s4, s0
	s_addc_u32 s1, s5, s1
	s_load_dword s0, s[0:1], 0xa40
	s_waitcnt vmcnt(0)
	v_readfirstlane_b32 s2, v1
	s_lshl_b32 s1, s2, 3
	s_clause 0x2
	s_load_dwordx2 s[8:9], s[4:5], s1 offset:0x600
	s_load_dwordx2 s[10:11], s[4:5], s1 offset:0x0
	;; [unrolled: 1-line block ×3, first 2 shown]
	s_waitcnt lgkmcnt(0)
	s_ashr_i32 s1, s0, 31
	s_lshl_b64 s[12:13], s[0:1], 19
	s_lshl_b64 s[0:1], s[0:1], 16
	s_and_b32 s6, s10, 31
	s_sub_u32 s14, s2, s0
	s_subb_u32 s15, s3, s1
	s_and_b32 s0, s2, 3
	s_mov_b32 s1, s7
	s_or_b64 s[0:1], s[6:7], s[0:1]
	s_cmp_eq_u64 s[0:1], 0
	s_cbranch_scc1 .LBB5_21
; %bb.1:
	v_cmp_lt_i64_e64 s0, s[14:15], 1
	s_and_b32 vcc_lo, exec_lo, s0
	s_cbranch_vccnz .LBB5_20
; %bb.2:
	s_load_dword s0, s[4:5], 0xf54
	v_cmp_gt_i64_e64 s1, 0x10000, s[14:15]
	v_cmp_gt_u64_e64 s2, 0x10000, s[14:15]
	v_lshlrev_b32_e32 v1, 3, v0
	s_and_b32 s1, s1, exec_lo
	s_cselect_b32 s7, s15, 0
	s_cselect_b32 s6, s14, 0x10000
	s_waitcnt lgkmcnt(0)
	s_and_b32 s0, s0, 0xffff
	s_and_b32 s1, s2, exec_lo
	v_add_co_u32 v13, s3, v0, s0
	s_cselect_b32 s17, s15, 0
	s_cselect_b32 s16, s14, 0x10000
	s_lshl_b32 s1, s0, 1
	v_lshlrev_b32_e32 v3, 3, v13
	s_mul_i32 s2, s0, 3
	s_lshl_b32 s20, s0, 2
	s_add_u32 s18, s10, s12
	v_add_co_u32 v14, s2, s2, v0
	v_add_co_u32 v17, s1, s1, v0
	s_addc_u32 s19, s11, s13
	v_add_co_ci_u32_e64 v15, null, 0, 0, s2
	v_add_co_u32 v1, s2, s18, v1
	v_add_co_ci_u32_e64 v18, null, 0, 0, s1
	v_add_co_u32 v3, s1, s18, v3
	v_add_co_ci_u32_e64 v2, null, s19, 0, s2
	v_add_co_ci_u32_e64 v16, null, 0, 0, s3
	;; [unrolled: 1-line block ×3, first 2 shown]
	s_lshl_b32 s21, s0, 5
	s_mul_i32 s22, s0, 24
	s_lshl_b32 s23, s0, 4
	s_mov_b64 s[18:19], 0
	s_branch .LBB5_4
.LBB5_3:                                ;   in Loop: Header=BB5_4 Depth=1
	s_or_b32 exec_lo, exec_lo, s0
	s_add_u32 s18, s18, s20
	s_addc_u32 s19, s19, 0
	v_add_co_u32 v1, vcc_lo, v1, s21
	v_cmp_lt_i64_e64 s0, s[18:19], s[6:7]
	v_add_co_ci_u32_e64 v2, null, 0, v2, vcc_lo
	v_add_co_u32 v3, vcc_lo, v3, s21
	v_add_co_ci_u32_e64 v4, null, 0, v4, vcc_lo
	s_and_b32 vcc_lo, exec_lo, s0
	s_cbranch_vccz .LBB5_20
.LBB5_4:                                ; =>This Inner Loop Header: Depth=1
	s_waitcnt vmcnt(0)
	v_add_co_u32 v7, s0, v0, s18
	v_add_co_ci_u32_e64 v8, null, 0, s19, s0
	v_mov_b32_e32 v5, 0
	v_mov_b32_e32 v6, 0
	v_cmp_gt_u64_e32 vcc_lo, s[16:17], v[7:8]
	v_mov_b32_e32 v7, 0
	v_mov_b32_e32 v8, 0
	s_and_saveexec_b32 s0, vcc_lo
	s_cbranch_execz .LBB5_6
; %bb.5:                                ;   in Loop: Header=BB5_4 Depth=1
	global_load_dwordx2 v[7:8], v[1:2], off
.LBB5_6:                                ;   in Loop: Header=BB5_4 Depth=1
	s_or_b32 exec_lo, exec_lo, s0
	v_add_co_u32 v9, s0, v13, s18
	v_add_co_ci_u32_e64 v10, null, s19, v16, s0
	v_cmp_gt_u64_e64 s0, s[16:17], v[9:10]
	s_and_saveexec_b32 s1, s0
	s_cbranch_execz .LBB5_8
; %bb.7:                                ;   in Loop: Header=BB5_4 Depth=1
	global_load_dwordx2 v[5:6], v[3:4], off
.LBB5_8:                                ;   in Loop: Header=BB5_4 Depth=1
	s_or_b32 exec_lo, exec_lo, s1
	v_add_co_u32 v11, s1, v17, s18
	v_add_co_ci_u32_e64 v12, null, s19, v18, s1
	v_mov_b32_e32 v9, 0
	v_mov_b32_e32 v10, 0
	v_cmp_gt_u64_e64 s1, s[16:17], v[11:12]
	v_mov_b32_e32 v11, 0
	v_mov_b32_e32 v12, 0
	s_and_saveexec_b32 s3, s1
	s_cbranch_execz .LBB5_10
; %bb.9:                                ;   in Loop: Header=BB5_4 Depth=1
	v_add_co_u32 v11, s2, v1, s23
	v_add_co_ci_u32_e64 v12, null, 0, v2, s2
	global_load_dwordx2 v[11:12], v[11:12], off
.LBB5_10:                               ;   in Loop: Header=BB5_4 Depth=1
	s_or_b32 exec_lo, exec_lo, s3
	v_add_co_u32 v19, s2, v14, s18
	v_add_co_ci_u32_e64 v20, null, s19, v15, s2
	v_cmp_gt_u64_e64 s2, s[16:17], v[19:20]
	s_and_saveexec_b32 s24, s2
	s_cbranch_execnz .LBB5_15
; %bb.11:                               ;   in Loop: Header=BB5_4 Depth=1
	s_or_b32 exec_lo, exec_lo, s24
	s_and_saveexec_b32 s3, vcc_lo
	s_cbranch_execnz .LBB5_16
.LBB5_12:                               ;   in Loop: Header=BB5_4 Depth=1
	s_or_b32 exec_lo, exec_lo, s3
	s_and_saveexec_b32 s3, s0
	s_cbranch_execnz .LBB5_17
.LBB5_13:                               ;   in Loop: Header=BB5_4 Depth=1
	s_or_b32 exec_lo, exec_lo, s3
	s_and_saveexec_b32 s0, s1
	s_cbranch_execnz .LBB5_18
.LBB5_14:                               ;   in Loop: Header=BB5_4 Depth=1
	s_or_b32 exec_lo, exec_lo, s0
	s_and_saveexec_b32 s0, s2
	s_cbranch_execz .LBB5_3
	s_branch .LBB5_19
.LBB5_15:                               ;   in Loop: Header=BB5_4 Depth=1
	v_add_co_u32 v9, s3, v1, s22
	v_add_co_ci_u32_e64 v10, null, 0, v2, s3
	global_load_dwordx2 v[9:10], v[9:10], off
	s_or_b32 exec_lo, exec_lo, s24
	s_and_saveexec_b32 s3, vcc_lo
	s_cbranch_execz .LBB5_12
.LBB5_16:                               ;   in Loop: Header=BB5_4 Depth=1
	s_waitcnt vmcnt(0)
	v_add_f64 v[7:8], s[8:9], v[7:8]
	global_store_dwordx2 v[1:2], v[7:8], off
	s_or_b32 exec_lo, exec_lo, s3
	s_and_saveexec_b32 s3, s0
	s_cbranch_execz .LBB5_13
.LBB5_17:                               ;   in Loop: Header=BB5_4 Depth=1
	s_waitcnt vmcnt(0)
	v_add_f64 v[5:6], s[8:9], v[5:6]
	global_store_dwordx2 v[3:4], v[5:6], off
	s_or_b32 exec_lo, exec_lo, s3
	s_and_saveexec_b32 s0, s1
	s_cbranch_execz .LBB5_14
.LBB5_18:                               ;   in Loop: Header=BB5_4 Depth=1
	s_waitcnt vmcnt(0)
	v_add_f64 v[5:6], s[8:9], v[11:12]
	v_add_co_u32 v7, vcc_lo, v1, s23
	v_add_co_ci_u32_e64 v8, null, 0, v2, vcc_lo
	global_store_dwordx2 v[7:8], v[5:6], off
	s_or_b32 exec_lo, exec_lo, s0
	s_and_saveexec_b32 s0, s2
	s_cbranch_execz .LBB5_3
.LBB5_19:                               ;   in Loop: Header=BB5_4 Depth=1
	s_waitcnt vmcnt(0)
	v_add_f64 v[5:6], s[8:9], v[9:10]
	v_add_co_u32 v7, vcc_lo, v1, s22
	v_add_co_ci_u32_e64 v8, null, 0, v2, vcc_lo
	global_store_dwordx2 v[7:8], v[5:6], off
	s_branch .LBB5_3
.LBB5_20:
	s_cbranch_execz .LBB5_22
	s_branch .LBB5_25
.LBB5_21:
.LBB5_22:
	v_cmp_gt_i64_e64 s0, 0x10000, s[14:15]
	v_mov_b32_e32 v2, 0
	v_lshlrev_b32_e32 v1, 2, v0
	s_mov_b32 s1, 0
	s_and_b32 s0, s0, exec_lo
	s_cselect_b32 s3, s15, 0
	s_cselect_b32 s2, s14, 0x10000
	s_mov_b32 s0, exec_lo
	v_cmpx_gt_i64_e64 s[2:3], v[1:2]
	s_cbranch_execz .LBB5_25
; %bb.23:
	s_load_dword s0, s[4:5], 0xf54
	v_lshlrev_b32_e32 v1, 5, v0
	s_waitcnt lgkmcnt(0)
	s_and_b32 s4, s0, 0xffff
	s_add_u32 s0, s10, s12
	s_addc_u32 s5, s11, s13
	v_add_co_u32 v3, s0, s0, v1
	v_add_co_ci_u32_e64 v4, null, s5, 0, s0
	v_mov_b32_e32 v1, v2
	v_add_co_u32 v2, vcc_lo, v3, 16
	v_add_co_ci_u32_e64 v3, null, 0, v4, vcc_lo
	s_lshl_b32 s5, s4, 5
	.p2align	6
.LBB5_24:                               ; =>This Inner Loop Header: Depth=1
	s_clause 0x1
	global_load_dwordx4 v[4:7], v[2:3], off offset:-16
	global_load_dwordx4 v[8:11], v[2:3], off
	v_add_co_u32 v0, vcc_lo, v0, s4
	v_add_co_ci_u32_e64 v1, null, 0, v1, vcc_lo
	s_waitcnt vmcnt(2)
	v_lshlrev_b64 v[12:13], 2, v[0:1]
	v_cmp_le_i64_e32 vcc_lo, s[2:3], v[12:13]
	s_or_b32 s1, vcc_lo, s1
	s_waitcnt vmcnt(1)
	v_add_f64 v[4:5], s[8:9], v[4:5]
	v_add_f64 v[6:7], s[8:9], v[6:7]
	s_waitcnt vmcnt(0)
	v_add_f64 v[8:9], s[8:9], v[8:9]
	v_add_f64 v[10:11], s[8:9], v[10:11]
	global_store_dwordx4 v[2:3], v[4:7], off offset:-16
	global_store_dwordx4 v[2:3], v[8:11], off
	v_add_co_u32 v2, s0, v2, s5
	v_add_co_ci_u32_e64 v3, null, 0, v3, s0
	s_andn2_b32 exec_lo, exec_lo, s1
	s_cbranch_execnz .LBB5_24
.LBB5_25:
	s_endpgm
	.section	.rodata,"a",@progbits
	.p2align	6, 0x0
	.amdhsa_kernel _ZN2at6native12_GLOBAL__N_125multi_tensor_apply_kernelINS1_28TensorListScalarListMetadataIdLi1EEENS1_25BinaryOpScalarListFunctorIdLi1ELi1ELi0EEEJSt4plusIdEEEEvT_T0_DpT1_
		.amdhsa_group_segment_fixed_size 0
		.amdhsa_private_segment_fixed_size 0
		.amdhsa_kernarg_size 4168
		.amdhsa_user_sgpr_count 6
		.amdhsa_user_sgpr_private_segment_buffer 1
		.amdhsa_user_sgpr_dispatch_ptr 0
		.amdhsa_user_sgpr_queue_ptr 0
		.amdhsa_user_sgpr_kernarg_segment_ptr 1
		.amdhsa_user_sgpr_dispatch_id 0
		.amdhsa_user_sgpr_flat_scratch_init 0
		.amdhsa_user_sgpr_private_segment_size 0
		.amdhsa_wavefront_size32 1
		.amdhsa_uses_dynamic_stack 0
		.amdhsa_system_sgpr_private_segment_wavefront_offset 0
		.amdhsa_system_sgpr_workgroup_id_x 1
		.amdhsa_system_sgpr_workgroup_id_y 0
		.amdhsa_system_sgpr_workgroup_id_z 0
		.amdhsa_system_sgpr_workgroup_info 0
		.amdhsa_system_vgpr_workitem_id 0
		.amdhsa_next_free_vgpr 21
		.amdhsa_next_free_sgpr 25
		.amdhsa_reserve_vcc 1
		.amdhsa_reserve_flat_scratch 0
		.amdhsa_float_round_mode_32 0
		.amdhsa_float_round_mode_16_64 0
		.amdhsa_float_denorm_mode_32 3
		.amdhsa_float_denorm_mode_16_64 3
		.amdhsa_dx10_clamp 1
		.amdhsa_ieee_mode 1
		.amdhsa_fp16_overflow 0
		.amdhsa_workgroup_processor_mode 1
		.amdhsa_memory_ordered 1
		.amdhsa_forward_progress 1
		.amdhsa_shared_vgpr_count 0
		.amdhsa_exception_fp_ieee_invalid_op 0
		.amdhsa_exception_fp_denorm_src 0
		.amdhsa_exception_fp_ieee_div_zero 0
		.amdhsa_exception_fp_ieee_overflow 0
		.amdhsa_exception_fp_ieee_underflow 0
		.amdhsa_exception_fp_ieee_inexact 0
		.amdhsa_exception_int_div_zero 0
	.end_amdhsa_kernel
	.section	.text._ZN2at6native12_GLOBAL__N_125multi_tensor_apply_kernelINS1_28TensorListScalarListMetadataIdLi1EEENS1_25BinaryOpScalarListFunctorIdLi1ELi1ELi0EEEJSt4plusIdEEEEvT_T0_DpT1_,"axG",@progbits,_ZN2at6native12_GLOBAL__N_125multi_tensor_apply_kernelINS1_28TensorListScalarListMetadataIdLi1EEENS1_25BinaryOpScalarListFunctorIdLi1ELi1ELi0EEEJSt4plusIdEEEEvT_T0_DpT1_,comdat
.Lfunc_end5:
	.size	_ZN2at6native12_GLOBAL__N_125multi_tensor_apply_kernelINS1_28TensorListScalarListMetadataIdLi1EEENS1_25BinaryOpScalarListFunctorIdLi1ELi1ELi0EEEJSt4plusIdEEEEvT_T0_DpT1_, .Lfunc_end5-_ZN2at6native12_GLOBAL__N_125multi_tensor_apply_kernelINS1_28TensorListScalarListMetadataIdLi1EEENS1_25BinaryOpScalarListFunctorIdLi1ELi1ELi0EEEJSt4plusIdEEEEvT_T0_DpT1_
                                        ; -- End function
	.set _ZN2at6native12_GLOBAL__N_125multi_tensor_apply_kernelINS1_28TensorListScalarListMetadataIdLi1EEENS1_25BinaryOpScalarListFunctorIdLi1ELi1ELi0EEEJSt4plusIdEEEEvT_T0_DpT1_.num_vgpr, 21
	.set _ZN2at6native12_GLOBAL__N_125multi_tensor_apply_kernelINS1_28TensorListScalarListMetadataIdLi1EEENS1_25BinaryOpScalarListFunctorIdLi1ELi1ELi0EEEJSt4plusIdEEEEvT_T0_DpT1_.num_agpr, 0
	.set _ZN2at6native12_GLOBAL__N_125multi_tensor_apply_kernelINS1_28TensorListScalarListMetadataIdLi1EEENS1_25BinaryOpScalarListFunctorIdLi1ELi1ELi0EEEJSt4plusIdEEEEvT_T0_DpT1_.numbered_sgpr, 25
	.set _ZN2at6native12_GLOBAL__N_125multi_tensor_apply_kernelINS1_28TensorListScalarListMetadataIdLi1EEENS1_25BinaryOpScalarListFunctorIdLi1ELi1ELi0EEEJSt4plusIdEEEEvT_T0_DpT1_.num_named_barrier, 0
	.set _ZN2at6native12_GLOBAL__N_125multi_tensor_apply_kernelINS1_28TensorListScalarListMetadataIdLi1EEENS1_25BinaryOpScalarListFunctorIdLi1ELi1ELi0EEEJSt4plusIdEEEEvT_T0_DpT1_.private_seg_size, 0
	.set _ZN2at6native12_GLOBAL__N_125multi_tensor_apply_kernelINS1_28TensorListScalarListMetadataIdLi1EEENS1_25BinaryOpScalarListFunctorIdLi1ELi1ELi0EEEJSt4plusIdEEEEvT_T0_DpT1_.uses_vcc, 1
	.set _ZN2at6native12_GLOBAL__N_125multi_tensor_apply_kernelINS1_28TensorListScalarListMetadataIdLi1EEENS1_25BinaryOpScalarListFunctorIdLi1ELi1ELi0EEEJSt4plusIdEEEEvT_T0_DpT1_.uses_flat_scratch, 0
	.set _ZN2at6native12_GLOBAL__N_125multi_tensor_apply_kernelINS1_28TensorListScalarListMetadataIdLi1EEENS1_25BinaryOpScalarListFunctorIdLi1ELi1ELi0EEEJSt4plusIdEEEEvT_T0_DpT1_.has_dyn_sized_stack, 0
	.set _ZN2at6native12_GLOBAL__N_125multi_tensor_apply_kernelINS1_28TensorListScalarListMetadataIdLi1EEENS1_25BinaryOpScalarListFunctorIdLi1ELi1ELi0EEEJSt4plusIdEEEEvT_T0_DpT1_.has_recursion, 0
	.set _ZN2at6native12_GLOBAL__N_125multi_tensor_apply_kernelINS1_28TensorListScalarListMetadataIdLi1EEENS1_25BinaryOpScalarListFunctorIdLi1ELi1ELi0EEEJSt4plusIdEEEEvT_T0_DpT1_.has_indirect_call, 0
	.section	.AMDGPU.csdata,"",@progbits
; Kernel info:
; codeLenInByte = 1164
; TotalNumSgprs: 27
; NumVgprs: 21
; ScratchSize: 0
; MemoryBound: 0
; FloatMode: 240
; IeeeMode: 1
; LDSByteSize: 0 bytes/workgroup (compile time only)
; SGPRBlocks: 0
; VGPRBlocks: 2
; NumSGPRsForWavesPerEU: 27
; NumVGPRsForWavesPerEU: 21
; Occupancy: 16
; WaveLimiterHint : 1
; COMPUTE_PGM_RSRC2:SCRATCH_EN: 0
; COMPUTE_PGM_RSRC2:USER_SGPR: 6
; COMPUTE_PGM_RSRC2:TRAP_HANDLER: 0
; COMPUTE_PGM_RSRC2:TGID_X_EN: 1
; COMPUTE_PGM_RSRC2:TGID_Y_EN: 0
; COMPUTE_PGM_RSRC2:TGID_Z_EN: 0
; COMPUTE_PGM_RSRC2:TIDIG_COMP_CNT: 0
	.section	.text._ZN2at6native12_GLOBAL__N_125multi_tensor_apply_kernelINS1_28TensorListScalarListMetadataIfLi1EEENS1_25BinaryOpScalarListFunctorIfLi1ELi1ELi0EEEJSt4plusIfEEEEvT_T0_DpT1_,"axG",@progbits,_ZN2at6native12_GLOBAL__N_125multi_tensor_apply_kernelINS1_28TensorListScalarListMetadataIfLi1EEENS1_25BinaryOpScalarListFunctorIfLi1ELi1ELi0EEEJSt4plusIfEEEEvT_T0_DpT1_,comdat
	.globl	_ZN2at6native12_GLOBAL__N_125multi_tensor_apply_kernelINS1_28TensorListScalarListMetadataIfLi1EEENS1_25BinaryOpScalarListFunctorIfLi1ELi1ELi0EEEJSt4plusIfEEEEvT_T0_DpT1_ ; -- Begin function _ZN2at6native12_GLOBAL__N_125multi_tensor_apply_kernelINS1_28TensorListScalarListMetadataIfLi1EEENS1_25BinaryOpScalarListFunctorIfLi1ELi1ELi0EEEJSt4plusIfEEEEvT_T0_DpT1_
	.p2align	8
	.type	_ZN2at6native12_GLOBAL__N_125multi_tensor_apply_kernelINS1_28TensorListScalarListMetadataIfLi1EEENS1_25BinaryOpScalarListFunctorIfLi1ELi1ELi0EEEJSt4plusIfEEEEvT_T0_DpT1_,@function
_ZN2at6native12_GLOBAL__N_125multi_tensor_apply_kernelINS1_28TensorListScalarListMetadataIfLi1EEENS1_25BinaryOpScalarListFunctorIfLi1ELi1ELi0EEEJSt4plusIfEEEEvT_T0_DpT1_: ; @_ZN2at6native12_GLOBAL__N_125multi_tensor_apply_kernelINS1_28TensorListScalarListMetadataIfLi1EEENS1_25BinaryOpScalarListFunctorIfLi1ELi1ELi0EEEJSt4plusIfEEEEvT_T0_DpT1_
; %bb.0:
	v_mov_b32_e32 v1, s6
	s_add_u32 s0, s4, s6
	s_mul_i32 s1, s6, 3
	s_mul_hi_u32 s2, s6, 3
	s_addc_u32 s3, s5, 0
	global_load_ubyte v1, v1, s[4:5] offset:1920
	s_add_u32 s0, s0, s1
	s_addc_u32 s1, s3, s2
	s_mov_b32 s13, 0
	s_load_dword s0, s[0:1], 0x8c0
	s_waitcnt vmcnt(0)
	v_readfirstlane_b32 s1, v1
	v_lshlrev_b32_e32 v1, 2, v1
	s_lshl_b32 s8, s1, 3
	v_sub_co_u32 v1, s1, 0, v1
	v_sub_co_ci_u32_e64 v2, null, 0, 0, s1
	s_waitcnt lgkmcnt(0)
	s_ashr_i32 s1, s0, 31
	s_clause 0x1
	s_load_dwordx2 s[2:3], s[4:5], s8 offset:0x300
	s_load_dwordx2 s[6:7], s[4:5], s8 offset:0x0
	s_add_u32 s8, s4, s8
	s_addc_u32 s9, s5, 0
	v_add_co_u32 v1, vcc_lo, s8, v1
	v_add_co_ci_u32_e64 v2, null, s9, v2, vcc_lo
	v_readfirstlane_b32 s8, v1
	v_readfirstlane_b32 s9, v2
	s_load_dword s18, s[8:9], 0x600
	s_lshl_b64 s[8:9], s[0:1], 18
	s_lshl_b64 s[0:1], s[0:1], 16
	s_waitcnt lgkmcnt(0)
	s_and_b32 s12, s6, 15
	s_sub_u32 s10, s2, s0
	s_subb_u32 s11, s3, s1
	s_and_b32 s0, s2, 3
	s_mov_b32 s1, s13
	s_or_b64 s[0:1], s[12:13], s[0:1]
	s_cmp_eq_u64 s[0:1], 0
	s_cbranch_scc1 .LBB6_21
; %bb.1:
	v_cmp_lt_i64_e64 s0, s[10:11], 1
	s_and_b32 vcc_lo, exec_lo, s0
	s_cbranch_vccnz .LBB6_20
; %bb.2:
	s_load_dword s0, s[4:5], 0xdd4
	v_cmp_gt_i64_e64 s1, 0x10000, s[10:11]
	v_cmp_gt_u64_e64 s2, 0x10000, s[10:11]
	v_lshlrev_b32_e32 v1, 2, v0
	s_and_b32 s1, s1, exec_lo
	s_cselect_b32 s13, s11, 0
	s_cselect_b32 s12, s10, 0x10000
	s_waitcnt lgkmcnt(0)
	s_and_b32 s0, s0, 0xffff
	s_and_b32 s1, s2, exec_lo
	v_add_co_u32 v5, s3, v0, s0
	s_cselect_b32 s15, s11, 0
	s_cselect_b32 s14, s10, 0x10000
	s_lshl_b32 s1, s0, 1
	v_lshlrev_b32_e32 v3, 2, v5
	s_mul_i32 s2, s0, 3
	s_lshl_b32 s19, s0, 2
	s_add_u32 s16, s6, s8
	v_add_co_u32 v6, s2, s2, v0
	v_add_co_u32 v9, s1, s1, v0
	s_addc_u32 s17, s7, s9
	v_add_co_ci_u32_e64 v7, null, 0, 0, s2
	v_add_co_u32 v1, s2, s16, v1
	v_add_co_ci_u32_e64 v10, null, 0, 0, s1
	v_add_co_u32 v3, s1, s16, v3
	v_add_co_ci_u32_e64 v2, null, s17, 0, s2
	v_add_co_ci_u32_e64 v8, null, 0, 0, s3
	;; [unrolled: 1-line block ×3, first 2 shown]
	s_lshl_b32 s20, s0, 4
	s_mul_i32 s21, s0, 12
	s_lshl_b32 s22, s0, 3
	s_mov_b64 s[16:17], 0
	s_branch .LBB6_4
.LBB6_3:                                ;   in Loop: Header=BB6_4 Depth=1
	s_or_b32 exec_lo, exec_lo, s0
	s_add_u32 s16, s16, s19
	s_addc_u32 s17, s17, 0
	v_add_co_u32 v1, vcc_lo, v1, s20
	v_cmp_lt_i64_e64 s0, s[16:17], s[12:13]
	v_add_co_ci_u32_e64 v2, null, 0, v2, vcc_lo
	v_add_co_u32 v3, vcc_lo, v3, s20
	v_add_co_ci_u32_e64 v4, null, 0, v4, vcc_lo
	s_and_b32 vcc_lo, exec_lo, s0
	s_cbranch_vccz .LBB6_20
.LBB6_4:                                ; =>This Inner Loop Header: Depth=1
	s_waitcnt vmcnt(0)
	v_add_co_u32 v11, s0, v0, s16
	v_add_co_ci_u32_e64 v12, null, 0, s17, s0
	v_cmp_gt_u64_e32 vcc_lo, s[14:15], v[11:12]
	v_mov_b32_e32 v11, 0
	s_and_saveexec_b32 s0, vcc_lo
	s_cbranch_execz .LBB6_6
; %bb.5:                                ;   in Loop: Header=BB6_4 Depth=1
	global_load_dword v11, v[1:2], off
.LBB6_6:                                ;   in Loop: Header=BB6_4 Depth=1
	s_or_b32 exec_lo, exec_lo, s0
	v_add_co_u32 v12, s0, v5, s16
	v_add_co_ci_u32_e64 v13, null, s17, v8, s0
	v_cmp_gt_u64_e64 s0, s[14:15], v[12:13]
	v_mov_b32_e32 v12, 0
	v_mov_b32_e32 v13, 0
	s_and_saveexec_b32 s1, s0
	s_cbranch_execz .LBB6_8
; %bb.7:                                ;   in Loop: Header=BB6_4 Depth=1
	global_load_dword v13, v[3:4], off
.LBB6_8:                                ;   in Loop: Header=BB6_4 Depth=1
	s_or_b32 exec_lo, exec_lo, s1
	v_add_co_u32 v14, s1, v9, s16
	v_add_co_ci_u32_e64 v15, null, s17, v10, s1
	v_cmp_gt_u64_e64 s1, s[14:15], v[14:15]
	s_and_saveexec_b32 s3, s1
	s_cbranch_execz .LBB6_10
; %bb.9:                                ;   in Loop: Header=BB6_4 Depth=1
	v_add_co_u32 v14, s2, v1, s22
	v_add_co_ci_u32_e64 v15, null, 0, v2, s2
	global_load_dword v12, v[14:15], off
.LBB6_10:                               ;   in Loop: Header=BB6_4 Depth=1
	s_or_b32 exec_lo, exec_lo, s3
	v_add_co_u32 v14, s2, v6, s16
	v_add_co_ci_u32_e64 v15, null, s17, v7, s2
	v_cmp_gt_u64_e64 s2, s[14:15], v[14:15]
	v_mov_b32_e32 v14, 0
	s_and_saveexec_b32 s23, s2
	s_cbranch_execnz .LBB6_15
; %bb.11:                               ;   in Loop: Header=BB6_4 Depth=1
	s_or_b32 exec_lo, exec_lo, s23
	s_and_saveexec_b32 s3, vcc_lo
	s_cbranch_execnz .LBB6_16
.LBB6_12:                               ;   in Loop: Header=BB6_4 Depth=1
	s_or_b32 exec_lo, exec_lo, s3
	s_and_saveexec_b32 s3, s0
	s_cbranch_execnz .LBB6_17
.LBB6_13:                               ;   in Loop: Header=BB6_4 Depth=1
	s_or_b32 exec_lo, exec_lo, s3
	s_and_saveexec_b32 s0, s1
	s_cbranch_execnz .LBB6_18
.LBB6_14:                               ;   in Loop: Header=BB6_4 Depth=1
	s_or_b32 exec_lo, exec_lo, s0
	s_and_saveexec_b32 s0, s2
	s_cbranch_execz .LBB6_3
	s_branch .LBB6_19
.LBB6_15:                               ;   in Loop: Header=BB6_4 Depth=1
	v_add_co_u32 v14, s3, v1, s21
	v_add_co_ci_u32_e64 v15, null, 0, v2, s3
	global_load_dword v14, v[14:15], off
	s_or_b32 exec_lo, exec_lo, s23
	s_and_saveexec_b32 s3, vcc_lo
	s_cbranch_execz .LBB6_12
.LBB6_16:                               ;   in Loop: Header=BB6_4 Depth=1
	s_waitcnt vmcnt(0)
	v_add_f32_e32 v11, s18, v11
	global_store_dword v[1:2], v11, off
	s_or_b32 exec_lo, exec_lo, s3
	s_and_saveexec_b32 s3, s0
	s_cbranch_execz .LBB6_13
.LBB6_17:                               ;   in Loop: Header=BB6_4 Depth=1
	s_waitcnt vmcnt(0)
	v_add_f32_e32 v11, s18, v13
	global_store_dword v[3:4], v11, off
	s_or_b32 exec_lo, exec_lo, s3
	s_and_saveexec_b32 s0, s1
	s_cbranch_execz .LBB6_14
.LBB6_18:                               ;   in Loop: Header=BB6_4 Depth=1
	s_waitcnt vmcnt(0)
	v_add_co_u32 v11, vcc_lo, v1, s22
	v_add_f32_e32 v13, s18, v12
	v_add_co_ci_u32_e64 v12, null, 0, v2, vcc_lo
	global_store_dword v[11:12], v13, off
	s_or_b32 exec_lo, exec_lo, s0
	s_and_saveexec_b32 s0, s2
	s_cbranch_execz .LBB6_3
.LBB6_19:                               ;   in Loop: Header=BB6_4 Depth=1
	s_waitcnt vmcnt(0)
	v_add_co_u32 v11, vcc_lo, v1, s21
	v_add_f32_e32 v13, s18, v14
	v_add_co_ci_u32_e64 v12, null, 0, v2, vcc_lo
	global_store_dword v[11:12], v13, off
	s_branch .LBB6_3
.LBB6_20:
	s_cbranch_execz .LBB6_22
	s_branch .LBB6_25
.LBB6_21:
.LBB6_22:
	v_cmp_gt_i64_e64 s0, 0x10000, s[10:11]
	v_mov_b32_e32 v2, 0
	v_lshlrev_b32_e32 v1, 2, v0
	s_mov_b32 s1, 0
	s_and_b32 s0, s0, exec_lo
	s_cselect_b32 s3, s11, 0
	s_cselect_b32 s2, s10, 0x10000
	s_mov_b32 s0, exec_lo
	v_cmpx_gt_i64_e64 s[2:3], v[1:2]
	s_cbranch_execz .LBB6_25
; %bb.23:
	s_load_dword s0, s[4:5], 0xdd4
	v_lshlrev_b32_e32 v1, 4, v0
	s_waitcnt lgkmcnt(0)
	s_and_b32 s4, s0, 0xffff
	s_add_u32 s0, s6, s8
	s_addc_u32 s5, s7, s9
	v_add_co_u32 v3, s0, s0, v1
	v_add_co_ci_u32_e64 v4, null, s5, 0, s0
	v_mov_b32_e32 v1, v2
	v_add_co_u32 v2, vcc_lo, v3, 8
	v_add_co_ci_u32_e64 v3, null, 0, v4, vcc_lo
	s_lshl_b32 s5, s4, 4
	.p2align	6
.LBB6_24:                               ; =>This Inner Loop Header: Depth=1
	global_load_dwordx4 v[4:7], v[2:3], off offset:-8
	v_add_co_u32 v0, vcc_lo, v0, s4
	v_add_co_ci_u32_e64 v1, null, 0, v1, vcc_lo
	v_lshlrev_b64 v[8:9], 2, v[0:1]
	v_cmp_le_i64_e32 vcc_lo, s[2:3], v[8:9]
	s_or_b32 s1, vcc_lo, s1
	s_waitcnt vmcnt(0)
	v_add_f32_e32 v4, s18, v4
	v_add_f32_e32 v5, s18, v5
	;; [unrolled: 1-line block ×4, first 2 shown]
	global_store_dwordx4 v[2:3], v[4:7], off offset:-8
	v_add_co_u32 v2, s0, v2, s5
	v_add_co_ci_u32_e64 v3, null, 0, v3, s0
	s_andn2_b32 exec_lo, exec_lo, s1
	s_cbranch_execnz .LBB6_24
.LBB6_25:
	s_endpgm
	.section	.rodata,"a",@progbits
	.p2align	6, 0x0
	.amdhsa_kernel _ZN2at6native12_GLOBAL__N_125multi_tensor_apply_kernelINS1_28TensorListScalarListMetadataIfLi1EEENS1_25BinaryOpScalarListFunctorIfLi1ELi1ELi0EEEJSt4plusIfEEEEvT_T0_DpT1_
		.amdhsa_group_segment_fixed_size 0
		.amdhsa_private_segment_fixed_size 0
		.amdhsa_kernarg_size 3784
		.amdhsa_user_sgpr_count 6
		.amdhsa_user_sgpr_private_segment_buffer 1
		.amdhsa_user_sgpr_dispatch_ptr 0
		.amdhsa_user_sgpr_queue_ptr 0
		.amdhsa_user_sgpr_kernarg_segment_ptr 1
		.amdhsa_user_sgpr_dispatch_id 0
		.amdhsa_user_sgpr_flat_scratch_init 0
		.amdhsa_user_sgpr_private_segment_size 0
		.amdhsa_wavefront_size32 1
		.amdhsa_uses_dynamic_stack 0
		.amdhsa_system_sgpr_private_segment_wavefront_offset 0
		.amdhsa_system_sgpr_workgroup_id_x 1
		.amdhsa_system_sgpr_workgroup_id_y 0
		.amdhsa_system_sgpr_workgroup_id_z 0
		.amdhsa_system_sgpr_workgroup_info 0
		.amdhsa_system_vgpr_workitem_id 0
		.amdhsa_next_free_vgpr 16
		.amdhsa_next_free_sgpr 24
		.amdhsa_reserve_vcc 1
		.amdhsa_reserve_flat_scratch 0
		.amdhsa_float_round_mode_32 0
		.amdhsa_float_round_mode_16_64 0
		.amdhsa_float_denorm_mode_32 3
		.amdhsa_float_denorm_mode_16_64 3
		.amdhsa_dx10_clamp 1
		.amdhsa_ieee_mode 1
		.amdhsa_fp16_overflow 0
		.amdhsa_workgroup_processor_mode 1
		.amdhsa_memory_ordered 1
		.amdhsa_forward_progress 1
		.amdhsa_shared_vgpr_count 0
		.amdhsa_exception_fp_ieee_invalid_op 0
		.amdhsa_exception_fp_denorm_src 0
		.amdhsa_exception_fp_ieee_div_zero 0
		.amdhsa_exception_fp_ieee_overflow 0
		.amdhsa_exception_fp_ieee_underflow 0
		.amdhsa_exception_fp_ieee_inexact 0
		.amdhsa_exception_int_div_zero 0
	.end_amdhsa_kernel
	.section	.text._ZN2at6native12_GLOBAL__N_125multi_tensor_apply_kernelINS1_28TensorListScalarListMetadataIfLi1EEENS1_25BinaryOpScalarListFunctorIfLi1ELi1ELi0EEEJSt4plusIfEEEEvT_T0_DpT1_,"axG",@progbits,_ZN2at6native12_GLOBAL__N_125multi_tensor_apply_kernelINS1_28TensorListScalarListMetadataIfLi1EEENS1_25BinaryOpScalarListFunctorIfLi1ELi1ELi0EEEJSt4plusIfEEEEvT_T0_DpT1_,comdat
.Lfunc_end6:
	.size	_ZN2at6native12_GLOBAL__N_125multi_tensor_apply_kernelINS1_28TensorListScalarListMetadataIfLi1EEENS1_25BinaryOpScalarListFunctorIfLi1ELi1ELi0EEEJSt4plusIfEEEEvT_T0_DpT1_, .Lfunc_end6-_ZN2at6native12_GLOBAL__N_125multi_tensor_apply_kernelINS1_28TensorListScalarListMetadataIfLi1EEENS1_25BinaryOpScalarListFunctorIfLi1ELi1ELi0EEEJSt4plusIfEEEEvT_T0_DpT1_
                                        ; -- End function
	.set _ZN2at6native12_GLOBAL__N_125multi_tensor_apply_kernelINS1_28TensorListScalarListMetadataIfLi1EEENS1_25BinaryOpScalarListFunctorIfLi1ELi1ELi0EEEJSt4plusIfEEEEvT_T0_DpT1_.num_vgpr, 16
	.set _ZN2at6native12_GLOBAL__N_125multi_tensor_apply_kernelINS1_28TensorListScalarListMetadataIfLi1EEENS1_25BinaryOpScalarListFunctorIfLi1ELi1ELi0EEEJSt4plusIfEEEEvT_T0_DpT1_.num_agpr, 0
	.set _ZN2at6native12_GLOBAL__N_125multi_tensor_apply_kernelINS1_28TensorListScalarListMetadataIfLi1EEENS1_25BinaryOpScalarListFunctorIfLi1ELi1ELi0EEEJSt4plusIfEEEEvT_T0_DpT1_.numbered_sgpr, 24
	.set _ZN2at6native12_GLOBAL__N_125multi_tensor_apply_kernelINS1_28TensorListScalarListMetadataIfLi1EEENS1_25BinaryOpScalarListFunctorIfLi1ELi1ELi0EEEJSt4plusIfEEEEvT_T0_DpT1_.num_named_barrier, 0
	.set _ZN2at6native12_GLOBAL__N_125multi_tensor_apply_kernelINS1_28TensorListScalarListMetadataIfLi1EEENS1_25BinaryOpScalarListFunctorIfLi1ELi1ELi0EEEJSt4plusIfEEEEvT_T0_DpT1_.private_seg_size, 0
	.set _ZN2at6native12_GLOBAL__N_125multi_tensor_apply_kernelINS1_28TensorListScalarListMetadataIfLi1EEENS1_25BinaryOpScalarListFunctorIfLi1ELi1ELi0EEEJSt4plusIfEEEEvT_T0_DpT1_.uses_vcc, 1
	.set _ZN2at6native12_GLOBAL__N_125multi_tensor_apply_kernelINS1_28TensorListScalarListMetadataIfLi1EEENS1_25BinaryOpScalarListFunctorIfLi1ELi1ELi0EEEJSt4plusIfEEEEvT_T0_DpT1_.uses_flat_scratch, 0
	.set _ZN2at6native12_GLOBAL__N_125multi_tensor_apply_kernelINS1_28TensorListScalarListMetadataIfLi1EEENS1_25BinaryOpScalarListFunctorIfLi1ELi1ELi0EEEJSt4plusIfEEEEvT_T0_DpT1_.has_dyn_sized_stack, 0
	.set _ZN2at6native12_GLOBAL__N_125multi_tensor_apply_kernelINS1_28TensorListScalarListMetadataIfLi1EEENS1_25BinaryOpScalarListFunctorIfLi1ELi1ELi0EEEJSt4plusIfEEEEvT_T0_DpT1_.has_recursion, 0
	.set _ZN2at6native12_GLOBAL__N_125multi_tensor_apply_kernelINS1_28TensorListScalarListMetadataIfLi1EEENS1_25BinaryOpScalarListFunctorIfLi1ELi1ELi0EEEJSt4plusIfEEEEvT_T0_DpT1_.has_indirect_call, 0
	.section	.AMDGPU.csdata,"",@progbits
; Kernel info:
; codeLenInByte = 1184
; TotalNumSgprs: 26
; NumVgprs: 16
; ScratchSize: 0
; MemoryBound: 0
; FloatMode: 240
; IeeeMode: 1
; LDSByteSize: 0 bytes/workgroup (compile time only)
; SGPRBlocks: 0
; VGPRBlocks: 1
; NumSGPRsForWavesPerEU: 26
; NumVGPRsForWavesPerEU: 16
; Occupancy: 16
; WaveLimiterHint : 0
; COMPUTE_PGM_RSRC2:SCRATCH_EN: 0
; COMPUTE_PGM_RSRC2:USER_SGPR: 6
; COMPUTE_PGM_RSRC2:TRAP_HANDLER: 0
; COMPUTE_PGM_RSRC2:TGID_X_EN: 1
; COMPUTE_PGM_RSRC2:TGID_Y_EN: 0
; COMPUTE_PGM_RSRC2:TGID_Z_EN: 0
; COMPUTE_PGM_RSRC2:TIDIG_COMP_CNT: 0
	.section	.text._ZN2at6native12_GLOBAL__N_125multi_tensor_apply_kernelINS1_28TensorListScalarListMetadataIN3c107complexIdEELi1EEENS1_25BinaryOpScalarListFunctorIS6_Li1ELi1ELi0EEEJSt4plusIS6_EEEEvT_T0_DpT1_,"axG",@progbits,_ZN2at6native12_GLOBAL__N_125multi_tensor_apply_kernelINS1_28TensorListScalarListMetadataIN3c107complexIdEELi1EEENS1_25BinaryOpScalarListFunctorIS6_Li1ELi1ELi0EEEJSt4plusIS6_EEEEvT_T0_DpT1_,comdat
	.globl	_ZN2at6native12_GLOBAL__N_125multi_tensor_apply_kernelINS1_28TensorListScalarListMetadataIN3c107complexIdEELi1EEENS1_25BinaryOpScalarListFunctorIS6_Li1ELi1ELi0EEEJSt4plusIS6_EEEEvT_T0_DpT1_ ; -- Begin function _ZN2at6native12_GLOBAL__N_125multi_tensor_apply_kernelINS1_28TensorListScalarListMetadataIN3c107complexIdEELi1EEENS1_25BinaryOpScalarListFunctorIS6_Li1ELi1ELi0EEEJSt4plusIS6_EEEEvT_T0_DpT1_
	.p2align	8
	.type	_ZN2at6native12_GLOBAL__N_125multi_tensor_apply_kernelINS1_28TensorListScalarListMetadataIN3c107complexIdEELi1EEENS1_25BinaryOpScalarListFunctorIS6_Li1ELi1ELi0EEEJSt4plusIS6_EEEEvT_T0_DpT1_,@function
_ZN2at6native12_GLOBAL__N_125multi_tensor_apply_kernelINS1_28TensorListScalarListMetadataIN3c107complexIdEELi1EEENS1_25BinaryOpScalarListFunctorIS6_Li1ELi1ELi0EEEJSt4plusIS6_EEEEvT_T0_DpT1_: ; @_ZN2at6native12_GLOBAL__N_125multi_tensor_apply_kernelINS1_28TensorListScalarListMetadataIN3c107complexIdEELi1EEENS1_25BinaryOpScalarListFunctorIS6_Li1ELi1ELi0EEEJSt4plusIS6_EEEEvT_T0_DpT1_
; %bb.0:
	v_mov_b32_e32 v1, 0x800
	s_add_u32 s0, s4, s6
	s_addc_u32 s1, s5, 0
	s_mov_b32 s7, 0
	global_load_ubyte v1, v1, s[0:1] offset:256
	s_lshl_b64 s[0:1], s[6:7], 2
	s_add_u32 s0, s4, s0
	s_addc_u32 s1, s5, s1
	s_load_dword s0, s[0:1], 0xa40
	s_waitcnt vmcnt(0)
	v_readfirstlane_b32 s1, v1
	s_lshl_b32 s6, s1, 3
	s_waitcnt lgkmcnt(0)
	s_ashr_i32 s1, s0, 31
	s_clause 0x1
	s_load_dwordx2 s[12:13], s[4:5], s6 offset:0x0
	s_load_dwordx2 s[2:3], s[4:5], s6 offset:0x240
	s_add_u32 s8, s4, s6
	s_addc_u32 s9, s5, 0
	s_lshl_b64 s[14:15], s[0:1], 20
	s_load_dwordx4 s[8:11], s[8:9], s6 offset:0x480
	s_waitcnt lgkmcnt(0)
	s_add_u32 s22, s12, s14
	s_addc_u32 s23, s13, s15
	s_lshl_b64 s[0:1], s[0:1], 16
	s_and_b32 s6, s22, 63
	s_sub_u32 s16, s2, s0
	s_subb_u32 s17, s3, s1
	s_and_b32 s0, s2, 3
	s_mov_b32 s1, s7
	s_or_b64 s[0:1], s[6:7], s[0:1]
	s_cmp_eq_u64 s[0:1], 0
	s_cbranch_scc1 .LBB7_21
; %bb.1:
	v_cmp_lt_i64_e64 s0, s[16:17], 1
	s_and_b32 vcc_lo, exec_lo, s0
	s_cbranch_vccnz .LBB7_20
; %bb.2:
	s_load_dword s0, s[4:5], 0xf54
	v_cmp_gt_i64_e64 s1, 0x10000, s[16:17]
	v_cmp_gt_u64_e64 s2, 0x10000, s[16:17]
	v_mov_b32_e32 v18, 0
	v_lshlrev_b32_e32 v17, 4, v0
	s_mov_b64 s[20:21], 0
	s_and_b32 s1, s1, exec_lo
	s_cselect_b32 s7, s17, 0
	s_cselect_b32 s6, s16, 0x10000
	s_waitcnt lgkmcnt(0)
	s_and_b32 s0, s0, 0xffff
	s_and_b32 s1, s2, exec_lo
	s_mul_i32 s2, s0, 3
	v_add_co_u32 v20, s3, v0, s0
	v_mad_u64_u32 v[18:19], null, s0, 48, v[17:18]
	s_cselect_b32 s19, s17, 0
	s_cselect_b32 s18, s16, 0x10000
	v_add_co_ci_u32_e64 v21, null, 0, 0, s3
	s_lshl_b32 s3, s0, 5
	v_add_co_u32 v22, s2, s2, v0
	v_add_co_ci_u32_e64 v23, null, 0, 0, s2
	v_add_co_u32 v1, s2, s3, v17
	s_lshl_b32 s1, s0, 1
	v_add_co_ci_u32_e64 v24, null, 0, 0, s2
	v_add_co_u32 v27, s1, s1, v0
	v_lshlrev_b32_e32 v25, 4, v20
	v_or_b32_e32 v18, 8, v18
	v_or_b32_e32 v26, 8, v1
	v_add_co_ci_u32_e64 v28, null, 0, 0, s1
	s_lshl_b32 s24, s0, 2
	s_lshl_b32 s25, s0, 6
	s_branch .LBB7_4
.LBB7_3:                                ;   in Loop: Header=BB7_4 Depth=1
	s_or_b32 exec_lo, exec_lo, s0
	s_add_u32 s20, s20, s24
	s_addc_u32 s21, s21, 0
	s_add_u32 s22, s22, s25
	v_cmp_lt_i64_e64 s0, s[20:21], s[6:7]
	s_addc_u32 s23, s23, 0
	s_and_b32 vcc_lo, exec_lo, s0
	s_cbranch_vccz .LBB7_20
.LBB7_4:                                ; =>This Inner Loop Header: Depth=1
	s_waitcnt vmcnt(0)
	v_add_co_u32 v1, s0, v0, s20
	v_add_co_ci_u32_e64 v2, null, 0, s21, s0
	v_mov_b32_e32 v3, 0
	v_mov_b32_e32 v7, 0
	;; [unrolled: 1-line block ×3, first 2 shown]
	v_cmp_gt_u64_e32 vcc_lo, s[18:19], v[1:2]
	v_mov_b32_e32 v4, 0
	v_mov_b32_e32 v8, 0
	;; [unrolled: 1-line block ×3, first 2 shown]
	s_and_saveexec_b32 s0, vcc_lo
	s_cbranch_execz .LBB7_6
; %bb.5:                                ;   in Loop: Header=BB7_4 Depth=1
	v_add_co_u32 v1, s1, s22, v17
	v_add_co_ci_u32_e64 v2, null, s23, 0, s1
	global_load_dwordx4 v[5:8], v[1:2], off
.LBB7_6:                                ;   in Loop: Header=BB7_4 Depth=1
	s_or_b32 exec_lo, exec_lo, s0
	v_add_co_u32 v1, s0, v20, s20
	v_add_co_ci_u32_e64 v2, null, s21, v21, s0
	v_cmp_gt_u64_e64 s0, s[18:19], v[1:2]
	v_mov_b32_e32 v1, 0
	v_mov_b32_e32 v2, 0
	s_and_saveexec_b32 s1, s0
	s_cbranch_execz .LBB7_8
; %bb.7:                                ;   in Loop: Header=BB7_4 Depth=1
	v_add_co_u32 v1, s2, s22, v25
	v_add_co_ci_u32_e64 v2, null, s23, 0, s2
	global_load_dwordx4 v[1:4], v[1:2], off
.LBB7_8:                                ;   in Loop: Header=BB7_4 Depth=1
	s_or_b32 exec_lo, exec_lo, s1
	v_add_co_u32 v9, s1, v27, s20
	v_add_co_ci_u32_e64 v10, null, s21, v28, s1
	v_mov_b32_e32 v11, 0
	v_mov_b32_e32 v15, 0
	;; [unrolled: 1-line block ×3, first 2 shown]
	v_cmp_gt_u64_e64 s1, s[18:19], v[9:10]
	v_mov_b32_e32 v12, 0
	v_mov_b32_e32 v16, 0
	;; [unrolled: 1-line block ×3, first 2 shown]
	s_and_saveexec_b32 s3, s1
	s_cbranch_execz .LBB7_10
; %bb.9:                                ;   in Loop: Header=BB7_4 Depth=1
	v_add_co_u32 v9, s2, s22, v26
	v_add_co_ci_u32_e64 v10, null, s23, v24, s2
	global_load_dwordx4 v[13:16], v[9:10], off offset:-8
.LBB7_10:                               ;   in Loop: Header=BB7_4 Depth=1
	s_or_b32 exec_lo, exec_lo, s3
	v_add_co_u32 v9, s2, v22, s20
	v_add_co_ci_u32_e64 v10, null, s21, v23, s2
	v_cmp_gt_u64_e64 s2, s[18:19], v[9:10]
	v_mov_b32_e32 v9, 0
	v_mov_b32_e32 v10, 0
	s_and_saveexec_b32 s26, s2
	s_cbranch_execnz .LBB7_15
; %bb.11:                               ;   in Loop: Header=BB7_4 Depth=1
	s_or_b32 exec_lo, exec_lo, s26
	s_and_saveexec_b32 s3, vcc_lo
	s_cbranch_execnz .LBB7_16
.LBB7_12:                               ;   in Loop: Header=BB7_4 Depth=1
	s_or_b32 exec_lo, exec_lo, s3
	s_and_saveexec_b32 s3, s0
	s_cbranch_execnz .LBB7_17
.LBB7_13:                               ;   in Loop: Header=BB7_4 Depth=1
	s_or_b32 exec_lo, exec_lo, s3
	s_and_saveexec_b32 s0, s1
	s_cbranch_execnz .LBB7_18
.LBB7_14:                               ;   in Loop: Header=BB7_4 Depth=1
	s_or_b32 exec_lo, exec_lo, s0
	s_and_saveexec_b32 s0, s2
	s_cbranch_execz .LBB7_3
	s_branch .LBB7_19
.LBB7_15:                               ;   in Loop: Header=BB7_4 Depth=1
	v_add_co_u32 v9, s3, s22, v18
	v_add_co_ci_u32_e64 v10, null, s23, v19, s3
	global_load_dwordx4 v[9:12], v[9:10], off offset:-8
	s_or_b32 exec_lo, exec_lo, s26
	s_and_saveexec_b32 s3, vcc_lo
	s_cbranch_execz .LBB7_12
.LBB7_16:                               ;   in Loop: Header=BB7_4 Depth=1
	s_waitcnt vmcnt(0)
	v_add_f64 v[7:8], s[10:11], v[7:8]
	v_add_f64 v[5:6], s[8:9], v[5:6]
	v_add_co_u32 v29, s26, s22, v17
	v_add_co_ci_u32_e64 v30, null, s23, 0, s26
	global_store_dwordx4 v[29:30], v[5:8], off
	s_or_b32 exec_lo, exec_lo, s3
	s_and_saveexec_b32 s3, s0
	s_cbranch_execz .LBB7_13
.LBB7_17:                               ;   in Loop: Header=BB7_4 Depth=1
	s_waitcnt vmcnt(0)
	v_add_f64 v[1:2], s[8:9], v[1:2]
	v_add_f64 v[3:4], s[10:11], v[3:4]
	v_add_co_u32 v5, s0, s22, v25
	v_add_co_ci_u32_e64 v6, null, s23, 0, s0
	global_store_dwordx4 v[5:6], v[1:4], off
	s_or_b32 exec_lo, exec_lo, s3
	s_and_saveexec_b32 s0, s1
	s_cbranch_execz .LBB7_14
.LBB7_18:                               ;   in Loop: Header=BB7_4 Depth=1
	s_waitcnt vmcnt(0)
	v_add_f64 v[1:2], s[8:9], v[13:14]
	v_add_f64 v[3:4], s[10:11], v[15:16]
	v_add_co_u32 v5, vcc_lo, s22, v26
	v_add_co_ci_u32_e64 v6, null, s23, v24, vcc_lo
	global_store_dwordx4 v[5:6], v[1:4], off offset:-8
	s_or_b32 exec_lo, exec_lo, s0
	s_and_saveexec_b32 s0, s2
	s_cbranch_execz .LBB7_3
.LBB7_19:                               ;   in Loop: Header=BB7_4 Depth=1
	s_waitcnt vmcnt(0)
	v_add_f64 v[1:2], s[8:9], v[9:10]
	v_add_f64 v[3:4], s[10:11], v[11:12]
	v_add_co_u32 v5, vcc_lo, s22, v18
	v_add_co_ci_u32_e64 v6, null, s23, v19, vcc_lo
	global_store_dwordx4 v[5:6], v[1:4], off offset:-8
	s_branch .LBB7_3
.LBB7_20:
	s_cbranch_execz .LBB7_22
	s_branch .LBB7_25
.LBB7_21:
.LBB7_22:
	v_cmp_gt_i64_e64 s0, 0x10000, s[16:17]
	s_waitcnt vmcnt(0)
	v_mov_b32_e32 v2, 0
	v_lshlrev_b32_e32 v1, 2, v0
	s_mov_b32 s1, 0
	s_and_b32 s0, s0, exec_lo
	s_cselect_b32 s3, s17, 0
	s_cselect_b32 s2, s16, 0x10000
	s_mov_b32 s0, exec_lo
	v_cmpx_gt_i64_e64 s[2:3], v[1:2]
	s_cbranch_execz .LBB7_25
; %bb.23:
	s_load_dword s0, s[4:5], 0xf54
	v_mov_b32_e32 v1, v2
	v_lshlrev_b32_e32 v2, 6, v0
	s_waitcnt lgkmcnt(0)
	s_and_b32 s4, s0, 0xffff
	s_add_u32 s0, s12, s14
	s_addc_u32 s5, s13, s15
	v_add_co_u32 v2, s0, s0, v2
	v_add_co_ci_u32_e64 v3, null, s5, 0, s0
	s_lshl_b32 s5, s4, 6
	s_inst_prefetch 0x1
	.p2align	6
.LBB7_24:                               ; =>This Inner Loop Header: Depth=1
	s_clause 0x3
	global_load_dwordx4 v[4:7], v[2:3], off
	global_load_dwordx4 v[8:11], v[2:3], off offset:16
	global_load_dwordx4 v[12:15], v[2:3], off offset:32
	;; [unrolled: 1-line block ×3, first 2 shown]
	v_add_co_u32 v0, vcc_lo, v0, s4
	v_add_co_ci_u32_e64 v1, null, 0, v1, vcc_lo
	v_lshlrev_b64 v[20:21], 2, v[0:1]
	v_cmp_le_i64_e32 vcc_lo, s[2:3], v[20:21]
	s_or_b32 s1, vcc_lo, s1
	s_waitcnt vmcnt(3)
	v_add_f64 v[4:5], s[8:9], v[4:5]
	v_add_f64 v[6:7], s[10:11], v[6:7]
	s_waitcnt vmcnt(2)
	v_add_f64 v[8:9], s[8:9], v[8:9]
	v_add_f64 v[10:11], s[10:11], v[10:11]
	;; [unrolled: 3-line block ×4, first 2 shown]
	global_store_dwordx4 v[2:3], v[4:7], off
	global_store_dwordx4 v[2:3], v[8:11], off offset:16
	global_store_dwordx4 v[2:3], v[12:15], off offset:32
	;; [unrolled: 1-line block ×3, first 2 shown]
	v_add_co_u32 v2, s0, v2, s5
	v_add_co_ci_u32_e64 v3, null, 0, v3, s0
	s_andn2_b32 exec_lo, exec_lo, s1
	s_cbranch_execnz .LBB7_24
.LBB7_25:
	s_inst_prefetch 0x2
	s_endpgm
	.section	.rodata,"a",@progbits
	.p2align	6, 0x0
	.amdhsa_kernel _ZN2at6native12_GLOBAL__N_125multi_tensor_apply_kernelINS1_28TensorListScalarListMetadataIN3c107complexIdEELi1EEENS1_25BinaryOpScalarListFunctorIS6_Li1ELi1ELi0EEEJSt4plusIS6_EEEEvT_T0_DpT1_
		.amdhsa_group_segment_fixed_size 0
		.amdhsa_private_segment_fixed_size 0
		.amdhsa_kernarg_size 4168
		.amdhsa_user_sgpr_count 6
		.amdhsa_user_sgpr_private_segment_buffer 1
		.amdhsa_user_sgpr_dispatch_ptr 0
		.amdhsa_user_sgpr_queue_ptr 0
		.amdhsa_user_sgpr_kernarg_segment_ptr 1
		.amdhsa_user_sgpr_dispatch_id 0
		.amdhsa_user_sgpr_flat_scratch_init 0
		.amdhsa_user_sgpr_private_segment_size 0
		.amdhsa_wavefront_size32 1
		.amdhsa_uses_dynamic_stack 0
		.amdhsa_system_sgpr_private_segment_wavefront_offset 0
		.amdhsa_system_sgpr_workgroup_id_x 1
		.amdhsa_system_sgpr_workgroup_id_y 0
		.amdhsa_system_sgpr_workgroup_id_z 0
		.amdhsa_system_sgpr_workgroup_info 0
		.amdhsa_system_vgpr_workitem_id 0
		.amdhsa_next_free_vgpr 31
		.amdhsa_next_free_sgpr 27
		.amdhsa_reserve_vcc 1
		.amdhsa_reserve_flat_scratch 0
		.amdhsa_float_round_mode_32 0
		.amdhsa_float_round_mode_16_64 0
		.amdhsa_float_denorm_mode_32 3
		.amdhsa_float_denorm_mode_16_64 3
		.amdhsa_dx10_clamp 1
		.amdhsa_ieee_mode 1
		.amdhsa_fp16_overflow 0
		.amdhsa_workgroup_processor_mode 1
		.amdhsa_memory_ordered 1
		.amdhsa_forward_progress 1
		.amdhsa_shared_vgpr_count 0
		.amdhsa_exception_fp_ieee_invalid_op 0
		.amdhsa_exception_fp_denorm_src 0
		.amdhsa_exception_fp_ieee_div_zero 0
		.amdhsa_exception_fp_ieee_overflow 0
		.amdhsa_exception_fp_ieee_underflow 0
		.amdhsa_exception_fp_ieee_inexact 0
		.amdhsa_exception_int_div_zero 0
	.end_amdhsa_kernel
	.section	.text._ZN2at6native12_GLOBAL__N_125multi_tensor_apply_kernelINS1_28TensorListScalarListMetadataIN3c107complexIdEELi1EEENS1_25BinaryOpScalarListFunctorIS6_Li1ELi1ELi0EEEJSt4plusIS6_EEEEvT_T0_DpT1_,"axG",@progbits,_ZN2at6native12_GLOBAL__N_125multi_tensor_apply_kernelINS1_28TensorListScalarListMetadataIN3c107complexIdEELi1EEENS1_25BinaryOpScalarListFunctorIS6_Li1ELi1ELi0EEEJSt4plusIS6_EEEEvT_T0_DpT1_,comdat
.Lfunc_end7:
	.size	_ZN2at6native12_GLOBAL__N_125multi_tensor_apply_kernelINS1_28TensorListScalarListMetadataIN3c107complexIdEELi1EEENS1_25BinaryOpScalarListFunctorIS6_Li1ELi1ELi0EEEJSt4plusIS6_EEEEvT_T0_DpT1_, .Lfunc_end7-_ZN2at6native12_GLOBAL__N_125multi_tensor_apply_kernelINS1_28TensorListScalarListMetadataIN3c107complexIdEELi1EEENS1_25BinaryOpScalarListFunctorIS6_Li1ELi1ELi0EEEJSt4plusIS6_EEEEvT_T0_DpT1_
                                        ; -- End function
	.set _ZN2at6native12_GLOBAL__N_125multi_tensor_apply_kernelINS1_28TensorListScalarListMetadataIN3c107complexIdEELi1EEENS1_25BinaryOpScalarListFunctorIS6_Li1ELi1ELi0EEEJSt4plusIS6_EEEEvT_T0_DpT1_.num_vgpr, 31
	.set _ZN2at6native12_GLOBAL__N_125multi_tensor_apply_kernelINS1_28TensorListScalarListMetadataIN3c107complexIdEELi1EEENS1_25BinaryOpScalarListFunctorIS6_Li1ELi1ELi0EEEJSt4plusIS6_EEEEvT_T0_DpT1_.num_agpr, 0
	.set _ZN2at6native12_GLOBAL__N_125multi_tensor_apply_kernelINS1_28TensorListScalarListMetadataIN3c107complexIdEELi1EEENS1_25BinaryOpScalarListFunctorIS6_Li1ELi1ELi0EEEJSt4plusIS6_EEEEvT_T0_DpT1_.numbered_sgpr, 27
	.set _ZN2at6native12_GLOBAL__N_125multi_tensor_apply_kernelINS1_28TensorListScalarListMetadataIN3c107complexIdEELi1EEENS1_25BinaryOpScalarListFunctorIS6_Li1ELi1ELi0EEEJSt4plusIS6_EEEEvT_T0_DpT1_.num_named_barrier, 0
	.set _ZN2at6native12_GLOBAL__N_125multi_tensor_apply_kernelINS1_28TensorListScalarListMetadataIN3c107complexIdEELi1EEENS1_25BinaryOpScalarListFunctorIS6_Li1ELi1ELi0EEEJSt4plusIS6_EEEEvT_T0_DpT1_.private_seg_size, 0
	.set _ZN2at6native12_GLOBAL__N_125multi_tensor_apply_kernelINS1_28TensorListScalarListMetadataIN3c107complexIdEELi1EEENS1_25BinaryOpScalarListFunctorIS6_Li1ELi1ELi0EEEJSt4plusIS6_EEEEvT_T0_DpT1_.uses_vcc, 1
	.set _ZN2at6native12_GLOBAL__N_125multi_tensor_apply_kernelINS1_28TensorListScalarListMetadataIN3c107complexIdEELi1EEENS1_25BinaryOpScalarListFunctorIS6_Li1ELi1ELi0EEEJSt4plusIS6_EEEEvT_T0_DpT1_.uses_flat_scratch, 0
	.set _ZN2at6native12_GLOBAL__N_125multi_tensor_apply_kernelINS1_28TensorListScalarListMetadataIN3c107complexIdEELi1EEENS1_25BinaryOpScalarListFunctorIS6_Li1ELi1ELi0EEEJSt4plusIS6_EEEEvT_T0_DpT1_.has_dyn_sized_stack, 0
	.set _ZN2at6native12_GLOBAL__N_125multi_tensor_apply_kernelINS1_28TensorListScalarListMetadataIN3c107complexIdEELi1EEENS1_25BinaryOpScalarListFunctorIS6_Li1ELi1ELi0EEEJSt4plusIS6_EEEEvT_T0_DpT1_.has_recursion, 0
	.set _ZN2at6native12_GLOBAL__N_125multi_tensor_apply_kernelINS1_28TensorListScalarListMetadataIN3c107complexIdEELi1EEENS1_25BinaryOpScalarListFunctorIS6_Li1ELi1ELi0EEEJSt4plusIS6_EEEEvT_T0_DpT1_.has_indirect_call, 0
	.section	.AMDGPU.csdata,"",@progbits
; Kernel info:
; codeLenInByte = 1364
; TotalNumSgprs: 29
; NumVgprs: 31
; ScratchSize: 0
; MemoryBound: 1
; FloatMode: 240
; IeeeMode: 1
; LDSByteSize: 0 bytes/workgroup (compile time only)
; SGPRBlocks: 0
; VGPRBlocks: 3
; NumSGPRsForWavesPerEU: 29
; NumVGPRsForWavesPerEU: 31
; Occupancy: 16
; WaveLimiterHint : 0
; COMPUTE_PGM_RSRC2:SCRATCH_EN: 0
; COMPUTE_PGM_RSRC2:USER_SGPR: 6
; COMPUTE_PGM_RSRC2:TRAP_HANDLER: 0
; COMPUTE_PGM_RSRC2:TGID_X_EN: 1
; COMPUTE_PGM_RSRC2:TGID_Y_EN: 0
; COMPUTE_PGM_RSRC2:TGID_Z_EN: 0
; COMPUTE_PGM_RSRC2:TIDIG_COMP_CNT: 0
	.section	.text._ZN2at6native12_GLOBAL__N_125multi_tensor_apply_kernelINS1_28TensorListScalarListMetadataIN3c107complexIfEELi1EEENS1_25BinaryOpScalarListFunctorIS6_Li1ELi1ELi0EEEJSt4plusIS6_EEEEvT_T0_DpT1_,"axG",@progbits,_ZN2at6native12_GLOBAL__N_125multi_tensor_apply_kernelINS1_28TensorListScalarListMetadataIN3c107complexIfEELi1EEENS1_25BinaryOpScalarListFunctorIS6_Li1ELi1ELi0EEEJSt4plusIS6_EEEEvT_T0_DpT1_,comdat
	.globl	_ZN2at6native12_GLOBAL__N_125multi_tensor_apply_kernelINS1_28TensorListScalarListMetadataIN3c107complexIfEELi1EEENS1_25BinaryOpScalarListFunctorIS6_Li1ELi1ELi0EEEJSt4plusIS6_EEEEvT_T0_DpT1_ ; -- Begin function _ZN2at6native12_GLOBAL__N_125multi_tensor_apply_kernelINS1_28TensorListScalarListMetadataIN3c107complexIfEELi1EEENS1_25BinaryOpScalarListFunctorIS6_Li1ELi1ELi0EEEJSt4plusIS6_EEEEvT_T0_DpT1_
	.p2align	8
	.type	_ZN2at6native12_GLOBAL__N_125multi_tensor_apply_kernelINS1_28TensorListScalarListMetadataIN3c107complexIfEELi1EEENS1_25BinaryOpScalarListFunctorIS6_Li1ELi1ELi0EEEJSt4plusIS6_EEEEvT_T0_DpT1_,@function
_ZN2at6native12_GLOBAL__N_125multi_tensor_apply_kernelINS1_28TensorListScalarListMetadataIN3c107complexIfEELi1EEENS1_25BinaryOpScalarListFunctorIS6_Li1ELi1ELi0EEEJSt4plusIS6_EEEEvT_T0_DpT1_: ; @_ZN2at6native12_GLOBAL__N_125multi_tensor_apply_kernelINS1_28TensorListScalarListMetadataIN3c107complexIfEELi1EEENS1_25BinaryOpScalarListFunctorIS6_Li1ELi1ELi0EEEJSt4plusIS6_EEEEvT_T0_DpT1_
; %bb.0:
	s_add_u32 s6, s6, s9
	s_addc_u32 s7, s7, 0
	s_setreg_b32 hwreg(HW_REG_FLAT_SCR_LO), s6
	s_setreg_b32 hwreg(HW_REG_FLAT_SCR_HI), s7
	s_add_u32 s0, s0, s9
	v_mov_b32_e32 v1, 0x800
	s_addc_u32 s1, s1, 0
	s_add_u32 s6, s4, s8
	s_addc_u32 s7, s5, 0
	s_mov_b32 s9, 0
	global_load_ubyte v1, v1, s[6:7] offset:256
	s_lshl_b64 s[6:7], s[8:9], 2
	s_add_u32 s6, s4, s6
	s_addc_u32 s7, s5, s7
	s_load_dword s6, s[6:7], 0xa40
	s_waitcnt vmcnt(0)
	v_readfirstlane_b32 s8, v1
	s_lshl_b32 s7, s8, 3
	s_clause 0x2
	s_load_dwordx2 s[10:11], s[4:5], s7 offset:0x600
	s_load_dwordx2 s[12:13], s[4:5], s7 offset:0x0
	;; [unrolled: 1-line block ×3, first 2 shown]
	s_waitcnt lgkmcnt(0)
	s_ashr_i32 s7, s6, 31
	s_lshl_b64 s[14:15], s[6:7], 19
	s_add_u32 s24, s12, s14
	s_addc_u32 s25, s13, s15
	s_lshl_b64 s[6:7], s[6:7], 16
	s_and_b32 s8, s24, 31
	s_sub_u32 s16, s18, s6
	s_subb_u32 s17, s19, s7
	s_and_b32 s6, s18, 3
	s_mov_b32 s7, s9
	s_or_b64 s[6:7], s[8:9], s[6:7]
	s_cmp_eq_u64 s[6:7], 0
	s_cbranch_scc1 .LBB8_19
; %bb.1:
	v_cmp_lt_i64_e64 s6, s[16:17], 1
	s_and_b32 vcc_lo, exec_lo, s6
	s_cbranch_vccnz .LBB8_18
; %bb.2:
	s_load_dword s6, s[4:5], 0xf54
	v_cmp_gt_i64_e64 s7, 0x10000, s[16:17]
	s_mov_b64 s[8:9], src_private_base
	v_cmp_gt_u64_e64 s8, 0x10000, s[16:17]
	v_mov_b32_e32 v15, 0
	s_mov_b64 s[22:23], 0
	s_and_b32 s7, s7, exec_lo
	s_cselect_b32 s19, s17, 0
	s_cselect_b32 s18, s16, 0x10000
	s_waitcnt lgkmcnt(0)
	s_and_b32 s26, s6, 0xffff
	s_and_b32 s6, s8, exec_lo
	s_cselect_b32 s21, s17, 0
	s_cselect_b32 s20, s16, 0x10000
	s_lshl_b32 s27, s26, 1
	s_mul_i32 s28, s26, 3
	s_lshl_b32 s29, s26, 2
	s_branch .LBB8_4
.LBB8_3:                                ;   in Loop: Header=BB8_4 Depth=1
	s_or_b32 exec_lo, exec_lo, s6
	s_add_u32 s22, s22, s29
	s_addc_u32 s23, s23, 0
	v_cmp_lt_i64_e64 s6, s[22:23], s[18:19]
	s_and_b32 vcc_lo, exec_lo, s6
	s_cbranch_vccz .LBB8_18
.LBB8_4:                                ; =>This Inner Loop Header: Depth=1
	v_add_co_u32 v11, s6, s22, v0
	v_add_co_ci_u32_e64 v12, null, s23, 0, s6
	v_mov_b32_e32 v4, 0
	v_mov_b32_e32 v3, 0
	v_cmp_gt_u64_e32 vcc_lo, s[20:21], v[11:12]
	v_lshlrev_b64 v[1:2], 3, v[11:12]
	s_and_saveexec_b32 s7, vcc_lo
	s_cbranch_execz .LBB8_6
; %bb.5:                                ;   in Loop: Header=BB8_4 Depth=1
	v_add_co_u32 v3, s6, s24, v1
	v_add_co_ci_u32_e64 v4, null, s25, v2, s6
	global_load_dwordx2 v[3:4], v[3:4], off
.LBB8_6:                                ;   in Loop: Header=BB8_4 Depth=1
	s_or_b32 exec_lo, exec_lo, s7
	v_add_co_u32 v5, s6, v11, s26
	v_add_co_ci_u32_e64 v6, null, 0, v12, s6
	v_mov_b32_e32 v8, 0
	v_mov_b32_e32 v7, 0
	v_cmp_gt_u64_e64 s6, s[20:21], v[5:6]
	v_lshlrev_b64 v[5:6], 3, v[5:6]
	s_and_saveexec_b32 s8, s6
	s_cbranch_execz .LBB8_8
; %bb.7:                                ;   in Loop: Header=BB8_4 Depth=1
	v_add_co_u32 v7, s7, s24, v5
	v_add_co_ci_u32_e64 v8, null, s25, v6, s7
	global_load_dwordx2 v[7:8], v[7:8], off
.LBB8_8:                                ;   in Loop: Header=BB8_4 Depth=1
	s_or_b32 exec_lo, exec_lo, s8
	v_add_co_u32 v9, s7, v11, s27
	v_add_co_ci_u32_e64 v10, null, 0, v12, s7
	v_mov_b32_e32 v13, 0
	v_mov_b32_e32 v14, 0
	v_cmp_gt_u64_e64 s7, s[20:21], v[9:10]
	v_lshlrev_b64 v[9:10], 3, v[9:10]
	s_and_saveexec_b32 s30, s7
	s_cbranch_execz .LBB8_10
; %bb.9:                                ;   in Loop: Header=BB8_4 Depth=1
	v_add_co_u32 v13, s8, s24, v9
	v_add_co_ci_u32_e64 v14, null, s25, v10, s8
	global_load_dwordx2 v[13:14], v[13:14], off
.LBB8_10:                               ;   in Loop: Header=BB8_4 Depth=1
	s_or_b32 exec_lo, exec_lo, s30
	v_add_co_u32 v16, s8, v11, s28
	v_add_co_ci_u32_e64 v17, null, 0, v12, s8
	buffer_store_dword v15, off, s[0:3], 0
	buffer_store_dword v15, off, s[0:3], 0 offset:4
	v_lshlrev_b64 v[11:12], 3, v[16:17]
	v_add_co_u32 v11, s8, s24, v11
	v_add_co_ci_u32_e64 v12, null, s25, v12, s8
	v_cmp_gt_u64_e64 s8, s[20:21], v[16:17]
	v_cndmask_b32_e64 v17, s9, v12, s8
	v_cndmask_b32_e64 v16, 0, v11, s8
	flat_load_dwordx2 v[16:17], v[16:17]
	s_waitcnt vmcnt(0) lgkmcnt(0)
	v_add_f32_e32 v16, s10, v16
	v_add_f32_e32 v17, s11, v17
	buffer_store_dword v16, off, s[0:3], 0
	buffer_store_dword v17, off, s[0:3], 0 offset:4
	s_and_saveexec_b32 s30, vcc_lo
	s_cbranch_execnz .LBB8_14
; %bb.11:                               ;   in Loop: Header=BB8_4 Depth=1
	s_or_b32 exec_lo, exec_lo, s30
	s_and_saveexec_b32 s30, s6
	s_cbranch_execnz .LBB8_15
.LBB8_12:                               ;   in Loop: Header=BB8_4 Depth=1
	s_or_b32 exec_lo, exec_lo, s30
	s_and_saveexec_b32 s6, s7
	s_cbranch_execnz .LBB8_16
.LBB8_13:                               ;   in Loop: Header=BB8_4 Depth=1
	s_or_b32 exec_lo, exec_lo, s6
	s_and_saveexec_b32 s6, s8
	s_cbranch_execz .LBB8_3
	s_branch .LBB8_17
.LBB8_14:                               ;   in Loop: Header=BB8_4 Depth=1
	v_add_co_u32 v1, vcc_lo, s24, v1
	v_add_co_ci_u32_e64 v2, null, s25, v2, vcc_lo
	v_add_f32_e32 v3, s10, v3
	v_add_f32_e32 v4, s11, v4
	global_store_dwordx2 v[1:2], v[3:4], off
	s_or_b32 exec_lo, exec_lo, s30
	s_and_saveexec_b32 s30, s6
	s_cbranch_execz .LBB8_12
.LBB8_15:                               ;   in Loop: Header=BB8_4 Depth=1
	v_add_co_u32 v3, vcc_lo, s24, v5
	v_add_f32_e32 v1, s10, v7
	v_add_f32_e32 v2, s11, v8
	v_add_co_ci_u32_e64 v4, null, s25, v6, vcc_lo
	global_store_dwordx2 v[3:4], v[1:2], off
	s_or_b32 exec_lo, exec_lo, s30
	s_and_saveexec_b32 s6, s7
	s_cbranch_execz .LBB8_13
.LBB8_16:                               ;   in Loop: Header=BB8_4 Depth=1
	v_add_co_u32 v3, vcc_lo, s24, v9
	v_add_f32_e32 v1, s10, v13
	v_add_f32_e32 v2, s11, v14
	v_add_co_ci_u32_e64 v4, null, s25, v10, vcc_lo
	global_store_dwordx2 v[3:4], v[1:2], off
	s_or_b32 exec_lo, exec_lo, s6
	s_and_saveexec_b32 s6, s8
	s_cbranch_execz .LBB8_3
.LBB8_17:                               ;   in Loop: Header=BB8_4 Depth=1
	s_clause 0x1
	buffer_load_dword v1, off, s[0:3], 0
	buffer_load_dword v2, off, s[0:3], 0 offset:4
	s_waitcnt vmcnt(0)
	global_store_dwordx2 v[11:12], v[1:2], off
	s_branch .LBB8_3
.LBB8_18:
	s_cbranch_execz .LBB8_20
	s_branch .LBB8_23
.LBB8_19:
.LBB8_20:
	v_cmp_gt_i64_e64 s6, 0x10000, s[16:17]
	v_mov_b32_e32 v2, 0
	v_lshlrev_b32_e32 v1, 2, v0
	s_mov_b32 s8, 0
	s_mov_b32 s9, exec_lo
	s_and_b32 s6, s6, exec_lo
	s_cselect_b32 s7, s17, 0
	s_cselect_b32 s6, s16, 0x10000
	v_cmpx_gt_i64_e64 s[6:7], v[1:2]
	s_cbranch_execz .LBB8_23
; %bb.21:
	s_load_dword s4, s[4:5], 0xf54
	v_mov_b32_e32 v1, v2
	v_lshlrev_b32_e32 v2, 5, v0
	s_waitcnt lgkmcnt(0)
	s_and_b32 s5, s4, 0xffff
	s_add_u32 s4, s12, s14
	s_addc_u32 s9, s13, s15
	v_add_co_u32 v2, s4, s4, v2
	v_add_co_ci_u32_e64 v3, null, s9, 0, s4
	s_lshl_b32 s9, s5, 5
	s_inst_prefetch 0x1
	.p2align	6
.LBB8_22:                               ; =>This Inner Loop Header: Depth=1
	s_clause 0x1
	global_load_dwordx4 v[4:7], v[2:3], off
	global_load_dwordx4 v[8:11], v[2:3], off offset:16
	v_add_co_u32 v0, vcc_lo, v0, s5
	v_add_co_ci_u32_e64 v1, null, 0, v1, vcc_lo
	v_lshlrev_b64 v[12:13], 2, v[0:1]
	v_cmp_le_i64_e32 vcc_lo, s[6:7], v[12:13]
	s_or_b32 s8, vcc_lo, s8
	s_waitcnt vmcnt(1)
	v_add_f32_e32 v4, s10, v4
	v_add_f32_e32 v5, s11, v5
	;; [unrolled: 1-line block ×4, first 2 shown]
	s_waitcnt vmcnt(0)
	v_add_f32_e32 v8, s10, v8
	v_add_f32_e32 v9, s11, v9
	;; [unrolled: 1-line block ×4, first 2 shown]
	global_store_dwordx4 v[2:3], v[4:7], off
	global_store_dwordx4 v[2:3], v[8:11], off offset:16
	v_add_co_u32 v2, s4, v2, s9
	v_add_co_ci_u32_e64 v3, null, 0, v3, s4
	buffer_store_dword v10, off, s[0:3], 0
	buffer_store_dword v11, off, s[0:3], 0 offset:4
	s_andn2_b32 exec_lo, exec_lo, s8
	s_cbranch_execnz .LBB8_22
.LBB8_23:
	s_inst_prefetch 0x2
	s_endpgm
	.section	.rodata,"a",@progbits
	.p2align	6, 0x0
	.amdhsa_kernel _ZN2at6native12_GLOBAL__N_125multi_tensor_apply_kernelINS1_28TensorListScalarListMetadataIN3c107complexIfEELi1EEENS1_25BinaryOpScalarListFunctorIS6_Li1ELi1ELi0EEEJSt4plusIS6_EEEEvT_T0_DpT1_
		.amdhsa_group_segment_fixed_size 0
		.amdhsa_private_segment_fixed_size 16
		.amdhsa_kernarg_size 4168
		.amdhsa_user_sgpr_count 8
		.amdhsa_user_sgpr_private_segment_buffer 1
		.amdhsa_user_sgpr_dispatch_ptr 0
		.amdhsa_user_sgpr_queue_ptr 0
		.amdhsa_user_sgpr_kernarg_segment_ptr 1
		.amdhsa_user_sgpr_dispatch_id 0
		.amdhsa_user_sgpr_flat_scratch_init 1
		.amdhsa_user_sgpr_private_segment_size 0
		.amdhsa_wavefront_size32 1
		.amdhsa_uses_dynamic_stack 0
		.amdhsa_system_sgpr_private_segment_wavefront_offset 1
		.amdhsa_system_sgpr_workgroup_id_x 1
		.amdhsa_system_sgpr_workgroup_id_y 0
		.amdhsa_system_sgpr_workgroup_id_z 0
		.amdhsa_system_sgpr_workgroup_info 0
		.amdhsa_system_vgpr_workitem_id 0
		.amdhsa_next_free_vgpr 18
		.amdhsa_next_free_sgpr 31
		.amdhsa_reserve_vcc 1
		.amdhsa_reserve_flat_scratch 1
		.amdhsa_float_round_mode_32 0
		.amdhsa_float_round_mode_16_64 0
		.amdhsa_float_denorm_mode_32 3
		.amdhsa_float_denorm_mode_16_64 3
		.amdhsa_dx10_clamp 1
		.amdhsa_ieee_mode 1
		.amdhsa_fp16_overflow 0
		.amdhsa_workgroup_processor_mode 1
		.amdhsa_memory_ordered 1
		.amdhsa_forward_progress 1
		.amdhsa_shared_vgpr_count 0
		.amdhsa_exception_fp_ieee_invalid_op 0
		.amdhsa_exception_fp_denorm_src 0
		.amdhsa_exception_fp_ieee_div_zero 0
		.amdhsa_exception_fp_ieee_overflow 0
		.amdhsa_exception_fp_ieee_underflow 0
		.amdhsa_exception_fp_ieee_inexact 0
		.amdhsa_exception_int_div_zero 0
	.end_amdhsa_kernel
	.section	.text._ZN2at6native12_GLOBAL__N_125multi_tensor_apply_kernelINS1_28TensorListScalarListMetadataIN3c107complexIfEELi1EEENS1_25BinaryOpScalarListFunctorIS6_Li1ELi1ELi0EEEJSt4plusIS6_EEEEvT_T0_DpT1_,"axG",@progbits,_ZN2at6native12_GLOBAL__N_125multi_tensor_apply_kernelINS1_28TensorListScalarListMetadataIN3c107complexIfEELi1EEENS1_25BinaryOpScalarListFunctorIS6_Li1ELi1ELi0EEEJSt4plusIS6_EEEEvT_T0_DpT1_,comdat
.Lfunc_end8:
	.size	_ZN2at6native12_GLOBAL__N_125multi_tensor_apply_kernelINS1_28TensorListScalarListMetadataIN3c107complexIfEELi1EEENS1_25BinaryOpScalarListFunctorIS6_Li1ELi1ELi0EEEJSt4plusIS6_EEEEvT_T0_DpT1_, .Lfunc_end8-_ZN2at6native12_GLOBAL__N_125multi_tensor_apply_kernelINS1_28TensorListScalarListMetadataIN3c107complexIfEELi1EEENS1_25BinaryOpScalarListFunctorIS6_Li1ELi1ELi0EEEJSt4plusIS6_EEEEvT_T0_DpT1_
                                        ; -- End function
	.set _ZN2at6native12_GLOBAL__N_125multi_tensor_apply_kernelINS1_28TensorListScalarListMetadataIN3c107complexIfEELi1EEENS1_25BinaryOpScalarListFunctorIS6_Li1ELi1ELi0EEEJSt4plusIS6_EEEEvT_T0_DpT1_.num_vgpr, 18
	.set _ZN2at6native12_GLOBAL__N_125multi_tensor_apply_kernelINS1_28TensorListScalarListMetadataIN3c107complexIfEELi1EEENS1_25BinaryOpScalarListFunctorIS6_Li1ELi1ELi0EEEJSt4plusIS6_EEEEvT_T0_DpT1_.num_agpr, 0
	.set _ZN2at6native12_GLOBAL__N_125multi_tensor_apply_kernelINS1_28TensorListScalarListMetadataIN3c107complexIfEELi1EEENS1_25BinaryOpScalarListFunctorIS6_Li1ELi1ELi0EEEJSt4plusIS6_EEEEvT_T0_DpT1_.numbered_sgpr, 31
	.set _ZN2at6native12_GLOBAL__N_125multi_tensor_apply_kernelINS1_28TensorListScalarListMetadataIN3c107complexIfEELi1EEENS1_25BinaryOpScalarListFunctorIS6_Li1ELi1ELi0EEEJSt4plusIS6_EEEEvT_T0_DpT1_.num_named_barrier, 0
	.set _ZN2at6native12_GLOBAL__N_125multi_tensor_apply_kernelINS1_28TensorListScalarListMetadataIN3c107complexIfEELi1EEENS1_25BinaryOpScalarListFunctorIS6_Li1ELi1ELi0EEEJSt4plusIS6_EEEEvT_T0_DpT1_.private_seg_size, 16
	.set _ZN2at6native12_GLOBAL__N_125multi_tensor_apply_kernelINS1_28TensorListScalarListMetadataIN3c107complexIfEELi1EEENS1_25BinaryOpScalarListFunctorIS6_Li1ELi1ELi0EEEJSt4plusIS6_EEEEvT_T0_DpT1_.uses_vcc, 1
	.set _ZN2at6native12_GLOBAL__N_125multi_tensor_apply_kernelINS1_28TensorListScalarListMetadataIN3c107complexIfEELi1EEENS1_25BinaryOpScalarListFunctorIS6_Li1ELi1ELi0EEEJSt4plusIS6_EEEEvT_T0_DpT1_.uses_flat_scratch, 1
	.set _ZN2at6native12_GLOBAL__N_125multi_tensor_apply_kernelINS1_28TensorListScalarListMetadataIN3c107complexIfEELi1EEENS1_25BinaryOpScalarListFunctorIS6_Li1ELi1ELi0EEEJSt4plusIS6_EEEEvT_T0_DpT1_.has_dyn_sized_stack, 0
	.set _ZN2at6native12_GLOBAL__N_125multi_tensor_apply_kernelINS1_28TensorListScalarListMetadataIN3c107complexIfEELi1EEENS1_25BinaryOpScalarListFunctorIS6_Li1ELi1ELi0EEEJSt4plusIS6_EEEEvT_T0_DpT1_.has_recursion, 0
	.set _ZN2at6native12_GLOBAL__N_125multi_tensor_apply_kernelINS1_28TensorListScalarListMetadataIN3c107complexIfEELi1EEENS1_25BinaryOpScalarListFunctorIS6_Li1ELi1ELi0EEEJSt4plusIS6_EEEEvT_T0_DpT1_.has_indirect_call, 0
	.section	.AMDGPU.csdata,"",@progbits
; Kernel info:
; codeLenInByte = 1180
; TotalNumSgprs: 33
; NumVgprs: 18
; ScratchSize: 16
; MemoryBound: 0
; FloatMode: 240
; IeeeMode: 1
; LDSByteSize: 0 bytes/workgroup (compile time only)
; SGPRBlocks: 0
; VGPRBlocks: 2
; NumSGPRsForWavesPerEU: 33
; NumVGPRsForWavesPerEU: 18
; Occupancy: 16
; WaveLimiterHint : 1
; COMPUTE_PGM_RSRC2:SCRATCH_EN: 1
; COMPUTE_PGM_RSRC2:USER_SGPR: 8
; COMPUTE_PGM_RSRC2:TRAP_HANDLER: 0
; COMPUTE_PGM_RSRC2:TGID_X_EN: 1
; COMPUTE_PGM_RSRC2:TGID_Y_EN: 0
; COMPUTE_PGM_RSRC2:TGID_Z_EN: 0
; COMPUTE_PGM_RSRC2:TIDIG_COMP_CNT: 0
	.section	.text._ZN2at6native12_GLOBAL__N_125multi_tensor_apply_kernelINS1_28TensorListScalarListMetadataIbLi1EEENS1_25BinaryOpScalarListFunctorIbLi1ELi1ELi0EEEJSt4plusIbEEEEvT_T0_DpT1_,"axG",@progbits,_ZN2at6native12_GLOBAL__N_125multi_tensor_apply_kernelINS1_28TensorListScalarListMetadataIbLi1EEENS1_25BinaryOpScalarListFunctorIbLi1ELi1ELi0EEEJSt4plusIbEEEEvT_T0_DpT1_,comdat
	.globl	_ZN2at6native12_GLOBAL__N_125multi_tensor_apply_kernelINS1_28TensorListScalarListMetadataIbLi1EEENS1_25BinaryOpScalarListFunctorIbLi1ELi1ELi0EEEJSt4plusIbEEEEvT_T0_DpT1_ ; -- Begin function _ZN2at6native12_GLOBAL__N_125multi_tensor_apply_kernelINS1_28TensorListScalarListMetadataIbLi1EEENS1_25BinaryOpScalarListFunctorIbLi1ELi1ELi0EEEJSt4plusIbEEEEvT_T0_DpT1_
	.p2align	8
	.type	_ZN2at6native12_GLOBAL__N_125multi_tensor_apply_kernelINS1_28TensorListScalarListMetadataIbLi1EEENS1_25BinaryOpScalarListFunctorIbLi1ELi1ELi0EEEJSt4plusIbEEEEvT_T0_DpT1_,@function
_ZN2at6native12_GLOBAL__N_125multi_tensor_apply_kernelINS1_28TensorListScalarListMetadataIbLi1EEENS1_25BinaryOpScalarListFunctorIbLi1ELi1ELi0EEEJSt4plusIbEEEEvT_T0_DpT1_: ; @_ZN2at6native12_GLOBAL__N_125multi_tensor_apply_kernelINS1_28TensorListScalarListMetadataIbLi1EEENS1_25BinaryOpScalarListFunctorIbLi1ELi1ELi0EEEJSt4plusIbEEEEvT_T0_DpT1_
; %bb.0:
	v_mov_b32_e32 v1, s6
	s_mul_i32 s2, s6, 3
	s_mul_hi_u32 s3, s6, 3
	global_load_ubyte v3, v1, s[4:5] offset:1632
	s_waitcnt vmcnt(0)
	v_add_co_u32 v1, s0, s4, v3
	v_add_co_ci_u32_e64 v2, null, s5, 0, s0
	s_add_u32 s0, s4, s6
	s_addc_u32 s1, s5, 0
	s_add_u32 s0, s0, s2
	global_load_ubyte v4, v[1:2], off offset:1536
	v_readfirstlane_b32 s2, v3
	s_addc_u32 s1, s1, s3
	s_load_dword s0, s[0:1], 0x7a0
	s_lshl_b32 s1, s2, 3
	s_clause 0x1
	s_load_dwordx2 s[2:3], s[4:5], s1 offset:0x300
	s_load_dwordx2 s[6:7], s[4:5], s1 offset:0x0
	s_waitcnt lgkmcnt(0)
	s_ashr_i32 s1, s0, 31
	s_lshl_b64 s[8:9], s[0:1], 16
	s_sub_u32 s10, s2, s8
	s_subb_u32 s11, s3, s9
	s_or_b32 s0, s2, s6
	s_and_b32 s0, s0, 3
	s_cmp_eq_u32 s0, 0
	s_cbranch_scc1 .LBB9_21
; %bb.1:
	v_cmp_lt_i64_e64 s0, s[10:11], 1
	s_and_b32 vcc_lo, exec_lo, s0
	s_cbranch_vccnz .LBB9_20
; %bb.2:
	s_load_dword s0, s[4:5], 0xcb4
	v_cmp_gt_i64_e64 s1, 0x10000, s[10:11]
	v_add_co_u32 v12, s2, s8, v0
	v_add_co_ci_u32_e64 v13, null, s9, 0, s2
	v_cmp_gt_u64_e64 s2, 0x10000, s[10:11]
	s_and_b32 s1, s1, exec_lo
	s_cselect_b32 s13, s11, 0
	s_cselect_b32 s12, s10, 0x10000
	v_add_co_u32 v1, vcc_lo, s6, v12
	v_add_co_ci_u32_e64 v2, null, s7, v13, vcc_lo
	s_waitcnt lgkmcnt(0)
	s_and_b32 s0, s0, 0xffff
	s_and_b32 s1, s2, exec_lo
	s_mul_i32 s2, s0, 3
	s_cselect_b32 s15, s11, 0
	s_cselect_b32 s14, s10, 0x10000
	s_lshl_b32 s1, s0, 1
	s_lshl_b32 s18, s0, 2
	s_add_u32 s3, s8, s2
	s_addc_u32 s16, s9, 0
	s_add_u32 s3, s6, s3
	v_add_co_u32 v6, s2, s2, v0
	s_addc_u32 s16, s7, s16
	v_add_co_u32 v3, s3, s3, v0
	v_add_co_ci_u32_e64 v7, null, 0, 0, s2
	s_add_u32 s2, s8, s1
	v_add_co_ci_u32_e64 v5, null, s16, 0, s3
	s_addc_u32 s3, s9, 0
	s_add_u32 s2, s6, s2
	v_add_co_u32 v10, s1, s1, v0
	s_addc_u32 s3, s7, s3
	v_add_co_u32 v8, s2, s2, v0
	v_add_co_ci_u32_e64 v11, null, 0, 0, s1
	s_add_u32 s1, s6, s0
	v_add_co_ci_u32_e64 v9, null, s3, 0, s2
	s_addc_u32 s2, s7, 0
	v_add_co_u32 v12, vcc_lo, s1, v12
	v_add_co_u32 v14, s0, v0, s0
	v_add_co_ci_u32_e64 v13, null, s2, v13, vcc_lo
	v_add_co_ci_u32_e64 v15, null, 0, 0, s0
	s_mov_b64 s[16:17], 0
	s_branch .LBB9_4
.LBB9_3:                                ;   in Loop: Header=BB9_4 Depth=1
	s_or_b32 exec_lo, exec_lo, s0
	s_add_u32 s16, s16, s18
	s_addc_u32 s17, s17, 0
	v_cmp_lt_i64_e64 s0, s[16:17], s[12:13]
	s_and_b32 vcc_lo, exec_lo, s0
	s_cbranch_vccz .LBB9_20
.LBB9_4:                                ; =>This Inner Loop Header: Depth=1
	s_waitcnt vmcnt(0)
	v_add_co_u32 v16, s0, v0, s16
	v_add_co_ci_u32_e64 v17, null, 0, s17, s0
	v_cmp_gt_u64_e32 vcc_lo, s[14:15], v[16:17]
	v_mov_b32_e32 v17, 0
	s_and_saveexec_b32 s1, vcc_lo
	s_cbranch_execz .LBB9_6
; %bb.5:                                ;   in Loop: Header=BB9_4 Depth=1
	v_add_co_u32 v16, s0, v1, s16
	v_add_co_ci_u32_e64 v17, null, s17, v2, s0
	global_load_ubyte v17, v[16:17], off
.LBB9_6:                                ;   in Loop: Header=BB9_4 Depth=1
	s_or_b32 exec_lo, exec_lo, s1
	v_add_co_u32 v18, s0, v14, s16
	v_add_co_ci_u32_e64 v19, null, s17, v15, s0
	v_mov_b32_e32 v16, 0
	v_cmp_gt_u64_e64 s0, s[14:15], v[18:19]
	v_mov_b32_e32 v18, 0
	s_and_saveexec_b32 s2, s0
	s_cbranch_execz .LBB9_8
; %bb.7:                                ;   in Loop: Header=BB9_4 Depth=1
	v_add_co_u32 v18, s1, v12, s16
	v_add_co_ci_u32_e64 v19, null, s17, v13, s1
	global_load_ubyte v18, v[18:19], off
.LBB9_8:                                ;   in Loop: Header=BB9_4 Depth=1
	s_or_b32 exec_lo, exec_lo, s2
	v_add_co_u32 v19, s1, v10, s16
	v_add_co_ci_u32_e64 v20, null, s17, v11, s1
	v_cmp_gt_u64_e64 s1, s[14:15], v[19:20]
	s_and_saveexec_b32 s3, s1
	s_cbranch_execz .LBB9_10
; %bb.9:                                ;   in Loop: Header=BB9_4 Depth=1
	v_add_co_u32 v19, s2, v8, s16
	v_add_co_ci_u32_e64 v20, null, s17, v9, s2
	global_load_ubyte v16, v[19:20], off
.LBB9_10:                               ;   in Loop: Header=BB9_4 Depth=1
	s_or_b32 exec_lo, exec_lo, s3
	v_add_co_u32 v19, s2, v6, s16
	v_add_co_ci_u32_e64 v20, null, s17, v7, s2
	v_cmp_gt_u64_e64 s2, s[14:15], v[19:20]
	v_mov_b32_e32 v19, 0
	s_and_saveexec_b32 s19, s2
	s_cbranch_execnz .LBB9_15
; %bb.11:                               ;   in Loop: Header=BB9_4 Depth=1
	s_or_b32 exec_lo, exec_lo, s19
	s_and_saveexec_b32 s3, vcc_lo
	s_cbranch_execnz .LBB9_16
.LBB9_12:                               ;   in Loop: Header=BB9_4 Depth=1
	s_or_b32 exec_lo, exec_lo, s3
	s_and_saveexec_b32 s3, s0
	s_cbranch_execnz .LBB9_17
.LBB9_13:                               ;   in Loop: Header=BB9_4 Depth=1
	s_or_b32 exec_lo, exec_lo, s3
	s_and_saveexec_b32 s0, s1
	s_cbranch_execnz .LBB9_18
.LBB9_14:                               ;   in Loop: Header=BB9_4 Depth=1
	s_or_b32 exec_lo, exec_lo, s0
	s_and_saveexec_b32 s0, s2
	s_cbranch_execz .LBB9_3
	s_branch .LBB9_19
.LBB9_15:                               ;   in Loop: Header=BB9_4 Depth=1
	v_add_co_u32 v19, s3, v3, s16
	v_add_co_ci_u32_e64 v20, null, s17, v5, s3
	global_load_ubyte v19, v[19:20], off
	s_or_b32 exec_lo, exec_lo, s19
	s_and_saveexec_b32 s3, vcc_lo
	s_cbranch_execz .LBB9_12
.LBB9_16:                               ;   in Loop: Header=BB9_4 Depth=1
	v_add_co_u32 v20, vcc_lo, v1, s16
	s_waitcnt vmcnt(0)
	v_or_b32_e32 v17, v17, v4
	v_add_co_ci_u32_e64 v21, null, s17, v2, vcc_lo
	global_store_byte v[20:21], v17, off
	s_or_b32 exec_lo, exec_lo, s3
	s_and_saveexec_b32 s3, s0
	s_cbranch_execz .LBB9_13
.LBB9_17:                               ;   in Loop: Header=BB9_4 Depth=1
	s_waitcnt vmcnt(0)
	v_add_co_u32 v17, vcc_lo, v12, s16
	v_or_b32_e32 v20, v18, v4
	v_add_co_ci_u32_e64 v18, null, s17, v13, vcc_lo
	global_store_byte v[17:18], v20, off
	s_or_b32 exec_lo, exec_lo, s3
	s_and_saveexec_b32 s0, s1
	s_cbranch_execz .LBB9_14
.LBB9_18:                               ;   in Loop: Header=BB9_4 Depth=1
	s_waitcnt vmcnt(0)
	v_or_b32_e32 v18, v16, v4
	v_add_co_u32 v16, vcc_lo, v8, s16
	v_add_co_ci_u32_e64 v17, null, s17, v9, vcc_lo
	global_store_byte v[16:17], v18, off
	s_or_b32 exec_lo, exec_lo, s0
	s_and_saveexec_b32 s0, s2
	s_cbranch_execz .LBB9_3
.LBB9_19:                               ;   in Loop: Header=BB9_4 Depth=1
	s_waitcnt vmcnt(0)
	v_add_co_u32 v16, vcc_lo, v3, s16
	v_or_b32_e32 v18, v19, v4
	v_add_co_ci_u32_e64 v17, null, s17, v5, vcc_lo
	global_store_byte v[16:17], v18, off
	s_branch .LBB9_3
.LBB9_20:
	s_cbranch_execz .LBB9_22
	s_branch .LBB9_25
.LBB9_21:
.LBB9_22:
	v_cmp_gt_i64_e64 s0, 0x10000, s[10:11]
	v_mov_b32_e32 v3, 0
	v_lshlrev_b32_e32 v2, 2, v0
	s_mov_b32 s1, 0
	s_and_b32 s0, s0, exec_lo
	s_cselect_b32 s3, s11, 0
	s_cselect_b32 s2, s10, 0x10000
	s_mov_b32 s0, exec_lo
	v_cmpx_gt_i64_e64 s[2:3], v[2:3]
	s_cbranch_execz .LBB9_25
; %bb.23:
	s_load_dword s0, s[4:5], 0xcb4
	v_mov_b32_e32 v1, v3
	s_waitcnt lgkmcnt(0)
	s_and_b32 s4, s0, 0xffff
	s_add_u32 s0, s6, s8
	s_addc_u32 s5, s7, s9
	v_add_co_u32 v2, s0, s0, v2
	v_add_co_ci_u32_e64 v3, null, s5, 0, s0
	s_lshl_b32 s5, s4, 2
	.p2align	6
.LBB9_24:                               ; =>This Inner Loop Header: Depth=1
	global_load_dword v5, v[2:3], off
	v_add_co_u32 v0, vcc_lo, v0, s4
	v_add_co_ci_u32_e64 v1, null, 0, v1, vcc_lo
	s_waitcnt vmcnt(0)
	v_lshrrev_b32_e32 v6, 8, v5
	v_or_b32_e32 v7, v4, v5
	v_or_b32_sdwa v8, v4, v5 dst_sel:DWORD dst_unused:UNUSED_PAD src0_sel:DWORD src1_sel:WORD_1
	v_or_b32_sdwa v5, v4, v5 dst_sel:BYTE_1 dst_unused:UNUSED_PAD src0_sel:DWORD src1_sel:BYTE_3
	v_or_b32_sdwa v6, v4, v6 dst_sel:BYTE_1 dst_unused:UNUSED_PAD src0_sel:DWORD src1_sel:DWORD
	v_or_b32_sdwa v8, v8, v5 dst_sel:WORD_1 dst_unused:UNUSED_PAD src0_sel:BYTE_0 src1_sel:DWORD
	v_or_b32_sdwa v7, v7, v6 dst_sel:DWORD dst_unused:UNUSED_PAD src0_sel:BYTE_0 src1_sel:DWORD
	v_lshlrev_b64 v[5:6], 2, v[0:1]
	v_or_b32_sdwa v7, v7, v8 dst_sel:DWORD dst_unused:UNUSED_PAD src0_sel:WORD_0 src1_sel:DWORD
	v_cmp_le_i64_e32 vcc_lo, s[2:3], v[5:6]
	global_store_dword v[2:3], v7, off
	v_add_co_u32 v2, s0, v2, s5
	v_add_co_ci_u32_e64 v3, null, 0, v3, s0
	s_or_b32 s1, vcc_lo, s1
	s_andn2_b32 exec_lo, exec_lo, s1
	s_cbranch_execnz .LBB9_24
.LBB9_25:
	s_endpgm
	.section	.rodata,"a",@progbits
	.p2align	6, 0x0
	.amdhsa_kernel _ZN2at6native12_GLOBAL__N_125multi_tensor_apply_kernelINS1_28TensorListScalarListMetadataIbLi1EEENS1_25BinaryOpScalarListFunctorIbLi1ELi1ELi0EEEJSt4plusIbEEEEvT_T0_DpT1_
		.amdhsa_group_segment_fixed_size 0
		.amdhsa_private_segment_fixed_size 0
		.amdhsa_kernarg_size 3496
		.amdhsa_user_sgpr_count 6
		.amdhsa_user_sgpr_private_segment_buffer 1
		.amdhsa_user_sgpr_dispatch_ptr 0
		.amdhsa_user_sgpr_queue_ptr 0
		.amdhsa_user_sgpr_kernarg_segment_ptr 1
		.amdhsa_user_sgpr_dispatch_id 0
		.amdhsa_user_sgpr_flat_scratch_init 0
		.amdhsa_user_sgpr_private_segment_size 0
		.amdhsa_wavefront_size32 1
		.amdhsa_uses_dynamic_stack 0
		.amdhsa_system_sgpr_private_segment_wavefront_offset 0
		.amdhsa_system_sgpr_workgroup_id_x 1
		.amdhsa_system_sgpr_workgroup_id_y 0
		.amdhsa_system_sgpr_workgroup_id_z 0
		.amdhsa_system_sgpr_workgroup_info 0
		.amdhsa_system_vgpr_workitem_id 0
		.amdhsa_next_free_vgpr 22
		.amdhsa_next_free_sgpr 20
		.amdhsa_reserve_vcc 1
		.amdhsa_reserve_flat_scratch 0
		.amdhsa_float_round_mode_32 0
		.amdhsa_float_round_mode_16_64 0
		.amdhsa_float_denorm_mode_32 3
		.amdhsa_float_denorm_mode_16_64 3
		.amdhsa_dx10_clamp 1
		.amdhsa_ieee_mode 1
		.amdhsa_fp16_overflow 0
		.amdhsa_workgroup_processor_mode 1
		.amdhsa_memory_ordered 1
		.amdhsa_forward_progress 1
		.amdhsa_shared_vgpr_count 0
		.amdhsa_exception_fp_ieee_invalid_op 0
		.amdhsa_exception_fp_denorm_src 0
		.amdhsa_exception_fp_ieee_div_zero 0
		.amdhsa_exception_fp_ieee_overflow 0
		.amdhsa_exception_fp_ieee_underflow 0
		.amdhsa_exception_fp_ieee_inexact 0
		.amdhsa_exception_int_div_zero 0
	.end_amdhsa_kernel
	.section	.text._ZN2at6native12_GLOBAL__N_125multi_tensor_apply_kernelINS1_28TensorListScalarListMetadataIbLi1EEENS1_25BinaryOpScalarListFunctorIbLi1ELi1ELi0EEEJSt4plusIbEEEEvT_T0_DpT1_,"axG",@progbits,_ZN2at6native12_GLOBAL__N_125multi_tensor_apply_kernelINS1_28TensorListScalarListMetadataIbLi1EEENS1_25BinaryOpScalarListFunctorIbLi1ELi1ELi0EEEJSt4plusIbEEEEvT_T0_DpT1_,comdat
.Lfunc_end9:
	.size	_ZN2at6native12_GLOBAL__N_125multi_tensor_apply_kernelINS1_28TensorListScalarListMetadataIbLi1EEENS1_25BinaryOpScalarListFunctorIbLi1ELi1ELi0EEEJSt4plusIbEEEEvT_T0_DpT1_, .Lfunc_end9-_ZN2at6native12_GLOBAL__N_125multi_tensor_apply_kernelINS1_28TensorListScalarListMetadataIbLi1EEENS1_25BinaryOpScalarListFunctorIbLi1ELi1ELi0EEEJSt4plusIbEEEEvT_T0_DpT1_
                                        ; -- End function
	.set _ZN2at6native12_GLOBAL__N_125multi_tensor_apply_kernelINS1_28TensorListScalarListMetadataIbLi1EEENS1_25BinaryOpScalarListFunctorIbLi1ELi1ELi0EEEJSt4plusIbEEEEvT_T0_DpT1_.num_vgpr, 22
	.set _ZN2at6native12_GLOBAL__N_125multi_tensor_apply_kernelINS1_28TensorListScalarListMetadataIbLi1EEENS1_25BinaryOpScalarListFunctorIbLi1ELi1ELi0EEEJSt4plusIbEEEEvT_T0_DpT1_.num_agpr, 0
	.set _ZN2at6native12_GLOBAL__N_125multi_tensor_apply_kernelINS1_28TensorListScalarListMetadataIbLi1EEENS1_25BinaryOpScalarListFunctorIbLi1ELi1ELi0EEEJSt4plusIbEEEEvT_T0_DpT1_.numbered_sgpr, 20
	.set _ZN2at6native12_GLOBAL__N_125multi_tensor_apply_kernelINS1_28TensorListScalarListMetadataIbLi1EEENS1_25BinaryOpScalarListFunctorIbLi1ELi1ELi0EEEJSt4plusIbEEEEvT_T0_DpT1_.num_named_barrier, 0
	.set _ZN2at6native12_GLOBAL__N_125multi_tensor_apply_kernelINS1_28TensorListScalarListMetadataIbLi1EEENS1_25BinaryOpScalarListFunctorIbLi1ELi1ELi0EEEJSt4plusIbEEEEvT_T0_DpT1_.private_seg_size, 0
	.set _ZN2at6native12_GLOBAL__N_125multi_tensor_apply_kernelINS1_28TensorListScalarListMetadataIbLi1EEENS1_25BinaryOpScalarListFunctorIbLi1ELi1ELi0EEEJSt4plusIbEEEEvT_T0_DpT1_.uses_vcc, 1
	.set _ZN2at6native12_GLOBAL__N_125multi_tensor_apply_kernelINS1_28TensorListScalarListMetadataIbLi1EEENS1_25BinaryOpScalarListFunctorIbLi1ELi1ELi0EEEJSt4plusIbEEEEvT_T0_DpT1_.uses_flat_scratch, 0
	.set _ZN2at6native12_GLOBAL__N_125multi_tensor_apply_kernelINS1_28TensorListScalarListMetadataIbLi1EEENS1_25BinaryOpScalarListFunctorIbLi1ELi1ELi0EEEJSt4plusIbEEEEvT_T0_DpT1_.has_dyn_sized_stack, 0
	.set _ZN2at6native12_GLOBAL__N_125multi_tensor_apply_kernelINS1_28TensorListScalarListMetadataIbLi1EEENS1_25BinaryOpScalarListFunctorIbLi1ELi1ELi0EEEJSt4plusIbEEEEvT_T0_DpT1_.has_recursion, 0
	.set _ZN2at6native12_GLOBAL__N_125multi_tensor_apply_kernelINS1_28TensorListScalarListMetadataIbLi1EEENS1_25BinaryOpScalarListFunctorIbLi1ELi1ELi0EEEJSt4plusIbEEEEvT_T0_DpT1_.has_indirect_call, 0
	.section	.AMDGPU.csdata,"",@progbits
; Kernel info:
; codeLenInByte = 1224
; TotalNumSgprs: 22
; NumVgprs: 22
; ScratchSize: 0
; MemoryBound: 0
; FloatMode: 240
; IeeeMode: 1
; LDSByteSize: 0 bytes/workgroup (compile time only)
; SGPRBlocks: 0
; VGPRBlocks: 2
; NumSGPRsForWavesPerEU: 22
; NumVGPRsForWavesPerEU: 22
; Occupancy: 16
; WaveLimiterHint : 0
; COMPUTE_PGM_RSRC2:SCRATCH_EN: 0
; COMPUTE_PGM_RSRC2:USER_SGPR: 6
; COMPUTE_PGM_RSRC2:TRAP_HANDLER: 0
; COMPUTE_PGM_RSRC2:TGID_X_EN: 1
; COMPUTE_PGM_RSRC2:TGID_Y_EN: 0
; COMPUTE_PGM_RSRC2:TGID_Z_EN: 0
; COMPUTE_PGM_RSRC2:TIDIG_COMP_CNT: 0
	.section	.text._ZN2at6native12_GLOBAL__N_125multi_tensor_apply_kernelINS1_28TensorListScalarListMetadataIfLi1EEENS1_25BinaryOpScalarListFunctorIN3c104HalfELi1ELi1ELi0EEEJSt4plusIfEEEEvT_T0_DpT1_,"axG",@progbits,_ZN2at6native12_GLOBAL__N_125multi_tensor_apply_kernelINS1_28TensorListScalarListMetadataIfLi1EEENS1_25BinaryOpScalarListFunctorIN3c104HalfELi1ELi1ELi0EEEJSt4plusIfEEEEvT_T0_DpT1_,comdat
	.globl	_ZN2at6native12_GLOBAL__N_125multi_tensor_apply_kernelINS1_28TensorListScalarListMetadataIfLi1EEENS1_25BinaryOpScalarListFunctorIN3c104HalfELi1ELi1ELi0EEEJSt4plusIfEEEEvT_T0_DpT1_ ; -- Begin function _ZN2at6native12_GLOBAL__N_125multi_tensor_apply_kernelINS1_28TensorListScalarListMetadataIfLi1EEENS1_25BinaryOpScalarListFunctorIN3c104HalfELi1ELi1ELi0EEEJSt4plusIfEEEEvT_T0_DpT1_
	.p2align	8
	.type	_ZN2at6native12_GLOBAL__N_125multi_tensor_apply_kernelINS1_28TensorListScalarListMetadataIfLi1EEENS1_25BinaryOpScalarListFunctorIN3c104HalfELi1ELi1ELi0EEEJSt4plusIfEEEEvT_T0_DpT1_,@function
_ZN2at6native12_GLOBAL__N_125multi_tensor_apply_kernelINS1_28TensorListScalarListMetadataIfLi1EEENS1_25BinaryOpScalarListFunctorIN3c104HalfELi1ELi1ELi0EEEJSt4plusIfEEEEvT_T0_DpT1_: ; @_ZN2at6native12_GLOBAL__N_125multi_tensor_apply_kernelINS1_28TensorListScalarListMetadataIfLi1EEENS1_25BinaryOpScalarListFunctorIN3c104HalfELi1ELi1ELi0EEEJSt4plusIfEEEEvT_T0_DpT1_
; %bb.0:
	v_mov_b32_e32 v1, s6
	s_add_u32 s0, s4, s6
	s_mul_i32 s1, s6, 3
	s_mul_hi_u32 s2, s6, 3
	s_addc_u32 s3, s5, 0
	global_load_ubyte v1, v1, s[4:5] offset:1920
	s_add_u32 s0, s0, s1
	s_addc_u32 s1, s3, s2
	s_mov_b32 s13, 0
	s_load_dword s0, s[0:1], 0x8c0
	s_waitcnt vmcnt(0)
	v_readfirstlane_b32 s1, v1
	v_lshlrev_b32_e32 v1, 2, v1
	s_lshl_b32 s8, s1, 3
	v_sub_co_u32 v1, s1, 0, v1
	v_sub_co_ci_u32_e64 v2, null, 0, 0, s1
	s_waitcnt lgkmcnt(0)
	s_ashr_i32 s1, s0, 31
	s_clause 0x1
	s_load_dwordx2 s[2:3], s[4:5], s8 offset:0x300
	s_load_dwordx2 s[6:7], s[4:5], s8 offset:0x0
	s_add_u32 s8, s4, s8
	s_addc_u32 s9, s5, 0
	v_add_co_u32 v1, vcc_lo, s8, v1
	v_add_co_ci_u32_e64 v2, null, s9, v2, vcc_lo
	v_readfirstlane_b32 s8, v1
	v_readfirstlane_b32 s9, v2
	s_load_dword s18, s[8:9], 0x600
	s_lshl_b64 s[8:9], s[0:1], 17
	s_lshl_b64 s[0:1], s[0:1], 16
	s_waitcnt lgkmcnt(0)
	s_and_b32 s12, s6, 7
	s_sub_u32 s10, s2, s0
	s_subb_u32 s11, s3, s1
	s_and_b32 s0, s2, 3
	s_mov_b32 s1, s13
	s_or_b64 s[0:1], s[12:13], s[0:1]
	s_cmp_eq_u64 s[0:1], 0
	s_cbranch_scc1 .LBB10_21
; %bb.1:
	v_cmp_lt_i64_e64 s0, s[10:11], 1
	s_and_b32 vcc_lo, exec_lo, s0
	s_cbranch_vccnz .LBB10_20
; %bb.2:
	s_load_dword s0, s[4:5], 0xdd4
	v_cmp_gt_i64_e64 s1, 0x10000, s[10:11]
	v_cmp_gt_u64_e64 s2, 0x10000, s[10:11]
	v_lshlrev_b32_e32 v1, 1, v0
	s_and_b32 s1, s1, exec_lo
	s_cselect_b32 s13, s11, 0
	s_cselect_b32 s12, s10, 0x10000
	s_waitcnt lgkmcnt(0)
	s_and_b32 s0, s0, 0xffff
	s_and_b32 s1, s2, exec_lo
	v_add_co_u32 v5, s3, v0, s0
	s_cselect_b32 s15, s11, 0
	s_cselect_b32 s14, s10, 0x10000
	s_lshl_b32 s1, s0, 1
	v_lshlrev_b32_e32 v3, 1, v5
	s_mul_i32 s2, s0, 3
	s_lshl_b32 s19, s0, 2
	s_add_u32 s16, s6, s8
	v_add_co_u32 v6, s2, s2, v0
	v_add_co_u32 v9, s1, s1, v0
	s_addc_u32 s17, s7, s9
	v_add_co_ci_u32_e64 v7, null, 0, 0, s2
	v_add_co_u32 v1, s2, s16, v1
	v_add_co_ci_u32_e64 v10, null, 0, 0, s1
	v_add_co_u32 v3, s1, s16, v3
	v_add_co_ci_u32_e64 v2, null, s17, 0, s2
	v_add_co_ci_u32_e64 v8, null, 0, 0, s3
	;; [unrolled: 1-line block ×3, first 2 shown]
	s_lshl_b32 s20, s0, 3
	s_mul_i32 s21, s0, 6
	s_mov_b64 s[16:17], 0
	s_branch .LBB10_4
.LBB10_3:                               ;   in Loop: Header=BB10_4 Depth=1
	s_or_b32 exec_lo, exec_lo, s0
	s_add_u32 s16, s16, s19
	s_addc_u32 s17, s17, 0
	v_add_co_u32 v1, vcc_lo, v1, s20
	v_cmp_lt_i64_e64 s0, s[16:17], s[12:13]
	v_add_co_ci_u32_e64 v2, null, 0, v2, vcc_lo
	v_add_co_u32 v3, vcc_lo, v3, s20
	v_add_co_ci_u32_e64 v4, null, 0, v4, vcc_lo
	s_and_b32 vcc_lo, exec_lo, s0
	s_cbranch_vccz .LBB10_20
.LBB10_4:                               ; =>This Inner Loop Header: Depth=1
	v_add_co_u32 v11, s0, v0, s16
	v_add_co_ci_u32_e64 v12, null, 0, s17, s0
	v_cmp_gt_u64_e32 vcc_lo, s[14:15], v[11:12]
	v_mov_b32_e32 v11, 0
	s_and_saveexec_b32 s0, vcc_lo
	s_cbranch_execz .LBB10_6
; %bb.5:                                ;   in Loop: Header=BB10_4 Depth=1
	global_load_ushort v11, v[1:2], off
	s_waitcnt vmcnt(0)
	v_cvt_f32_f16_e32 v11, v11
.LBB10_6:                               ;   in Loop: Header=BB10_4 Depth=1
	s_or_b32 exec_lo, exec_lo, s0
	v_add_co_u32 v12, s0, v5, s16
	v_add_co_ci_u32_e64 v13, null, s17, v8, s0
	v_cmp_gt_u64_e64 s0, s[14:15], v[12:13]
	v_mov_b32_e32 v12, 0
	v_mov_b32_e32 v13, 0
	s_and_saveexec_b32 s1, s0
	s_cbranch_execz .LBB10_8
; %bb.7:                                ;   in Loop: Header=BB10_4 Depth=1
	global_load_ushort v13, v[3:4], off
	s_waitcnt vmcnt(0)
	v_cvt_f32_f16_e32 v13, v13
.LBB10_8:                               ;   in Loop: Header=BB10_4 Depth=1
	s_or_b32 exec_lo, exec_lo, s1
	v_add_co_u32 v14, s1, v9, s16
	v_add_co_ci_u32_e64 v15, null, s17, v10, s1
	v_cmp_gt_u64_e64 s1, s[14:15], v[14:15]
	s_and_saveexec_b32 s3, s1
	s_cbranch_execz .LBB10_10
; %bb.9:                                ;   in Loop: Header=BB10_4 Depth=1
	v_add_co_u32 v14, s2, v1, s19
	v_add_co_ci_u32_e64 v15, null, 0, v2, s2
	global_load_ushort v12, v[14:15], off
	s_waitcnt vmcnt(0)
	v_cvt_f32_f16_e32 v12, v12
.LBB10_10:                              ;   in Loop: Header=BB10_4 Depth=1
	s_or_b32 exec_lo, exec_lo, s3
	v_add_co_u32 v14, s2, v6, s16
	v_add_co_ci_u32_e64 v15, null, s17, v7, s2
	v_cmp_gt_u64_e64 s2, s[14:15], v[14:15]
	v_mov_b32_e32 v14, 0
	s_and_saveexec_b32 s22, s2
	s_cbranch_execnz .LBB10_15
; %bb.11:                               ;   in Loop: Header=BB10_4 Depth=1
	s_or_b32 exec_lo, exec_lo, s22
	s_and_saveexec_b32 s3, vcc_lo
	s_cbranch_execnz .LBB10_16
.LBB10_12:                              ;   in Loop: Header=BB10_4 Depth=1
	s_or_b32 exec_lo, exec_lo, s3
	s_and_saveexec_b32 s3, s0
	s_cbranch_execnz .LBB10_17
.LBB10_13:                              ;   in Loop: Header=BB10_4 Depth=1
	s_or_b32 exec_lo, exec_lo, s3
	s_and_saveexec_b32 s0, s1
	s_cbranch_execnz .LBB10_18
.LBB10_14:                              ;   in Loop: Header=BB10_4 Depth=1
	s_or_b32 exec_lo, exec_lo, s0
	s_and_saveexec_b32 s0, s2
	s_cbranch_execz .LBB10_3
	s_branch .LBB10_19
.LBB10_15:                              ;   in Loop: Header=BB10_4 Depth=1
	v_add_co_u32 v14, s3, v1, s21
	v_add_co_ci_u32_e64 v15, null, 0, v2, s3
	global_load_ushort v14, v[14:15], off
	s_waitcnt vmcnt(0)
	v_cvt_f32_f16_e32 v14, v14
	s_or_b32 exec_lo, exec_lo, s22
	s_and_saveexec_b32 s3, vcc_lo
	s_cbranch_execz .LBB10_12
.LBB10_16:                              ;   in Loop: Header=BB10_4 Depth=1
	v_add_f32_e32 v11, s18, v11
	v_cvt_f16_f32_e32 v11, v11
	global_store_short v[1:2], v11, off
	s_or_b32 exec_lo, exec_lo, s3
	s_and_saveexec_b32 s3, s0
	s_cbranch_execz .LBB10_13
.LBB10_17:                              ;   in Loop: Header=BB10_4 Depth=1
	v_add_f32_e32 v11, s18, v13
	v_cvt_f16_f32_e32 v11, v11
	global_store_short v[3:4], v11, off
	s_or_b32 exec_lo, exec_lo, s3
	s_and_saveexec_b32 s0, s1
	s_cbranch_execz .LBB10_14
.LBB10_18:                              ;   in Loop: Header=BB10_4 Depth=1
	v_add_f32_e32 v11, s18, v12
	v_cvt_f16_f32_e32 v13, v11
	v_add_co_u32 v11, vcc_lo, v1, s19
	v_add_co_ci_u32_e64 v12, null, 0, v2, vcc_lo
	global_store_short v[11:12], v13, off
	s_or_b32 exec_lo, exec_lo, s0
	s_and_saveexec_b32 s0, s2
	s_cbranch_execz .LBB10_3
.LBB10_19:                              ;   in Loop: Header=BB10_4 Depth=1
	v_add_f32_e32 v11, s18, v14
	v_cvt_f16_f32_e32 v13, v11
	v_add_co_u32 v11, vcc_lo, v1, s21
	v_add_co_ci_u32_e64 v12, null, 0, v2, vcc_lo
	global_store_short v[11:12], v13, off
	s_branch .LBB10_3
.LBB10_20:
	s_cbranch_execz .LBB10_22
	s_branch .LBB10_25
.LBB10_21:
.LBB10_22:
	v_cmp_gt_i64_e64 s0, 0x10000, s[10:11]
	v_mov_b32_e32 v2, 0
	v_lshlrev_b32_e32 v1, 2, v0
	s_mov_b32 s1, 0
	s_and_b32 s0, s0, exec_lo
	s_cselect_b32 s3, s11, 0
	s_cselect_b32 s2, s10, 0x10000
	s_mov_b32 s0, exec_lo
	v_cmpx_gt_i64_e64 s[2:3], v[1:2]
	s_cbranch_execz .LBB10_25
; %bb.23:
	s_load_dword s0, s[4:5], 0xdd4
	v_lshlrev_b32_e32 v1, 3, v0
	s_waitcnt lgkmcnt(0)
	s_and_b32 s4, s0, 0xffff
	s_add_u32 s0, s6, s8
	s_addc_u32 s5, s7, s9
	v_add_co_u32 v3, s0, s0, v1
	v_add_co_ci_u32_e64 v4, null, s5, 0, s0
	v_mov_b32_e32 v1, v2
	v_add_co_u32 v2, vcc_lo, v3, 6
	v_add_co_ci_u32_e64 v3, null, 0, v4, vcc_lo
	s_mov_b32 s5, s18
	s_lshl_b32 s6, s4, 3
	s_inst_prefetch 0x1
	.p2align	6
.LBB10_24:                              ; =>This Inner Loop Header: Depth=1
	global_load_dwordx2 v[4:5], v[2:3], off offset:-6
	v_add_co_u32 v0, vcc_lo, v0, s4
	v_add_co_ci_u32_e64 v1, null, 0, v1, vcc_lo
	s_waitcnt vmcnt(0)
	v_cvt_f32_f16_e32 v6, v4
	v_cvt_f32_f16_sdwa v7, v5 dst_sel:DWORD dst_unused:UNUSED_PAD src0_sel:WORD_1
	v_cvt_f32_f16_e32 v5, v5
	v_cvt_f32_f16_sdwa v4, v4 dst_sel:DWORD dst_unused:UNUSED_PAD src0_sel:WORD_1
	v_add_f32_e32 v6, s18, v6
	v_add_f32_e32 v7, s18, v7
	;; [unrolled: 1-line block ×4, first 2 shown]
	v_cvt_f16_f32_e32 v6, v6
	v_cvt_f16_f32_e32 v7, v7
	v_cvt_f16_f32_e32 v8, v5
	v_cvt_f16_f32_e32 v9, v4
	v_lshlrev_b64 v[4:5], 2, v[0:1]
	v_pack_b32_f16 v7, v8, v7
	v_pack_b32_f16 v6, v6, v9
	v_cmp_le_i64_e32 vcc_lo, s[2:3], v[4:5]
	global_store_dwordx2 v[2:3], v[6:7], off offset:-6
	v_add_co_u32 v2, s0, v2, s6
	v_add_co_ci_u32_e64 v3, null, 0, v3, s0
	s_or_b32 s1, vcc_lo, s1
	s_andn2_b32 exec_lo, exec_lo, s1
	s_cbranch_execnz .LBB10_24
.LBB10_25:
	s_inst_prefetch 0x2
	s_endpgm
	.section	.rodata,"a",@progbits
	.p2align	6, 0x0
	.amdhsa_kernel _ZN2at6native12_GLOBAL__N_125multi_tensor_apply_kernelINS1_28TensorListScalarListMetadataIfLi1EEENS1_25BinaryOpScalarListFunctorIN3c104HalfELi1ELi1ELi0EEEJSt4plusIfEEEEvT_T0_DpT1_
		.amdhsa_group_segment_fixed_size 0
		.amdhsa_private_segment_fixed_size 0
		.amdhsa_kernarg_size 3784
		.amdhsa_user_sgpr_count 6
		.amdhsa_user_sgpr_private_segment_buffer 1
		.amdhsa_user_sgpr_dispatch_ptr 0
		.amdhsa_user_sgpr_queue_ptr 0
		.amdhsa_user_sgpr_kernarg_segment_ptr 1
		.amdhsa_user_sgpr_dispatch_id 0
		.amdhsa_user_sgpr_flat_scratch_init 0
		.amdhsa_user_sgpr_private_segment_size 0
		.amdhsa_wavefront_size32 1
		.amdhsa_uses_dynamic_stack 0
		.amdhsa_system_sgpr_private_segment_wavefront_offset 0
		.amdhsa_system_sgpr_workgroup_id_x 1
		.amdhsa_system_sgpr_workgroup_id_y 0
		.amdhsa_system_sgpr_workgroup_id_z 0
		.amdhsa_system_sgpr_workgroup_info 0
		.amdhsa_system_vgpr_workitem_id 0
		.amdhsa_next_free_vgpr 16
		.amdhsa_next_free_sgpr 23
		.amdhsa_reserve_vcc 1
		.amdhsa_reserve_flat_scratch 0
		.amdhsa_float_round_mode_32 0
		.amdhsa_float_round_mode_16_64 0
		.amdhsa_float_denorm_mode_32 3
		.amdhsa_float_denorm_mode_16_64 3
		.amdhsa_dx10_clamp 1
		.amdhsa_ieee_mode 1
		.amdhsa_fp16_overflow 0
		.amdhsa_workgroup_processor_mode 1
		.amdhsa_memory_ordered 1
		.amdhsa_forward_progress 1
		.amdhsa_shared_vgpr_count 0
		.amdhsa_exception_fp_ieee_invalid_op 0
		.amdhsa_exception_fp_denorm_src 0
		.amdhsa_exception_fp_ieee_div_zero 0
		.amdhsa_exception_fp_ieee_overflow 0
		.amdhsa_exception_fp_ieee_underflow 0
		.amdhsa_exception_fp_ieee_inexact 0
		.amdhsa_exception_int_div_zero 0
	.end_amdhsa_kernel
	.section	.text._ZN2at6native12_GLOBAL__N_125multi_tensor_apply_kernelINS1_28TensorListScalarListMetadataIfLi1EEENS1_25BinaryOpScalarListFunctorIN3c104HalfELi1ELi1ELi0EEEJSt4plusIfEEEEvT_T0_DpT1_,"axG",@progbits,_ZN2at6native12_GLOBAL__N_125multi_tensor_apply_kernelINS1_28TensorListScalarListMetadataIfLi1EEENS1_25BinaryOpScalarListFunctorIN3c104HalfELi1ELi1ELi0EEEJSt4plusIfEEEEvT_T0_DpT1_,comdat
.Lfunc_end10:
	.size	_ZN2at6native12_GLOBAL__N_125multi_tensor_apply_kernelINS1_28TensorListScalarListMetadataIfLi1EEENS1_25BinaryOpScalarListFunctorIN3c104HalfELi1ELi1ELi0EEEJSt4plusIfEEEEvT_T0_DpT1_, .Lfunc_end10-_ZN2at6native12_GLOBAL__N_125multi_tensor_apply_kernelINS1_28TensorListScalarListMetadataIfLi1EEENS1_25BinaryOpScalarListFunctorIN3c104HalfELi1ELi1ELi0EEEJSt4plusIfEEEEvT_T0_DpT1_
                                        ; -- End function
	.set _ZN2at6native12_GLOBAL__N_125multi_tensor_apply_kernelINS1_28TensorListScalarListMetadataIfLi1EEENS1_25BinaryOpScalarListFunctorIN3c104HalfELi1ELi1ELi0EEEJSt4plusIfEEEEvT_T0_DpT1_.num_vgpr, 16
	.set _ZN2at6native12_GLOBAL__N_125multi_tensor_apply_kernelINS1_28TensorListScalarListMetadataIfLi1EEENS1_25BinaryOpScalarListFunctorIN3c104HalfELi1ELi1ELi0EEEJSt4plusIfEEEEvT_T0_DpT1_.num_agpr, 0
	.set _ZN2at6native12_GLOBAL__N_125multi_tensor_apply_kernelINS1_28TensorListScalarListMetadataIfLi1EEENS1_25BinaryOpScalarListFunctorIN3c104HalfELi1ELi1ELi0EEEJSt4plusIfEEEEvT_T0_DpT1_.numbered_sgpr, 23
	.set _ZN2at6native12_GLOBAL__N_125multi_tensor_apply_kernelINS1_28TensorListScalarListMetadataIfLi1EEENS1_25BinaryOpScalarListFunctorIN3c104HalfELi1ELi1ELi0EEEJSt4plusIfEEEEvT_T0_DpT1_.num_named_barrier, 0
	.set _ZN2at6native12_GLOBAL__N_125multi_tensor_apply_kernelINS1_28TensorListScalarListMetadataIfLi1EEENS1_25BinaryOpScalarListFunctorIN3c104HalfELi1ELi1ELi0EEEJSt4plusIfEEEEvT_T0_DpT1_.private_seg_size, 0
	.set _ZN2at6native12_GLOBAL__N_125multi_tensor_apply_kernelINS1_28TensorListScalarListMetadataIfLi1EEENS1_25BinaryOpScalarListFunctorIN3c104HalfELi1ELi1ELi0EEEJSt4plusIfEEEEvT_T0_DpT1_.uses_vcc, 1
	.set _ZN2at6native12_GLOBAL__N_125multi_tensor_apply_kernelINS1_28TensorListScalarListMetadataIfLi1EEENS1_25BinaryOpScalarListFunctorIN3c104HalfELi1ELi1ELi0EEEJSt4plusIfEEEEvT_T0_DpT1_.uses_flat_scratch, 0
	.set _ZN2at6native12_GLOBAL__N_125multi_tensor_apply_kernelINS1_28TensorListScalarListMetadataIfLi1EEENS1_25BinaryOpScalarListFunctorIN3c104HalfELi1ELi1ELi0EEEJSt4plusIfEEEEvT_T0_DpT1_.has_dyn_sized_stack, 0
	.set _ZN2at6native12_GLOBAL__N_125multi_tensor_apply_kernelINS1_28TensorListScalarListMetadataIfLi1EEENS1_25BinaryOpScalarListFunctorIN3c104HalfELi1ELi1ELi0EEEJSt4plusIfEEEEvT_T0_DpT1_.has_recursion, 0
	.set _ZN2at6native12_GLOBAL__N_125multi_tensor_apply_kernelINS1_28TensorListScalarListMetadataIfLi1EEENS1_25BinaryOpScalarListFunctorIN3c104HalfELi1ELi1ELi0EEEJSt4plusIfEEEEvT_T0_DpT1_.has_indirect_call, 0
	.section	.AMDGPU.csdata,"",@progbits
; Kernel info:
; codeLenInByte = 1244
; TotalNumSgprs: 25
; NumVgprs: 16
; ScratchSize: 0
; MemoryBound: 0
; FloatMode: 240
; IeeeMode: 1
; LDSByteSize: 0 bytes/workgroup (compile time only)
; SGPRBlocks: 0
; VGPRBlocks: 1
; NumSGPRsForWavesPerEU: 25
; NumVGPRsForWavesPerEU: 16
; Occupancy: 16
; WaveLimiterHint : 0
; COMPUTE_PGM_RSRC2:SCRATCH_EN: 0
; COMPUTE_PGM_RSRC2:USER_SGPR: 6
; COMPUTE_PGM_RSRC2:TRAP_HANDLER: 0
; COMPUTE_PGM_RSRC2:TGID_X_EN: 1
; COMPUTE_PGM_RSRC2:TGID_Y_EN: 0
; COMPUTE_PGM_RSRC2:TGID_Z_EN: 0
; COMPUTE_PGM_RSRC2:TIDIG_COMP_CNT: 0
	.section	.text._ZN2at6native12_GLOBAL__N_125multi_tensor_apply_kernelINS1_28TensorListScalarListMetadataIfLi1EEENS1_25BinaryOpScalarListFunctorIN3c108BFloat16ELi1ELi1ELi0EEEJSt4plusIfEEEEvT_T0_DpT1_,"axG",@progbits,_ZN2at6native12_GLOBAL__N_125multi_tensor_apply_kernelINS1_28TensorListScalarListMetadataIfLi1EEENS1_25BinaryOpScalarListFunctorIN3c108BFloat16ELi1ELi1ELi0EEEJSt4plusIfEEEEvT_T0_DpT1_,comdat
	.globl	_ZN2at6native12_GLOBAL__N_125multi_tensor_apply_kernelINS1_28TensorListScalarListMetadataIfLi1EEENS1_25BinaryOpScalarListFunctorIN3c108BFloat16ELi1ELi1ELi0EEEJSt4plusIfEEEEvT_T0_DpT1_ ; -- Begin function _ZN2at6native12_GLOBAL__N_125multi_tensor_apply_kernelINS1_28TensorListScalarListMetadataIfLi1EEENS1_25BinaryOpScalarListFunctorIN3c108BFloat16ELi1ELi1ELi0EEEJSt4plusIfEEEEvT_T0_DpT1_
	.p2align	8
	.type	_ZN2at6native12_GLOBAL__N_125multi_tensor_apply_kernelINS1_28TensorListScalarListMetadataIfLi1EEENS1_25BinaryOpScalarListFunctorIN3c108BFloat16ELi1ELi1ELi0EEEJSt4plusIfEEEEvT_T0_DpT1_,@function
_ZN2at6native12_GLOBAL__N_125multi_tensor_apply_kernelINS1_28TensorListScalarListMetadataIfLi1EEENS1_25BinaryOpScalarListFunctorIN3c108BFloat16ELi1ELi1ELi0EEEJSt4plusIfEEEEvT_T0_DpT1_: ; @_ZN2at6native12_GLOBAL__N_125multi_tensor_apply_kernelINS1_28TensorListScalarListMetadataIfLi1EEENS1_25BinaryOpScalarListFunctorIN3c108BFloat16ELi1ELi1ELi0EEEJSt4plusIfEEEEvT_T0_DpT1_
; %bb.0:
	v_mov_b32_e32 v1, s6
	s_add_u32 s0, s4, s6
	s_mul_i32 s1, s6, 3
	s_mul_hi_u32 s2, s6, 3
	s_addc_u32 s3, s5, 0
	global_load_ubyte v1, v1, s[4:5] offset:1920
	s_add_u32 s0, s0, s1
	s_addc_u32 s1, s3, s2
	s_mov_b32 s13, 0
	s_load_dword s0, s[0:1], 0x8c0
	s_waitcnt vmcnt(0)
	v_readfirstlane_b32 s1, v1
	v_lshlrev_b32_e32 v1, 2, v1
	s_lshl_b32 s8, s1, 3
	v_sub_co_u32 v1, s1, 0, v1
	v_sub_co_ci_u32_e64 v2, null, 0, 0, s1
	s_waitcnt lgkmcnt(0)
	s_ashr_i32 s1, s0, 31
	s_clause 0x1
	s_load_dwordx2 s[2:3], s[4:5], s8 offset:0x300
	s_load_dwordx2 s[6:7], s[4:5], s8 offset:0x0
	s_add_u32 s8, s4, s8
	s_addc_u32 s9, s5, 0
	v_add_co_u32 v1, vcc_lo, s8, v1
	v_add_co_ci_u32_e64 v2, null, s9, v2, vcc_lo
	v_readfirstlane_b32 s8, v1
	v_readfirstlane_b32 s9, v2
	s_load_dword s18, s[8:9], 0x600
	s_lshl_b64 s[8:9], s[0:1], 17
	s_lshl_b64 s[0:1], s[0:1], 16
	s_waitcnt lgkmcnt(0)
	s_and_b32 s12, s6, 7
	s_sub_u32 s10, s2, s0
	s_subb_u32 s11, s3, s1
	s_and_b32 s0, s2, 3
	s_mov_b32 s1, s13
	s_or_b64 s[0:1], s[12:13], s[0:1]
	s_cmp_eq_u64 s[0:1], 0
	s_cbranch_scc1 .LBB11_21
; %bb.1:
	v_cmp_lt_i64_e64 s0, s[10:11], 1
	s_and_b32 vcc_lo, exec_lo, s0
	s_cbranch_vccnz .LBB11_20
; %bb.2:
	s_load_dword s0, s[4:5], 0xdd4
	v_cmp_gt_i64_e64 s1, 0x10000, s[10:11]
	v_cmp_gt_u64_e64 s2, 0x10000, s[10:11]
	v_lshlrev_b32_e32 v1, 1, v0
	v_mov_b32_e32 v11, 0x7fc0
	s_and_b32 s1, s1, exec_lo
	s_cselect_b32 s13, s11, 0
	s_cselect_b32 s12, s10, 0x10000
	s_waitcnt lgkmcnt(0)
	s_and_b32 s0, s0, 0xffff
	s_and_b32 s1, s2, exec_lo
	v_add_co_u32 v5, s3, v0, s0
	s_cselect_b32 s15, s11, 0
	s_cselect_b32 s14, s10, 0x10000
	s_lshl_b32 s1, s0, 1
	v_lshlrev_b32_e32 v3, 1, v5
	s_mul_i32 s2, s0, 3
	s_lshl_b32 s19, s0, 2
	s_add_u32 s16, s6, s8
	v_add_co_u32 v6, s2, s2, v0
	v_add_co_u32 v9, s1, s1, v0
	s_addc_u32 s17, s7, s9
	v_add_co_ci_u32_e64 v7, null, 0, 0, s2
	v_add_co_u32 v1, s2, s16, v1
	v_add_co_ci_u32_e64 v10, null, 0, 0, s1
	v_add_co_u32 v3, s1, s16, v3
	v_add_co_ci_u32_e64 v2, null, s17, 0, s2
	v_add_co_ci_u32_e64 v8, null, 0, 0, s3
	;; [unrolled: 1-line block ×3, first 2 shown]
	s_lshl_b32 s20, s0, 3
	s_mul_i32 s21, s0, 6
	s_mov_b64 s[16:17], 0
	s_branch .LBB11_4
.LBB11_3:                               ;   in Loop: Header=BB11_4 Depth=1
	s_or_b32 exec_lo, exec_lo, s0
	s_add_u32 s16, s16, s19
	s_addc_u32 s17, s17, 0
	v_add_co_u32 v1, vcc_lo, v1, s20
	v_cmp_lt_i64_e64 s0, s[16:17], s[12:13]
	v_add_co_ci_u32_e64 v2, null, 0, v2, vcc_lo
	v_add_co_u32 v3, vcc_lo, v3, s20
	v_add_co_ci_u32_e64 v4, null, 0, v4, vcc_lo
	s_and_b32 vcc_lo, exec_lo, s0
	s_cbranch_vccz .LBB11_20
.LBB11_4:                               ; =>This Inner Loop Header: Depth=1
	v_add_co_u32 v12, s0, v0, s16
	v_add_co_ci_u32_e64 v13, null, 0, s17, s0
	v_cmp_gt_u64_e32 vcc_lo, s[14:15], v[12:13]
	v_mov_b32_e32 v13, 0
	s_and_saveexec_b32 s0, vcc_lo
	s_cbranch_execz .LBB11_6
; %bb.5:                                ;   in Loop: Header=BB11_4 Depth=1
	global_load_ushort v12, v[1:2], off
	s_waitcnt vmcnt(0)
	v_lshlrev_b32_e32 v13, 16, v12
.LBB11_6:                               ;   in Loop: Header=BB11_4 Depth=1
	s_or_b32 exec_lo, exec_lo, s0
	v_add_co_u32 v14, s0, v5, s16
	v_add_co_ci_u32_e64 v15, null, s17, v8, s0
	v_mov_b32_e32 v12, 0
	v_cmp_gt_u64_e64 s0, s[14:15], v[14:15]
	v_mov_b32_e32 v14, 0
	s_and_saveexec_b32 s1, s0
	s_cbranch_execz .LBB11_8
; %bb.7:                                ;   in Loop: Header=BB11_4 Depth=1
	global_load_ushort v14, v[3:4], off
	s_waitcnt vmcnt(0)
	v_lshlrev_b32_e32 v14, 16, v14
.LBB11_8:                               ;   in Loop: Header=BB11_4 Depth=1
	s_or_b32 exec_lo, exec_lo, s1
	v_add_co_u32 v15, s1, v9, s16
	v_add_co_ci_u32_e64 v16, null, s17, v10, s1
	v_cmp_gt_u64_e64 s1, s[14:15], v[15:16]
	s_and_saveexec_b32 s3, s1
	s_cbranch_execz .LBB11_10
; %bb.9:                                ;   in Loop: Header=BB11_4 Depth=1
	v_add_co_u32 v15, s2, v1, s19
	v_add_co_ci_u32_e64 v16, null, 0, v2, s2
	global_load_ushort v12, v[15:16], off
	s_waitcnt vmcnt(0)
	v_lshlrev_b32_e32 v12, 16, v12
.LBB11_10:                              ;   in Loop: Header=BB11_4 Depth=1
	s_or_b32 exec_lo, exec_lo, s3
	v_add_co_u32 v15, s2, v6, s16
	v_add_co_ci_u32_e64 v16, null, s17, v7, s2
	v_cmp_gt_u64_e64 s2, s[14:15], v[15:16]
	v_mov_b32_e32 v15, 0
	s_and_saveexec_b32 s22, s2
	s_cbranch_execnz .LBB11_15
; %bb.11:                               ;   in Loop: Header=BB11_4 Depth=1
	s_or_b32 exec_lo, exec_lo, s22
	s_and_saveexec_b32 s3, vcc_lo
	s_cbranch_execnz .LBB11_16
.LBB11_12:                              ;   in Loop: Header=BB11_4 Depth=1
	s_or_b32 exec_lo, exec_lo, s3
	s_and_saveexec_b32 s3, s0
	s_cbranch_execnz .LBB11_17
.LBB11_13:                              ;   in Loop: Header=BB11_4 Depth=1
	s_or_b32 exec_lo, exec_lo, s3
	s_and_saveexec_b32 s0, s1
	s_cbranch_execnz .LBB11_18
.LBB11_14:                              ;   in Loop: Header=BB11_4 Depth=1
	s_or_b32 exec_lo, exec_lo, s0
	s_and_saveexec_b32 s0, s2
	s_cbranch_execz .LBB11_3
	s_branch .LBB11_19
.LBB11_15:                              ;   in Loop: Header=BB11_4 Depth=1
	v_add_co_u32 v15, s3, v1, s21
	v_add_co_ci_u32_e64 v16, null, 0, v2, s3
	global_load_ushort v15, v[15:16], off
	s_waitcnt vmcnt(0)
	v_lshlrev_b32_e32 v15, 16, v15
	s_or_b32 exec_lo, exec_lo, s22
	s_and_saveexec_b32 s3, vcc_lo
	s_cbranch_execz .LBB11_12
.LBB11_16:                              ;   in Loop: Header=BB11_4 Depth=1
	v_add_f32_e32 v13, s18, v13
	v_bfe_u32 v16, v13, 16, 1
	v_cmp_o_f32_e32 vcc_lo, v13, v13
	v_add3_u32 v13, v13, v16, 0x7fff
	v_cndmask_b32_sdwa v13, v11, v13, vcc_lo dst_sel:DWORD dst_unused:UNUSED_PAD src0_sel:DWORD src1_sel:WORD_1
	global_store_short v[1:2], v13, off
	s_or_b32 exec_lo, exec_lo, s3
	s_and_saveexec_b32 s3, s0
	s_cbranch_execz .LBB11_13
.LBB11_17:                              ;   in Loop: Header=BB11_4 Depth=1
	v_add_f32_e32 v13, s18, v14
	v_bfe_u32 v14, v13, 16, 1
	v_cmp_o_f32_e32 vcc_lo, v13, v13
	v_add3_u32 v13, v13, v14, 0x7fff
	v_cndmask_b32_sdwa v13, v11, v13, vcc_lo dst_sel:DWORD dst_unused:UNUSED_PAD src0_sel:DWORD src1_sel:WORD_1
	global_store_short v[3:4], v13, off
	s_or_b32 exec_lo, exec_lo, s3
	s_and_saveexec_b32 s0, s1
	s_cbranch_execz .LBB11_14
.LBB11_18:                              ;   in Loop: Header=BB11_4 Depth=1
	v_add_f32_e32 v12, s18, v12
	v_bfe_u32 v13, v12, 16, 1
	v_cmp_o_f32_e32 vcc_lo, v12, v12
	v_add3_u32 v12, v12, v13, 0x7fff
	v_cndmask_b32_sdwa v14, v11, v12, vcc_lo dst_sel:DWORD dst_unused:UNUSED_PAD src0_sel:DWORD src1_sel:WORD_1
	v_add_co_u32 v12, vcc_lo, v1, s19
	v_add_co_ci_u32_e64 v13, null, 0, v2, vcc_lo
	global_store_short v[12:13], v14, off
	s_or_b32 exec_lo, exec_lo, s0
	s_and_saveexec_b32 s0, s2
	s_cbranch_execz .LBB11_3
.LBB11_19:                              ;   in Loop: Header=BB11_4 Depth=1
	v_add_f32_e32 v12, s18, v15
	v_bfe_u32 v13, v12, 16, 1
	v_cmp_o_f32_e32 vcc_lo, v12, v12
	v_add3_u32 v12, v12, v13, 0x7fff
	v_cndmask_b32_sdwa v14, v11, v12, vcc_lo dst_sel:DWORD dst_unused:UNUSED_PAD src0_sel:DWORD src1_sel:WORD_1
	v_add_co_u32 v12, vcc_lo, v1, s21
	v_add_co_ci_u32_e64 v13, null, 0, v2, vcc_lo
	global_store_short v[12:13], v14, off
	s_branch .LBB11_3
.LBB11_20:
	s_cbranch_execz .LBB11_22
	s_branch .LBB11_25
.LBB11_21:
.LBB11_22:
	v_cmp_gt_i64_e64 s0, 0x10000, s[10:11]
	v_mov_b32_e32 v2, 0
	v_lshlrev_b32_e32 v1, 2, v0
	s_mov_b32 s1, 0
	s_and_b32 s0, s0, exec_lo
	s_cselect_b32 s3, s11, 0
	s_cselect_b32 s2, s10, 0x10000
	s_mov_b32 s0, exec_lo
	v_cmpx_gt_i64_e64 s[2:3], v[1:2]
	s_cbranch_execz .LBB11_25
; %bb.23:
	s_load_dword s0, s[4:5], 0xdd4
	v_mov_b32_e32 v1, v2
	v_lshlrev_b32_e32 v2, 3, v0
	s_waitcnt lgkmcnt(0)
	s_and_b32 s4, s0, 0xffff
	s_add_u32 s0, s6, s8
	s_addc_u32 s5, s7, s9
	v_add_co_u32 v2, s0, s0, v2
	v_add_co_ci_u32_e64 v3, null, s5, 0, s0
	s_lshl_b32 s5, s4, 3
.LBB11_24:                              ; =>This Inner Loop Header: Depth=1
	global_load_dwordx2 v[4:5], v[2:3], off
	v_add_co_u32 v0, vcc_lo, v0, s4
	v_add_co_ci_u32_e64 v1, null, 0, v1, vcc_lo
	s_waitcnt vmcnt(0)
	v_alignbit_b32 v6, v5, v4, 16
	v_lshlrev_b32_e32 v7, 16, v4
	v_and_b32_e32 v4, 0xffff0000, v4
	v_and_b32_e32 v5, 0xffff0000, v5
	v_and_b32_e32 v6, 0xffff0000, v6
	v_add_f32_e32 v7, s18, v7
	v_add_f32_e32 v4, s18, v4
	;; [unrolled: 1-line block ×4, first 2 shown]
	v_bfe_u32 v8, v7, 16, 1
	v_bfe_u32 v9, v4, 16, 1
	;; [unrolled: 1-line block ×3, first 2 shown]
	v_cmp_o_f32_e32 vcc_lo, v4, v4
	v_bfe_u32 v11, v6, 16, 1
	v_add3_u32 v8, v7, v8, 0x7fff
	v_add3_u32 v9, v4, v9, 0x7fff
	;; [unrolled: 1-line block ×4, first 2 shown]
	v_lshrrev_b32_e32 v8, 16, v8
	v_and_b32_e32 v9, 0xffff0000, v9
	v_and_b32_e32 v10, 0xffff0000, v10
	v_lshrrev_b32_e32 v11, 16, v11
	v_cndmask_b32_e32 v4, 0x7fc00000, v9, vcc_lo
	v_cmp_o_f32_e32 vcc_lo, v7, v7
	v_cndmask_b32_e32 v7, 0x7fc0, v8, vcc_lo
	v_cmp_o_f32_e32 vcc_lo, v5, v5
	v_or_b32_e32 v9, v7, v4
	v_cndmask_b32_e32 v8, 0x7fc00000, v10, vcc_lo
	v_cmp_o_f32_e32 vcc_lo, v6, v6
	v_lshlrev_b64 v[4:5], 2, v[0:1]
	v_cndmask_b32_e32 v6, 0x7fc0, v11, vcc_lo
	v_cmp_le_i64_e32 vcc_lo, s[2:3], v[4:5]
	v_or3_b32 v7, 0, v6, v8
	v_or3_b32 v6, v9, 0, 0
	s_or_b32 s1, vcc_lo, s1
	global_store_dwordx2 v[2:3], v[6:7], off
	v_add_co_u32 v2, s0, v2, s5
	v_add_co_ci_u32_e64 v3, null, 0, v3, s0
	s_andn2_b32 exec_lo, exec_lo, s1
	s_cbranch_execnz .LBB11_24
.LBB11_25:
	s_endpgm
	.section	.rodata,"a",@progbits
	.p2align	6, 0x0
	.amdhsa_kernel _ZN2at6native12_GLOBAL__N_125multi_tensor_apply_kernelINS1_28TensorListScalarListMetadataIfLi1EEENS1_25BinaryOpScalarListFunctorIN3c108BFloat16ELi1ELi1ELi0EEEJSt4plusIfEEEEvT_T0_DpT1_
		.amdhsa_group_segment_fixed_size 0
		.amdhsa_private_segment_fixed_size 0
		.amdhsa_kernarg_size 3784
		.amdhsa_user_sgpr_count 6
		.amdhsa_user_sgpr_private_segment_buffer 1
		.amdhsa_user_sgpr_dispatch_ptr 0
		.amdhsa_user_sgpr_queue_ptr 0
		.amdhsa_user_sgpr_kernarg_segment_ptr 1
		.amdhsa_user_sgpr_dispatch_id 0
		.amdhsa_user_sgpr_flat_scratch_init 0
		.amdhsa_user_sgpr_private_segment_size 0
		.amdhsa_wavefront_size32 1
		.amdhsa_uses_dynamic_stack 0
		.amdhsa_system_sgpr_private_segment_wavefront_offset 0
		.amdhsa_system_sgpr_workgroup_id_x 1
		.amdhsa_system_sgpr_workgroup_id_y 0
		.amdhsa_system_sgpr_workgroup_id_z 0
		.amdhsa_system_sgpr_workgroup_info 0
		.amdhsa_system_vgpr_workitem_id 0
		.amdhsa_next_free_vgpr 17
		.amdhsa_next_free_sgpr 23
		.amdhsa_reserve_vcc 1
		.amdhsa_reserve_flat_scratch 0
		.amdhsa_float_round_mode_32 0
		.amdhsa_float_round_mode_16_64 0
		.amdhsa_float_denorm_mode_32 3
		.amdhsa_float_denorm_mode_16_64 3
		.amdhsa_dx10_clamp 1
		.amdhsa_ieee_mode 1
		.amdhsa_fp16_overflow 0
		.amdhsa_workgroup_processor_mode 1
		.amdhsa_memory_ordered 1
		.amdhsa_forward_progress 1
		.amdhsa_shared_vgpr_count 0
		.amdhsa_exception_fp_ieee_invalid_op 0
		.amdhsa_exception_fp_denorm_src 0
		.amdhsa_exception_fp_ieee_div_zero 0
		.amdhsa_exception_fp_ieee_overflow 0
		.amdhsa_exception_fp_ieee_underflow 0
		.amdhsa_exception_fp_ieee_inexact 0
		.amdhsa_exception_int_div_zero 0
	.end_amdhsa_kernel
	.section	.text._ZN2at6native12_GLOBAL__N_125multi_tensor_apply_kernelINS1_28TensorListScalarListMetadataIfLi1EEENS1_25BinaryOpScalarListFunctorIN3c108BFloat16ELi1ELi1ELi0EEEJSt4plusIfEEEEvT_T0_DpT1_,"axG",@progbits,_ZN2at6native12_GLOBAL__N_125multi_tensor_apply_kernelINS1_28TensorListScalarListMetadataIfLi1EEENS1_25BinaryOpScalarListFunctorIN3c108BFloat16ELi1ELi1ELi0EEEJSt4plusIfEEEEvT_T0_DpT1_,comdat
.Lfunc_end11:
	.size	_ZN2at6native12_GLOBAL__N_125multi_tensor_apply_kernelINS1_28TensorListScalarListMetadataIfLi1EEENS1_25BinaryOpScalarListFunctorIN3c108BFloat16ELi1ELi1ELi0EEEJSt4plusIfEEEEvT_T0_DpT1_, .Lfunc_end11-_ZN2at6native12_GLOBAL__N_125multi_tensor_apply_kernelINS1_28TensorListScalarListMetadataIfLi1EEENS1_25BinaryOpScalarListFunctorIN3c108BFloat16ELi1ELi1ELi0EEEJSt4plusIfEEEEvT_T0_DpT1_
                                        ; -- End function
	.set _ZN2at6native12_GLOBAL__N_125multi_tensor_apply_kernelINS1_28TensorListScalarListMetadataIfLi1EEENS1_25BinaryOpScalarListFunctorIN3c108BFloat16ELi1ELi1ELi0EEEJSt4plusIfEEEEvT_T0_DpT1_.num_vgpr, 17
	.set _ZN2at6native12_GLOBAL__N_125multi_tensor_apply_kernelINS1_28TensorListScalarListMetadataIfLi1EEENS1_25BinaryOpScalarListFunctorIN3c108BFloat16ELi1ELi1ELi0EEEJSt4plusIfEEEEvT_T0_DpT1_.num_agpr, 0
	.set _ZN2at6native12_GLOBAL__N_125multi_tensor_apply_kernelINS1_28TensorListScalarListMetadataIfLi1EEENS1_25BinaryOpScalarListFunctorIN3c108BFloat16ELi1ELi1ELi0EEEJSt4plusIfEEEEvT_T0_DpT1_.numbered_sgpr, 23
	.set _ZN2at6native12_GLOBAL__N_125multi_tensor_apply_kernelINS1_28TensorListScalarListMetadataIfLi1EEENS1_25BinaryOpScalarListFunctorIN3c108BFloat16ELi1ELi1ELi0EEEJSt4plusIfEEEEvT_T0_DpT1_.num_named_barrier, 0
	.set _ZN2at6native12_GLOBAL__N_125multi_tensor_apply_kernelINS1_28TensorListScalarListMetadataIfLi1EEENS1_25BinaryOpScalarListFunctorIN3c108BFloat16ELi1ELi1ELi0EEEJSt4plusIfEEEEvT_T0_DpT1_.private_seg_size, 0
	.set _ZN2at6native12_GLOBAL__N_125multi_tensor_apply_kernelINS1_28TensorListScalarListMetadataIfLi1EEENS1_25BinaryOpScalarListFunctorIN3c108BFloat16ELi1ELi1ELi0EEEJSt4plusIfEEEEvT_T0_DpT1_.uses_vcc, 1
	.set _ZN2at6native12_GLOBAL__N_125multi_tensor_apply_kernelINS1_28TensorListScalarListMetadataIfLi1EEENS1_25BinaryOpScalarListFunctorIN3c108BFloat16ELi1ELi1ELi0EEEJSt4plusIfEEEEvT_T0_DpT1_.uses_flat_scratch, 0
	.set _ZN2at6native12_GLOBAL__N_125multi_tensor_apply_kernelINS1_28TensorListScalarListMetadataIfLi1EEENS1_25BinaryOpScalarListFunctorIN3c108BFloat16ELi1ELi1ELi0EEEJSt4plusIfEEEEvT_T0_DpT1_.has_dyn_sized_stack, 0
	.set _ZN2at6native12_GLOBAL__N_125multi_tensor_apply_kernelINS1_28TensorListScalarListMetadataIfLi1EEENS1_25BinaryOpScalarListFunctorIN3c108BFloat16ELi1ELi1ELi0EEEJSt4plusIfEEEEvT_T0_DpT1_.has_recursion, 0
	.set _ZN2at6native12_GLOBAL__N_125multi_tensor_apply_kernelINS1_28TensorListScalarListMetadataIfLi1EEENS1_25BinaryOpScalarListFunctorIN3c108BFloat16ELi1ELi1ELi0EEEJSt4plusIfEEEEvT_T0_DpT1_.has_indirect_call, 0
	.section	.AMDGPU.csdata,"",@progbits
; Kernel info:
; codeLenInByte = 1460
; TotalNumSgprs: 25
; NumVgprs: 17
; ScratchSize: 0
; MemoryBound: 0
; FloatMode: 240
; IeeeMode: 1
; LDSByteSize: 0 bytes/workgroup (compile time only)
; SGPRBlocks: 0
; VGPRBlocks: 2
; NumSGPRsForWavesPerEU: 25
; NumVGPRsForWavesPerEU: 17
; Occupancy: 16
; WaveLimiterHint : 0
; COMPUTE_PGM_RSRC2:SCRATCH_EN: 0
; COMPUTE_PGM_RSRC2:USER_SGPR: 6
; COMPUTE_PGM_RSRC2:TRAP_HANDLER: 0
; COMPUTE_PGM_RSRC2:TGID_X_EN: 1
; COMPUTE_PGM_RSRC2:TGID_Y_EN: 0
; COMPUTE_PGM_RSRC2:TGID_Z_EN: 0
; COMPUTE_PGM_RSRC2:TIDIG_COMP_CNT: 0
	.section	.text._ZN2at6native12_GLOBAL__N_125multi_tensor_apply_kernelINS1_28TensorListScalarListMetadataIhLi2EEENS1_25BinaryOpScalarListFunctorIhLi2ELi1ELi1EEEJSt4plusIhEEEEvT_T0_DpT1_,"axG",@progbits,_ZN2at6native12_GLOBAL__N_125multi_tensor_apply_kernelINS1_28TensorListScalarListMetadataIhLi2EEENS1_25BinaryOpScalarListFunctorIhLi2ELi1ELi1EEEJSt4plusIhEEEEvT_T0_DpT1_,comdat
	.globl	_ZN2at6native12_GLOBAL__N_125multi_tensor_apply_kernelINS1_28TensorListScalarListMetadataIhLi2EEENS1_25BinaryOpScalarListFunctorIhLi2ELi1ELi1EEEJSt4plusIhEEEEvT_T0_DpT1_ ; -- Begin function _ZN2at6native12_GLOBAL__N_125multi_tensor_apply_kernelINS1_28TensorListScalarListMetadataIhLi2EEENS1_25BinaryOpScalarListFunctorIhLi2ELi1ELi1EEEJSt4plusIhEEEEvT_T0_DpT1_
	.p2align	8
	.type	_ZN2at6native12_GLOBAL__N_125multi_tensor_apply_kernelINS1_28TensorListScalarListMetadataIhLi2EEENS1_25BinaryOpScalarListFunctorIhLi2ELi1ELi1EEEJSt4plusIhEEEEvT_T0_DpT1_,@function
_ZN2at6native12_GLOBAL__N_125multi_tensor_apply_kernelINS1_28TensorListScalarListMetadataIhLi2EEENS1_25BinaryOpScalarListFunctorIhLi2ELi1ELi1EEEJSt4plusIhEEEEvT_T0_DpT1_: ; @_ZN2at6native12_GLOBAL__N_125multi_tensor_apply_kernelINS1_28TensorListScalarListMetadataIhLi2EEENS1_25BinaryOpScalarListFunctorIhLi2ELi1ELi1EEEJSt4plusIhEEEEvT_T0_DpT1_
; %bb.0:
	v_mov_b32_e32 v1, s6
	s_mul_i32 s2, s6, 3
	s_mul_hi_u32 s3, s6, 3
	global_load_ubyte v3, v1, s[4:5] offset:1600
	s_waitcnt vmcnt(0)
	v_add_co_u32 v1, s0, s4, v3
	v_add_co_ci_u32_e64 v2, null, s5, 0, s0
	s_add_u32 s0, s4, s6
	s_addc_u32 s1, s5, 0
	s_add_u32 s0, s0, s2
	global_load_ubyte v4, v[1:2], off offset:1536
	s_addc_u32 s1, s1, s3
	v_readfirstlane_b32 s2, v3
	s_load_dword s0, s[0:1], 0x780
	s_lshl_b32 s1, s2, 3
	s_clause 0x2
	s_load_dwordx2 s[6:7], s[4:5], s1 offset:0x0
	s_load_dwordx2 s[2:3], s[4:5], s1 offset:0x400
	;; [unrolled: 1-line block ×3, first 2 shown]
	s_waitcnt lgkmcnt(0)
	s_ashr_i32 s1, s0, 31
	s_lshl_b64 s[10:11], s[0:1], 16
	s_add_u32 s0, s6, s10
	s_sub_u32 s12, s2, s10
	s_subb_u32 s13, s3, s11
	s_or_b32 s1, s2, s8
	s_or_b32 s0, s1, s0
	s_and_b32 s0, s0, 3
	s_cmp_eq_u32 s0, 0
	s_mov_b32 s0, -1
	s_cbranch_scc1 .LBB12_21
; %bb.1:
	v_cmp_lt_i64_e64 s0, s[12:13], 1
	s_and_b32 vcc_lo, exec_lo, s0
	s_cbranch_vccnz .LBB12_20
; %bb.2:
	s_load_dword s0, s[4:5], 0xc94
	v_cmp_gt_i64_e64 s1, 0x10000, s[12:13]
	v_add_co_u32 v16, s2, s10, v0
	v_add_co_ci_u32_e64 v17, null, s11, 0, s2
	v_cmp_gt_u64_e64 s2, 0x10000, s[12:13]
	s_and_b32 s1, s1, exec_lo
	s_cselect_b32 s15, s13, 0
	s_cselect_b32 s14, s12, 0x10000
	v_add_co_u32 v1, vcc_lo, s6, v16
	v_add_co_ci_u32_e64 v2, null, s7, v17, vcc_lo
	v_add_co_u32 v3, vcc_lo, s8, v16
	v_add_co_ci_u32_e64 v5, null, s9, v17, vcc_lo
	s_waitcnt lgkmcnt(0)
	s_and_b32 s0, s0, 0xffff
	s_and_b32 s1, s2, exec_lo
	s_mul_i32 s2, s0, 3
	s_cselect_b32 s17, s13, 0
	s_cselect_b32 s16, s12, 0x10000
	s_lshl_b32 s1, s0, 1
	s_lshl_b32 s20, s0, 2
	s_add_u32 s3, s10, s2
	s_addc_u32 s18, s11, 0
	v_add_co_u32 v8, s3, s3, v0
	v_add_co_ci_u32_e64 v9, null, s18, 0, s3
	s_add_u32 s3, s10, s1
	s_addc_u32 s18, s11, 0
	v_add_co_u32 v14, s3, s3, v0
	v_add_co_u32 v6, vcc_lo, s6, v8
	v_add_co_ci_u32_e64 v15, null, s18, 0, s3
	v_add_co_ci_u32_e64 v7, null, s7, v9, vcc_lo
	v_add_co_u32 v8, vcc_lo, s8, v8
	v_add_co_ci_u32_e64 v9, null, s9, v9, vcc_lo
	v_add_co_u32 v12, vcc_lo, s6, v14
	;; [unrolled: 2-line block ×4, first 2 shown]
	v_add_co_ci_u32_e64 v21, null, 0, v17, vcc_lo
	v_add_co_u32 v10, s2, s2, v0
	v_add_co_u32 v18, vcc_lo, s6, v20
	v_add_co_u32 v16, s1, s1, v0
	v_add_co_ci_u32_e64 v19, null, s7, v21, vcc_lo
	v_add_co_u32 v20, vcc_lo, s8, v20
	v_add_co_u32 v22, s0, v0, s0
	v_add_co_ci_u32_e64 v11, null, 0, 0, s2
	v_add_co_ci_u32_e64 v17, null, 0, 0, s1
	v_add_co_ci_u32_e64 v21, null, s9, v21, vcc_lo
	v_add_co_ci_u32_e64 v23, null, 0, 0, s0
	s_mov_b64 s[18:19], 0
	s_branch .LBB12_4
.LBB12_3:                               ;   in Loop: Header=BB12_4 Depth=1
	s_or_b32 exec_lo, exec_lo, s0
	s_add_u32 s18, s18, s20
	s_addc_u32 s19, s19, 0
	v_cmp_lt_i64_e64 s0, s[18:19], s[14:15]
	s_and_b32 vcc_lo, exec_lo, s0
	s_cbranch_vccz .LBB12_20
.LBB12_4:                               ; =>This Inner Loop Header: Depth=1
	s_waitcnt vmcnt(0)
	v_add_co_u32 v24, s0, v0, s18
	v_add_co_ci_u32_e64 v25, null, 0, s19, s0
	v_cmp_gt_u64_e32 vcc_lo, s[16:17], v[24:25]
	v_mov_b32_e32 v25, 0
	s_and_saveexec_b32 s1, vcc_lo
	s_cbranch_execz .LBB12_6
; %bb.5:                                ;   in Loop: Header=BB12_4 Depth=1
	v_add_co_u32 v24, s0, v1, s18
	v_add_co_ci_u32_e64 v25, null, s19, v2, s0
	global_load_ubyte v25, v[24:25], off
.LBB12_6:                               ;   in Loop: Header=BB12_4 Depth=1
	s_or_b32 exec_lo, exec_lo, s1
	v_add_co_u32 v26, s0, v22, s18
	v_add_co_ci_u32_e64 v27, null, s19, v23, s0
	v_mov_b32_e32 v24, 0
	v_cmp_gt_u64_e64 s0, s[16:17], v[26:27]
	v_mov_b32_e32 v26, 0
	s_and_saveexec_b32 s2, s0
	s_cbranch_execz .LBB12_8
; %bb.7:                                ;   in Loop: Header=BB12_4 Depth=1
	v_add_co_u32 v26, s1, v18, s18
	v_add_co_ci_u32_e64 v27, null, s19, v19, s1
	global_load_ubyte v26, v[26:27], off
.LBB12_8:                               ;   in Loop: Header=BB12_4 Depth=1
	s_or_b32 exec_lo, exec_lo, s2
	v_add_co_u32 v27, s1, v16, s18
	v_add_co_ci_u32_e64 v28, null, s19, v17, s1
	v_cmp_gt_u64_e64 s1, s[16:17], v[27:28]
	s_and_saveexec_b32 s3, s1
	s_cbranch_execz .LBB12_10
; %bb.9:                                ;   in Loop: Header=BB12_4 Depth=1
	v_add_co_u32 v27, s2, v12, s18
	v_add_co_ci_u32_e64 v28, null, s19, v13, s2
	global_load_ubyte v24, v[27:28], off
.LBB12_10:                              ;   in Loop: Header=BB12_4 Depth=1
	s_or_b32 exec_lo, exec_lo, s3
	v_add_co_u32 v27, s2, v10, s18
	v_add_co_ci_u32_e64 v28, null, s19, v11, s2
	v_cmp_gt_u64_e64 s2, s[16:17], v[27:28]
	v_mov_b32_e32 v27, 0
	s_and_saveexec_b32 s21, s2
	s_cbranch_execnz .LBB12_15
; %bb.11:                               ;   in Loop: Header=BB12_4 Depth=1
	s_or_b32 exec_lo, exec_lo, s21
	s_and_saveexec_b32 s3, vcc_lo
	s_cbranch_execnz .LBB12_16
.LBB12_12:                              ;   in Loop: Header=BB12_4 Depth=1
	s_or_b32 exec_lo, exec_lo, s3
	s_and_saveexec_b32 s3, s0
	s_cbranch_execnz .LBB12_17
.LBB12_13:                              ;   in Loop: Header=BB12_4 Depth=1
	s_or_b32 exec_lo, exec_lo, s3
	s_and_saveexec_b32 s0, s1
	s_cbranch_execnz .LBB12_18
.LBB12_14:                              ;   in Loop: Header=BB12_4 Depth=1
	s_or_b32 exec_lo, exec_lo, s0
	s_and_saveexec_b32 s0, s2
	s_cbranch_execz .LBB12_3
	s_branch .LBB12_19
.LBB12_15:                              ;   in Loop: Header=BB12_4 Depth=1
	v_add_co_u32 v27, s3, v6, s18
	v_add_co_ci_u32_e64 v28, null, s19, v7, s3
	global_load_ubyte v27, v[27:28], off
	s_or_b32 exec_lo, exec_lo, s21
	s_and_saveexec_b32 s3, vcc_lo
	s_cbranch_execz .LBB12_12
.LBB12_16:                              ;   in Loop: Header=BB12_4 Depth=1
	v_add_co_u32 v28, vcc_lo, v3, s18
	s_waitcnt vmcnt(0)
	v_add_nc_u16 v25, v25, v4
	v_add_co_ci_u32_e64 v29, null, s19, v5, vcc_lo
	global_store_byte v[28:29], v25, off
	s_or_b32 exec_lo, exec_lo, s3
	s_and_saveexec_b32 s3, s0
	s_cbranch_execz .LBB12_13
.LBB12_17:                              ;   in Loop: Header=BB12_4 Depth=1
	s_waitcnt vmcnt(0)
	v_add_co_u32 v25, vcc_lo, v20, s18
	v_add_nc_u16 v28, v26, v4
	v_add_co_ci_u32_e64 v26, null, s19, v21, vcc_lo
	global_store_byte v[25:26], v28, off
	s_or_b32 exec_lo, exec_lo, s3
	s_and_saveexec_b32 s0, s1
	s_cbranch_execz .LBB12_14
.LBB12_18:                              ;   in Loop: Header=BB12_4 Depth=1
	s_waitcnt vmcnt(0)
	v_add_nc_u16 v26, v24, v4
	v_add_co_u32 v24, vcc_lo, v14, s18
	v_add_co_ci_u32_e64 v25, null, s19, v15, vcc_lo
	global_store_byte v[24:25], v26, off
	s_or_b32 exec_lo, exec_lo, s0
	s_and_saveexec_b32 s0, s2
	s_cbranch_execz .LBB12_3
.LBB12_19:                              ;   in Loop: Header=BB12_4 Depth=1
	s_waitcnt vmcnt(0)
	v_add_co_u32 v24, vcc_lo, v8, s18
	v_add_nc_u16 v26, v27, v4
	v_add_co_ci_u32_e64 v25, null, s19, v9, vcc_lo
	global_store_byte v[24:25], v26, off
	s_branch .LBB12_3
.LBB12_20:
	s_mov_b32 s0, 0
.LBB12_21:
	s_andn2_b32 vcc_lo, exec_lo, s0
	s_cbranch_vccnz .LBB12_25
; %bb.22:
	v_cmp_gt_i64_e64 s0, 0x10000, s[12:13]
	v_mov_b32_e32 v3, 0
	v_lshlrev_b32_e32 v2, 2, v0
	s_mov_b32 s1, 0
	s_and_b32 s0, s0, exec_lo
	s_cselect_b32 s3, s13, 0
	s_cselect_b32 s2, s12, 0x10000
	s_mov_b32 s0, exec_lo
	v_cmpx_gt_i64_e64 s[2:3], v[2:3]
	s_cbranch_execz .LBB12_25
; %bb.23:
	s_load_dword s0, s[4:5], 0xc94
	v_add_co_u32 v2, s4, s10, v2
	v_mov_b32_e32 v1, v3
	v_add_co_ci_u32_e64 v3, null, s11, 0, s4
	s_waitcnt lgkmcnt(0)
	s_and_b32 s4, s0, 0xffff
	s_lshl_b32 s5, s4, 2
	s_inst_prefetch 0x1
	.p2align	6
.LBB12_24:                              ; =>This Inner Loop Header: Depth=1
	v_add_co_u32 v5, vcc_lo, s6, v2
	v_add_co_ci_u32_e64 v6, null, s7, v3, vcc_lo
	v_add_co_u32 v0, vcc_lo, v0, s4
	v_add_co_ci_u32_e64 v1, null, 0, v1, vcc_lo
	global_load_dword v6, v[5:6], off
	v_add_co_u32 v5, vcc_lo, s8, v2
	v_lshlrev_b64 v[7:8], 2, v[0:1]
	v_add_co_u32 v2, s0, v2, s5
	s_waitcnt vmcnt(0)
	v_lshrrev_b32_e32 v9, 8, v6
	v_lshrrev_b32_e32 v10, 24, v6
	;; [unrolled: 1-line block ×3, first 2 shown]
	v_add_nc_u16 v12, v4, v6
	v_add_co_ci_u32_e64 v6, null, s9, v3, vcc_lo
	v_add_nc_u16 v9, v4, v9
	v_add_nc_u16 v10, v4, v10
	;; [unrolled: 1-line block ×3, first 2 shown]
	v_cmp_le_i64_e32 vcc_lo, s[2:3], v[7:8]
	v_add_co_ci_u32_e64 v3, null, 0, v3, s0
	v_lshlrev_b16 v9, 8, v9
	v_lshlrev_b16 v10, 8, v10
	s_or_b32 s1, vcc_lo, s1
	v_or_b32_sdwa v9, v12, v9 dst_sel:DWORD dst_unused:UNUSED_PAD src0_sel:BYTE_0 src1_sel:DWORD
	v_or_b32_sdwa v10, v11, v10 dst_sel:WORD_1 dst_unused:UNUSED_PAD src0_sel:BYTE_0 src1_sel:DWORD
	v_or_b32_sdwa v7, v9, v10 dst_sel:DWORD dst_unused:UNUSED_PAD src0_sel:WORD_0 src1_sel:DWORD
	global_store_dword v[5:6], v7, off
	s_andn2_b32 exec_lo, exec_lo, s1
	s_cbranch_execnz .LBB12_24
.LBB12_25:
	s_inst_prefetch 0x2
	s_endpgm
	.section	.rodata,"a",@progbits
	.p2align	6, 0x0
	.amdhsa_kernel _ZN2at6native12_GLOBAL__N_125multi_tensor_apply_kernelINS1_28TensorListScalarListMetadataIhLi2EEENS1_25BinaryOpScalarListFunctorIhLi2ELi1ELi1EEEJSt4plusIhEEEEvT_T0_DpT1_
		.amdhsa_group_segment_fixed_size 0
		.amdhsa_private_segment_fixed_size 0
		.amdhsa_kernarg_size 3464
		.amdhsa_user_sgpr_count 6
		.amdhsa_user_sgpr_private_segment_buffer 1
		.amdhsa_user_sgpr_dispatch_ptr 0
		.amdhsa_user_sgpr_queue_ptr 0
		.amdhsa_user_sgpr_kernarg_segment_ptr 1
		.amdhsa_user_sgpr_dispatch_id 0
		.amdhsa_user_sgpr_flat_scratch_init 0
		.amdhsa_user_sgpr_private_segment_size 0
		.amdhsa_wavefront_size32 1
		.amdhsa_uses_dynamic_stack 0
		.amdhsa_system_sgpr_private_segment_wavefront_offset 0
		.amdhsa_system_sgpr_workgroup_id_x 1
		.amdhsa_system_sgpr_workgroup_id_y 0
		.amdhsa_system_sgpr_workgroup_id_z 0
		.amdhsa_system_sgpr_workgroup_info 0
		.amdhsa_system_vgpr_workitem_id 0
		.amdhsa_next_free_vgpr 30
		.amdhsa_next_free_sgpr 22
		.amdhsa_reserve_vcc 1
		.amdhsa_reserve_flat_scratch 0
		.amdhsa_float_round_mode_32 0
		.amdhsa_float_round_mode_16_64 0
		.amdhsa_float_denorm_mode_32 3
		.amdhsa_float_denorm_mode_16_64 3
		.amdhsa_dx10_clamp 1
		.amdhsa_ieee_mode 1
		.amdhsa_fp16_overflow 0
		.amdhsa_workgroup_processor_mode 1
		.amdhsa_memory_ordered 1
		.amdhsa_forward_progress 1
		.amdhsa_shared_vgpr_count 0
		.amdhsa_exception_fp_ieee_invalid_op 0
		.amdhsa_exception_fp_denorm_src 0
		.amdhsa_exception_fp_ieee_div_zero 0
		.amdhsa_exception_fp_ieee_overflow 0
		.amdhsa_exception_fp_ieee_underflow 0
		.amdhsa_exception_fp_ieee_inexact 0
		.amdhsa_exception_int_div_zero 0
	.end_amdhsa_kernel
	.section	.text._ZN2at6native12_GLOBAL__N_125multi_tensor_apply_kernelINS1_28TensorListScalarListMetadataIhLi2EEENS1_25BinaryOpScalarListFunctorIhLi2ELi1ELi1EEEJSt4plusIhEEEEvT_T0_DpT1_,"axG",@progbits,_ZN2at6native12_GLOBAL__N_125multi_tensor_apply_kernelINS1_28TensorListScalarListMetadataIhLi2EEENS1_25BinaryOpScalarListFunctorIhLi2ELi1ELi1EEEJSt4plusIhEEEEvT_T0_DpT1_,comdat
.Lfunc_end12:
	.size	_ZN2at6native12_GLOBAL__N_125multi_tensor_apply_kernelINS1_28TensorListScalarListMetadataIhLi2EEENS1_25BinaryOpScalarListFunctorIhLi2ELi1ELi1EEEJSt4plusIhEEEEvT_T0_DpT1_, .Lfunc_end12-_ZN2at6native12_GLOBAL__N_125multi_tensor_apply_kernelINS1_28TensorListScalarListMetadataIhLi2EEENS1_25BinaryOpScalarListFunctorIhLi2ELi1ELi1EEEJSt4plusIhEEEEvT_T0_DpT1_
                                        ; -- End function
	.set _ZN2at6native12_GLOBAL__N_125multi_tensor_apply_kernelINS1_28TensorListScalarListMetadataIhLi2EEENS1_25BinaryOpScalarListFunctorIhLi2ELi1ELi1EEEJSt4plusIhEEEEvT_T0_DpT1_.num_vgpr, 30
	.set _ZN2at6native12_GLOBAL__N_125multi_tensor_apply_kernelINS1_28TensorListScalarListMetadataIhLi2EEENS1_25BinaryOpScalarListFunctorIhLi2ELi1ELi1EEEJSt4plusIhEEEEvT_T0_DpT1_.num_agpr, 0
	.set _ZN2at6native12_GLOBAL__N_125multi_tensor_apply_kernelINS1_28TensorListScalarListMetadataIhLi2EEENS1_25BinaryOpScalarListFunctorIhLi2ELi1ELi1EEEJSt4plusIhEEEEvT_T0_DpT1_.numbered_sgpr, 22
	.set _ZN2at6native12_GLOBAL__N_125multi_tensor_apply_kernelINS1_28TensorListScalarListMetadataIhLi2EEENS1_25BinaryOpScalarListFunctorIhLi2ELi1ELi1EEEJSt4plusIhEEEEvT_T0_DpT1_.num_named_barrier, 0
	.set _ZN2at6native12_GLOBAL__N_125multi_tensor_apply_kernelINS1_28TensorListScalarListMetadataIhLi2EEENS1_25BinaryOpScalarListFunctorIhLi2ELi1ELi1EEEJSt4plusIhEEEEvT_T0_DpT1_.private_seg_size, 0
	.set _ZN2at6native12_GLOBAL__N_125multi_tensor_apply_kernelINS1_28TensorListScalarListMetadataIhLi2EEENS1_25BinaryOpScalarListFunctorIhLi2ELi1ELi1EEEJSt4plusIhEEEEvT_T0_DpT1_.uses_vcc, 1
	.set _ZN2at6native12_GLOBAL__N_125multi_tensor_apply_kernelINS1_28TensorListScalarListMetadataIhLi2EEENS1_25BinaryOpScalarListFunctorIhLi2ELi1ELi1EEEJSt4plusIhEEEEvT_T0_DpT1_.uses_flat_scratch, 0
	.set _ZN2at6native12_GLOBAL__N_125multi_tensor_apply_kernelINS1_28TensorListScalarListMetadataIhLi2EEENS1_25BinaryOpScalarListFunctorIhLi2ELi1ELi1EEEJSt4plusIhEEEEvT_T0_DpT1_.has_dyn_sized_stack, 0
	.set _ZN2at6native12_GLOBAL__N_125multi_tensor_apply_kernelINS1_28TensorListScalarListMetadataIhLi2EEENS1_25BinaryOpScalarListFunctorIhLi2ELi1ELi1EEEJSt4plusIhEEEEvT_T0_DpT1_.has_recursion, 0
	.set _ZN2at6native12_GLOBAL__N_125multi_tensor_apply_kernelINS1_28TensorListScalarListMetadataIhLi2EEENS1_25BinaryOpScalarListFunctorIhLi2ELi1ELi1EEEJSt4plusIhEEEEvT_T0_DpT1_.has_indirect_call, 0
	.section	.AMDGPU.csdata,"",@progbits
; Kernel info:
; codeLenInByte = 1416
; TotalNumSgprs: 24
; NumVgprs: 30
; ScratchSize: 0
; MemoryBound: 0
; FloatMode: 240
; IeeeMode: 1
; LDSByteSize: 0 bytes/workgroup (compile time only)
; SGPRBlocks: 0
; VGPRBlocks: 3
; NumSGPRsForWavesPerEU: 24
; NumVGPRsForWavesPerEU: 30
; Occupancy: 16
; WaveLimiterHint : 0
; COMPUTE_PGM_RSRC2:SCRATCH_EN: 0
; COMPUTE_PGM_RSRC2:USER_SGPR: 6
; COMPUTE_PGM_RSRC2:TRAP_HANDLER: 0
; COMPUTE_PGM_RSRC2:TGID_X_EN: 1
; COMPUTE_PGM_RSRC2:TGID_Y_EN: 0
; COMPUTE_PGM_RSRC2:TGID_Z_EN: 0
; COMPUTE_PGM_RSRC2:TIDIG_COMP_CNT: 0
	.section	.text._ZN2at6native12_GLOBAL__N_125multi_tensor_apply_kernelINS1_28TensorListScalarListMetadataIaLi2EEENS1_25BinaryOpScalarListFunctorIaLi2ELi1ELi1EEEJSt4plusIaEEEEvT_T0_DpT1_,"axG",@progbits,_ZN2at6native12_GLOBAL__N_125multi_tensor_apply_kernelINS1_28TensorListScalarListMetadataIaLi2EEENS1_25BinaryOpScalarListFunctorIaLi2ELi1ELi1EEEJSt4plusIaEEEEvT_T0_DpT1_,comdat
	.globl	_ZN2at6native12_GLOBAL__N_125multi_tensor_apply_kernelINS1_28TensorListScalarListMetadataIaLi2EEENS1_25BinaryOpScalarListFunctorIaLi2ELi1ELi1EEEJSt4plusIaEEEEvT_T0_DpT1_ ; -- Begin function _ZN2at6native12_GLOBAL__N_125multi_tensor_apply_kernelINS1_28TensorListScalarListMetadataIaLi2EEENS1_25BinaryOpScalarListFunctorIaLi2ELi1ELi1EEEJSt4plusIaEEEEvT_T0_DpT1_
	.p2align	8
	.type	_ZN2at6native12_GLOBAL__N_125multi_tensor_apply_kernelINS1_28TensorListScalarListMetadataIaLi2EEENS1_25BinaryOpScalarListFunctorIaLi2ELi1ELi1EEEJSt4plusIaEEEEvT_T0_DpT1_,@function
_ZN2at6native12_GLOBAL__N_125multi_tensor_apply_kernelINS1_28TensorListScalarListMetadataIaLi2EEENS1_25BinaryOpScalarListFunctorIaLi2ELi1ELi1EEEJSt4plusIaEEEEvT_T0_DpT1_: ; @_ZN2at6native12_GLOBAL__N_125multi_tensor_apply_kernelINS1_28TensorListScalarListMetadataIaLi2EEENS1_25BinaryOpScalarListFunctorIaLi2ELi1ELi1EEEJSt4plusIaEEEEvT_T0_DpT1_
; %bb.0:
	v_mov_b32_e32 v1, s6
	s_mul_i32 s2, s6, 3
	s_mul_hi_u32 s3, s6, 3
	global_load_ubyte v3, v1, s[4:5] offset:1600
	s_waitcnt vmcnt(0)
	v_add_co_u32 v1, s0, s4, v3
	v_add_co_ci_u32_e64 v2, null, s5, 0, s0
	s_add_u32 s0, s4, s6
	s_addc_u32 s1, s5, 0
	s_add_u32 s0, s0, s2
	global_load_ubyte v4, v[1:2], off offset:1536
	s_addc_u32 s1, s1, s3
	v_readfirstlane_b32 s2, v3
	s_load_dword s0, s[0:1], 0x780
	s_lshl_b32 s1, s2, 3
	s_clause 0x2
	s_load_dwordx2 s[6:7], s[4:5], s1 offset:0x0
	s_load_dwordx2 s[2:3], s[4:5], s1 offset:0x400
	;; [unrolled: 1-line block ×3, first 2 shown]
	s_waitcnt lgkmcnt(0)
	s_ashr_i32 s1, s0, 31
	s_lshl_b64 s[10:11], s[0:1], 16
	s_add_u32 s0, s6, s10
	s_sub_u32 s12, s2, s10
	s_subb_u32 s13, s3, s11
	s_or_b32 s1, s2, s8
	s_or_b32 s0, s1, s0
	s_and_b32 s0, s0, 3
	s_cmp_eq_u32 s0, 0
	s_mov_b32 s0, -1
	s_cbranch_scc1 .LBB13_21
; %bb.1:
	v_cmp_lt_i64_e64 s0, s[12:13], 1
	s_and_b32 vcc_lo, exec_lo, s0
	s_cbranch_vccnz .LBB13_20
; %bb.2:
	s_load_dword s0, s[4:5], 0xc94
	v_cmp_gt_i64_e64 s1, 0x10000, s[12:13]
	v_add_co_u32 v16, s2, s10, v0
	v_add_co_ci_u32_e64 v17, null, s11, 0, s2
	v_cmp_gt_u64_e64 s2, 0x10000, s[12:13]
	s_and_b32 s1, s1, exec_lo
	s_cselect_b32 s15, s13, 0
	s_cselect_b32 s14, s12, 0x10000
	v_add_co_u32 v1, vcc_lo, s6, v16
	v_add_co_ci_u32_e64 v2, null, s7, v17, vcc_lo
	v_add_co_u32 v3, vcc_lo, s8, v16
	v_add_co_ci_u32_e64 v5, null, s9, v17, vcc_lo
	s_waitcnt lgkmcnt(0)
	s_and_b32 s0, s0, 0xffff
	s_and_b32 s1, s2, exec_lo
	s_mul_i32 s2, s0, 3
	s_cselect_b32 s17, s13, 0
	s_cselect_b32 s16, s12, 0x10000
	s_lshl_b32 s1, s0, 1
	s_lshl_b32 s20, s0, 2
	s_add_u32 s3, s10, s2
	s_addc_u32 s18, s11, 0
	v_add_co_u32 v8, s3, s3, v0
	v_add_co_ci_u32_e64 v9, null, s18, 0, s3
	s_add_u32 s3, s10, s1
	s_addc_u32 s18, s11, 0
	v_add_co_u32 v14, s3, s3, v0
	v_add_co_u32 v6, vcc_lo, s6, v8
	v_add_co_ci_u32_e64 v15, null, s18, 0, s3
	v_add_co_ci_u32_e64 v7, null, s7, v9, vcc_lo
	v_add_co_u32 v8, vcc_lo, s8, v8
	v_add_co_ci_u32_e64 v9, null, s9, v9, vcc_lo
	v_add_co_u32 v12, vcc_lo, s6, v14
	;; [unrolled: 2-line block ×4, first 2 shown]
	v_add_co_ci_u32_e64 v21, null, 0, v17, vcc_lo
	v_add_co_u32 v10, s2, s2, v0
	v_add_co_u32 v18, vcc_lo, s6, v20
	v_add_co_u32 v16, s1, s1, v0
	v_add_co_ci_u32_e64 v19, null, s7, v21, vcc_lo
	v_add_co_u32 v20, vcc_lo, s8, v20
	v_add_co_u32 v22, s0, v0, s0
	v_add_co_ci_u32_e64 v11, null, 0, 0, s2
	v_add_co_ci_u32_e64 v17, null, 0, 0, s1
	v_add_co_ci_u32_e64 v21, null, s9, v21, vcc_lo
	v_add_co_ci_u32_e64 v23, null, 0, 0, s0
	s_mov_b64 s[18:19], 0
	s_branch .LBB13_4
.LBB13_3:                               ;   in Loop: Header=BB13_4 Depth=1
	s_or_b32 exec_lo, exec_lo, s0
	s_add_u32 s18, s18, s20
	s_addc_u32 s19, s19, 0
	v_cmp_lt_i64_e64 s0, s[18:19], s[14:15]
	s_and_b32 vcc_lo, exec_lo, s0
	s_cbranch_vccz .LBB13_20
.LBB13_4:                               ; =>This Inner Loop Header: Depth=1
	s_waitcnt vmcnt(0)
	v_add_co_u32 v24, s0, v0, s18
	v_add_co_ci_u32_e64 v25, null, 0, s19, s0
	v_cmp_gt_u64_e32 vcc_lo, s[16:17], v[24:25]
	v_mov_b32_e32 v25, 0
	s_and_saveexec_b32 s1, vcc_lo
	s_cbranch_execz .LBB13_6
; %bb.5:                                ;   in Loop: Header=BB13_4 Depth=1
	v_add_co_u32 v24, s0, v1, s18
	v_add_co_ci_u32_e64 v25, null, s19, v2, s0
	global_load_ubyte v25, v[24:25], off
.LBB13_6:                               ;   in Loop: Header=BB13_4 Depth=1
	s_or_b32 exec_lo, exec_lo, s1
	v_add_co_u32 v26, s0, v22, s18
	v_add_co_ci_u32_e64 v27, null, s19, v23, s0
	v_mov_b32_e32 v24, 0
	v_cmp_gt_u64_e64 s0, s[16:17], v[26:27]
	v_mov_b32_e32 v26, 0
	s_and_saveexec_b32 s2, s0
	s_cbranch_execz .LBB13_8
; %bb.7:                                ;   in Loop: Header=BB13_4 Depth=1
	v_add_co_u32 v26, s1, v18, s18
	v_add_co_ci_u32_e64 v27, null, s19, v19, s1
	global_load_ubyte v26, v[26:27], off
.LBB13_8:                               ;   in Loop: Header=BB13_4 Depth=1
	s_or_b32 exec_lo, exec_lo, s2
	v_add_co_u32 v27, s1, v16, s18
	v_add_co_ci_u32_e64 v28, null, s19, v17, s1
	v_cmp_gt_u64_e64 s1, s[16:17], v[27:28]
	s_and_saveexec_b32 s3, s1
	s_cbranch_execz .LBB13_10
; %bb.9:                                ;   in Loop: Header=BB13_4 Depth=1
	v_add_co_u32 v27, s2, v12, s18
	v_add_co_ci_u32_e64 v28, null, s19, v13, s2
	global_load_ubyte v24, v[27:28], off
.LBB13_10:                              ;   in Loop: Header=BB13_4 Depth=1
	s_or_b32 exec_lo, exec_lo, s3
	v_add_co_u32 v27, s2, v10, s18
	v_add_co_ci_u32_e64 v28, null, s19, v11, s2
	v_cmp_gt_u64_e64 s2, s[16:17], v[27:28]
	v_mov_b32_e32 v27, 0
	s_and_saveexec_b32 s21, s2
	s_cbranch_execnz .LBB13_15
; %bb.11:                               ;   in Loop: Header=BB13_4 Depth=1
	s_or_b32 exec_lo, exec_lo, s21
	s_and_saveexec_b32 s3, vcc_lo
	s_cbranch_execnz .LBB13_16
.LBB13_12:                              ;   in Loop: Header=BB13_4 Depth=1
	s_or_b32 exec_lo, exec_lo, s3
	s_and_saveexec_b32 s3, s0
	s_cbranch_execnz .LBB13_17
.LBB13_13:                              ;   in Loop: Header=BB13_4 Depth=1
	s_or_b32 exec_lo, exec_lo, s3
	s_and_saveexec_b32 s0, s1
	s_cbranch_execnz .LBB13_18
.LBB13_14:                              ;   in Loop: Header=BB13_4 Depth=1
	s_or_b32 exec_lo, exec_lo, s0
	s_and_saveexec_b32 s0, s2
	s_cbranch_execz .LBB13_3
	s_branch .LBB13_19
.LBB13_15:                              ;   in Loop: Header=BB13_4 Depth=1
	v_add_co_u32 v27, s3, v6, s18
	v_add_co_ci_u32_e64 v28, null, s19, v7, s3
	global_load_ubyte v27, v[27:28], off
	s_or_b32 exec_lo, exec_lo, s21
	s_and_saveexec_b32 s3, vcc_lo
	s_cbranch_execz .LBB13_12
.LBB13_16:                              ;   in Loop: Header=BB13_4 Depth=1
	v_add_co_u32 v28, vcc_lo, v3, s18
	s_waitcnt vmcnt(0)
	v_add_nc_u16 v25, v25, v4
	v_add_co_ci_u32_e64 v29, null, s19, v5, vcc_lo
	global_store_byte v[28:29], v25, off
	s_or_b32 exec_lo, exec_lo, s3
	s_and_saveexec_b32 s3, s0
	s_cbranch_execz .LBB13_13
.LBB13_17:                              ;   in Loop: Header=BB13_4 Depth=1
	s_waitcnt vmcnt(0)
	v_add_co_u32 v25, vcc_lo, v20, s18
	v_add_nc_u16 v28, v26, v4
	v_add_co_ci_u32_e64 v26, null, s19, v21, vcc_lo
	global_store_byte v[25:26], v28, off
	s_or_b32 exec_lo, exec_lo, s3
	s_and_saveexec_b32 s0, s1
	s_cbranch_execz .LBB13_14
.LBB13_18:                              ;   in Loop: Header=BB13_4 Depth=1
	s_waitcnt vmcnt(0)
	v_add_nc_u16 v26, v24, v4
	v_add_co_u32 v24, vcc_lo, v14, s18
	v_add_co_ci_u32_e64 v25, null, s19, v15, vcc_lo
	global_store_byte v[24:25], v26, off
	s_or_b32 exec_lo, exec_lo, s0
	s_and_saveexec_b32 s0, s2
	s_cbranch_execz .LBB13_3
.LBB13_19:                              ;   in Loop: Header=BB13_4 Depth=1
	s_waitcnt vmcnt(0)
	v_add_co_u32 v24, vcc_lo, v8, s18
	v_add_nc_u16 v26, v27, v4
	v_add_co_ci_u32_e64 v25, null, s19, v9, vcc_lo
	global_store_byte v[24:25], v26, off
	s_branch .LBB13_3
.LBB13_20:
	s_mov_b32 s0, 0
.LBB13_21:
	s_andn2_b32 vcc_lo, exec_lo, s0
	s_cbranch_vccnz .LBB13_25
; %bb.22:
	v_cmp_gt_i64_e64 s0, 0x10000, s[12:13]
	v_mov_b32_e32 v3, 0
	v_lshlrev_b32_e32 v2, 2, v0
	s_mov_b32 s1, 0
	s_and_b32 s0, s0, exec_lo
	s_cselect_b32 s3, s13, 0
	s_cselect_b32 s2, s12, 0x10000
	s_mov_b32 s0, exec_lo
	v_cmpx_gt_i64_e64 s[2:3], v[2:3]
	s_cbranch_execz .LBB13_25
; %bb.23:
	s_load_dword s0, s[4:5], 0xc94
	v_add_co_u32 v2, s4, s10, v2
	v_mov_b32_e32 v1, v3
	v_add_co_ci_u32_e64 v3, null, s11, 0, s4
	s_waitcnt lgkmcnt(0)
	s_and_b32 s4, s0, 0xffff
	s_lshl_b32 s5, s4, 2
	s_inst_prefetch 0x1
	.p2align	6
.LBB13_24:                              ; =>This Inner Loop Header: Depth=1
	v_add_co_u32 v5, vcc_lo, s6, v2
	v_add_co_ci_u32_e64 v6, null, s7, v3, vcc_lo
	v_add_co_u32 v0, vcc_lo, v0, s4
	v_add_co_ci_u32_e64 v1, null, 0, v1, vcc_lo
	global_load_dword v6, v[5:6], off
	v_add_co_u32 v5, vcc_lo, s8, v2
	v_lshlrev_b64 v[7:8], 2, v[0:1]
	v_add_co_u32 v2, s0, v2, s5
	s_waitcnt vmcnt(0)
	v_lshrrev_b32_e32 v9, 8, v6
	v_lshrrev_b32_e32 v10, 24, v6
	;; [unrolled: 1-line block ×3, first 2 shown]
	v_add_nc_u16 v12, v4, v6
	v_add_co_ci_u32_e64 v6, null, s9, v3, vcc_lo
	v_add_nc_u16 v9, v4, v9
	v_add_nc_u16 v10, v4, v10
	;; [unrolled: 1-line block ×3, first 2 shown]
	v_cmp_le_i64_e32 vcc_lo, s[2:3], v[7:8]
	v_add_co_ci_u32_e64 v3, null, 0, v3, s0
	v_lshlrev_b16 v9, 8, v9
	v_lshlrev_b16 v10, 8, v10
	s_or_b32 s1, vcc_lo, s1
	v_or_b32_sdwa v9, v12, v9 dst_sel:DWORD dst_unused:UNUSED_PAD src0_sel:BYTE_0 src1_sel:DWORD
	v_or_b32_sdwa v10, v11, v10 dst_sel:WORD_1 dst_unused:UNUSED_PAD src0_sel:BYTE_0 src1_sel:DWORD
	v_or_b32_sdwa v7, v9, v10 dst_sel:DWORD dst_unused:UNUSED_PAD src0_sel:WORD_0 src1_sel:DWORD
	global_store_dword v[5:6], v7, off
	s_andn2_b32 exec_lo, exec_lo, s1
	s_cbranch_execnz .LBB13_24
.LBB13_25:
	s_inst_prefetch 0x2
	s_endpgm
	.section	.rodata,"a",@progbits
	.p2align	6, 0x0
	.amdhsa_kernel _ZN2at6native12_GLOBAL__N_125multi_tensor_apply_kernelINS1_28TensorListScalarListMetadataIaLi2EEENS1_25BinaryOpScalarListFunctorIaLi2ELi1ELi1EEEJSt4plusIaEEEEvT_T0_DpT1_
		.amdhsa_group_segment_fixed_size 0
		.amdhsa_private_segment_fixed_size 0
		.amdhsa_kernarg_size 3464
		.amdhsa_user_sgpr_count 6
		.amdhsa_user_sgpr_private_segment_buffer 1
		.amdhsa_user_sgpr_dispatch_ptr 0
		.amdhsa_user_sgpr_queue_ptr 0
		.amdhsa_user_sgpr_kernarg_segment_ptr 1
		.amdhsa_user_sgpr_dispatch_id 0
		.amdhsa_user_sgpr_flat_scratch_init 0
		.amdhsa_user_sgpr_private_segment_size 0
		.amdhsa_wavefront_size32 1
		.amdhsa_uses_dynamic_stack 0
		.amdhsa_system_sgpr_private_segment_wavefront_offset 0
		.amdhsa_system_sgpr_workgroup_id_x 1
		.amdhsa_system_sgpr_workgroup_id_y 0
		.amdhsa_system_sgpr_workgroup_id_z 0
		.amdhsa_system_sgpr_workgroup_info 0
		.amdhsa_system_vgpr_workitem_id 0
		.amdhsa_next_free_vgpr 30
		.amdhsa_next_free_sgpr 22
		.amdhsa_reserve_vcc 1
		.amdhsa_reserve_flat_scratch 0
		.amdhsa_float_round_mode_32 0
		.amdhsa_float_round_mode_16_64 0
		.amdhsa_float_denorm_mode_32 3
		.amdhsa_float_denorm_mode_16_64 3
		.amdhsa_dx10_clamp 1
		.amdhsa_ieee_mode 1
		.amdhsa_fp16_overflow 0
		.amdhsa_workgroup_processor_mode 1
		.amdhsa_memory_ordered 1
		.amdhsa_forward_progress 1
		.amdhsa_shared_vgpr_count 0
		.amdhsa_exception_fp_ieee_invalid_op 0
		.amdhsa_exception_fp_denorm_src 0
		.amdhsa_exception_fp_ieee_div_zero 0
		.amdhsa_exception_fp_ieee_overflow 0
		.amdhsa_exception_fp_ieee_underflow 0
		.amdhsa_exception_fp_ieee_inexact 0
		.amdhsa_exception_int_div_zero 0
	.end_amdhsa_kernel
	.section	.text._ZN2at6native12_GLOBAL__N_125multi_tensor_apply_kernelINS1_28TensorListScalarListMetadataIaLi2EEENS1_25BinaryOpScalarListFunctorIaLi2ELi1ELi1EEEJSt4plusIaEEEEvT_T0_DpT1_,"axG",@progbits,_ZN2at6native12_GLOBAL__N_125multi_tensor_apply_kernelINS1_28TensorListScalarListMetadataIaLi2EEENS1_25BinaryOpScalarListFunctorIaLi2ELi1ELi1EEEJSt4plusIaEEEEvT_T0_DpT1_,comdat
.Lfunc_end13:
	.size	_ZN2at6native12_GLOBAL__N_125multi_tensor_apply_kernelINS1_28TensorListScalarListMetadataIaLi2EEENS1_25BinaryOpScalarListFunctorIaLi2ELi1ELi1EEEJSt4plusIaEEEEvT_T0_DpT1_, .Lfunc_end13-_ZN2at6native12_GLOBAL__N_125multi_tensor_apply_kernelINS1_28TensorListScalarListMetadataIaLi2EEENS1_25BinaryOpScalarListFunctorIaLi2ELi1ELi1EEEJSt4plusIaEEEEvT_T0_DpT1_
                                        ; -- End function
	.set _ZN2at6native12_GLOBAL__N_125multi_tensor_apply_kernelINS1_28TensorListScalarListMetadataIaLi2EEENS1_25BinaryOpScalarListFunctorIaLi2ELi1ELi1EEEJSt4plusIaEEEEvT_T0_DpT1_.num_vgpr, 30
	.set _ZN2at6native12_GLOBAL__N_125multi_tensor_apply_kernelINS1_28TensorListScalarListMetadataIaLi2EEENS1_25BinaryOpScalarListFunctorIaLi2ELi1ELi1EEEJSt4plusIaEEEEvT_T0_DpT1_.num_agpr, 0
	.set _ZN2at6native12_GLOBAL__N_125multi_tensor_apply_kernelINS1_28TensorListScalarListMetadataIaLi2EEENS1_25BinaryOpScalarListFunctorIaLi2ELi1ELi1EEEJSt4plusIaEEEEvT_T0_DpT1_.numbered_sgpr, 22
	.set _ZN2at6native12_GLOBAL__N_125multi_tensor_apply_kernelINS1_28TensorListScalarListMetadataIaLi2EEENS1_25BinaryOpScalarListFunctorIaLi2ELi1ELi1EEEJSt4plusIaEEEEvT_T0_DpT1_.num_named_barrier, 0
	.set _ZN2at6native12_GLOBAL__N_125multi_tensor_apply_kernelINS1_28TensorListScalarListMetadataIaLi2EEENS1_25BinaryOpScalarListFunctorIaLi2ELi1ELi1EEEJSt4plusIaEEEEvT_T0_DpT1_.private_seg_size, 0
	.set _ZN2at6native12_GLOBAL__N_125multi_tensor_apply_kernelINS1_28TensorListScalarListMetadataIaLi2EEENS1_25BinaryOpScalarListFunctorIaLi2ELi1ELi1EEEJSt4plusIaEEEEvT_T0_DpT1_.uses_vcc, 1
	.set _ZN2at6native12_GLOBAL__N_125multi_tensor_apply_kernelINS1_28TensorListScalarListMetadataIaLi2EEENS1_25BinaryOpScalarListFunctorIaLi2ELi1ELi1EEEJSt4plusIaEEEEvT_T0_DpT1_.uses_flat_scratch, 0
	.set _ZN2at6native12_GLOBAL__N_125multi_tensor_apply_kernelINS1_28TensorListScalarListMetadataIaLi2EEENS1_25BinaryOpScalarListFunctorIaLi2ELi1ELi1EEEJSt4plusIaEEEEvT_T0_DpT1_.has_dyn_sized_stack, 0
	.set _ZN2at6native12_GLOBAL__N_125multi_tensor_apply_kernelINS1_28TensorListScalarListMetadataIaLi2EEENS1_25BinaryOpScalarListFunctorIaLi2ELi1ELi1EEEJSt4plusIaEEEEvT_T0_DpT1_.has_recursion, 0
	.set _ZN2at6native12_GLOBAL__N_125multi_tensor_apply_kernelINS1_28TensorListScalarListMetadataIaLi2EEENS1_25BinaryOpScalarListFunctorIaLi2ELi1ELi1EEEJSt4plusIaEEEEvT_T0_DpT1_.has_indirect_call, 0
	.section	.AMDGPU.csdata,"",@progbits
; Kernel info:
; codeLenInByte = 1416
; TotalNumSgprs: 24
; NumVgprs: 30
; ScratchSize: 0
; MemoryBound: 0
; FloatMode: 240
; IeeeMode: 1
; LDSByteSize: 0 bytes/workgroup (compile time only)
; SGPRBlocks: 0
; VGPRBlocks: 3
; NumSGPRsForWavesPerEU: 24
; NumVGPRsForWavesPerEU: 30
; Occupancy: 16
; WaveLimiterHint : 0
; COMPUTE_PGM_RSRC2:SCRATCH_EN: 0
; COMPUTE_PGM_RSRC2:USER_SGPR: 6
; COMPUTE_PGM_RSRC2:TRAP_HANDLER: 0
; COMPUTE_PGM_RSRC2:TGID_X_EN: 1
; COMPUTE_PGM_RSRC2:TGID_Y_EN: 0
; COMPUTE_PGM_RSRC2:TGID_Z_EN: 0
; COMPUTE_PGM_RSRC2:TIDIG_COMP_CNT: 0
	.section	.text._ZN2at6native12_GLOBAL__N_125multi_tensor_apply_kernelINS1_28TensorListScalarListMetadataIiLi2EEENS1_25BinaryOpScalarListFunctorIiLi2ELi1ELi1EEEJSt4plusIiEEEEvT_T0_DpT1_,"axG",@progbits,_ZN2at6native12_GLOBAL__N_125multi_tensor_apply_kernelINS1_28TensorListScalarListMetadataIiLi2EEENS1_25BinaryOpScalarListFunctorIiLi2ELi1ELi1EEEJSt4plusIiEEEEvT_T0_DpT1_,comdat
	.globl	_ZN2at6native12_GLOBAL__N_125multi_tensor_apply_kernelINS1_28TensorListScalarListMetadataIiLi2EEENS1_25BinaryOpScalarListFunctorIiLi2ELi1ELi1EEEJSt4plusIiEEEEvT_T0_DpT1_ ; -- Begin function _ZN2at6native12_GLOBAL__N_125multi_tensor_apply_kernelINS1_28TensorListScalarListMetadataIiLi2EEENS1_25BinaryOpScalarListFunctorIiLi2ELi1ELi1EEEJSt4plusIiEEEEvT_T0_DpT1_
	.p2align	8
	.type	_ZN2at6native12_GLOBAL__N_125multi_tensor_apply_kernelINS1_28TensorListScalarListMetadataIiLi2EEENS1_25BinaryOpScalarListFunctorIiLi2ELi1ELi1EEEJSt4plusIiEEEEvT_T0_DpT1_,@function
_ZN2at6native12_GLOBAL__N_125multi_tensor_apply_kernelINS1_28TensorListScalarListMetadataIiLi2EEENS1_25BinaryOpScalarListFunctorIiLi2ELi1ELi1EEEJSt4plusIiEEEEvT_T0_DpT1_: ; @_ZN2at6native12_GLOBAL__N_125multi_tensor_apply_kernelINS1_28TensorListScalarListMetadataIiLi2EEENS1_25BinaryOpScalarListFunctorIiLi2ELi1ELi1EEEJSt4plusIiEEEEvT_T0_DpT1_
; %bb.0:
	v_mov_b32_e32 v1, s6
	s_add_u32 s0, s4, s6
	s_mul_hi_u32 s1, s6, 3
	s_mul_i32 s6, s6, 3
	s_addc_u32 s2, s5, 0
	global_load_ubyte v1, v1, s[4:5] offset:1792
	s_add_u32 s0, s0, s6
	s_addc_u32 s1, s2, s1
	s_mov_b32 s15, 0
	s_load_dword s0, s[0:1], 0x840
	s_mov_b32 s17, s15
	s_waitcnt vmcnt(0)
	v_readfirstlane_b32 s1, v1
	v_lshlrev_b32_e32 v1, 2, v1
	s_lshl_b32 s10, s1, 3
	v_sub_co_u32 v1, s1, 0, v1
	v_sub_co_ci_u32_e64 v2, null, 0, 0, s1
	s_waitcnt lgkmcnt(0)
	s_ashr_i32 s1, s0, 31
	s_clause 0x2
	s_load_dwordx2 s[2:3], s[4:5], s10 offset:0x400
	s_load_dwordx2 s[6:7], s[4:5], s10 offset:0x0
	;; [unrolled: 1-line block ×3, first 2 shown]
	s_add_u32 s10, s4, s10
	s_addc_u32 s11, s5, 0
	v_add_co_u32 v1, vcc_lo, s10, v1
	v_add_co_ci_u32_e64 v2, null, s11, v2, vcc_lo
	v_readfirstlane_b32 s10, v1
	v_readfirstlane_b32 s11, v2
	s_load_dword s20, s[10:11], 0x600
	s_lshl_b64 s[10:11], s[0:1], 18
	s_lshl_b64 s[0:1], s[0:1], 16
	s_waitcnt lgkmcnt(0)
	s_add_u32 s12, s6, s10
	s_and_b32 s16, s8, 15
	s_and_b32 s14, s12, 15
	s_sub_u32 s12, s2, s0
	s_subb_u32 s13, s3, s1
	s_and_b32 s0, s2, 3
	s_mov_b32 s1, s15
	s_or_b64 s[0:1], s[16:17], s[0:1]
	s_or_b64 s[0:1], s[0:1], s[14:15]
	s_cmp_eq_u64 s[0:1], 0
	s_mov_b32 s0, -1
	s_cbranch_scc1 .LBB14_21
; %bb.1:
	v_cmp_lt_i64_e64 s0, s[12:13], 1
	s_and_b32 vcc_lo, exec_lo, s0
	s_cbranch_vccnz .LBB14_20
; %bb.2:
	s_load_dword s0, s[4:5], 0xd54
	v_cmp_gt_i64_e64 s1, 0x10000, s[12:13]
	v_lshlrev_b32_e32 v9, 2, v0
	v_cmp_gt_u64_e64 s2, 0x10000, s[12:13]
	v_mov_b32_e32 v10, 0
	s_mov_b64 s[18:19], 0
	s_and_b32 s1, s1, exec_lo
	v_add_co_u32 v3, s1, s8, v9
	v_add_co_u32 v1, s3, s6, v9
	s_cselect_b32 s15, s13, 0
	s_cselect_b32 s14, s12, 0x10000
	v_add_co_ci_u32_e64 v4, null, s9, 0, s1
	v_add_co_ci_u32_e64 v2, null, s7, 0, s3
	s_waitcnt lgkmcnt(0)
	s_and_b32 s0, s0, 0xffff
	s_and_b32 s1, s2, exec_lo
	s_cselect_b32 s17, s13, 0
	s_cselect_b32 s16, s12, 0x10000
	s_mul_i32 s2, s0, 3
	s_lshl_b32 s3, s0, 3
	v_mad_u64_u32 v[7:8], null, s0, 12, v[9:10]
	v_add_co_u32 v14, s3, s3, v9
	v_add_co_u32 v9, s2, s2, v0
	v_add_co_ci_u32_e64 v10, null, 0, 0, s2
	v_add_co_u32 v13, s2, v0, s0
	s_lshl_b32 s1, s0, 1
	v_add_co_u32 v5, vcc_lo, s6, v7
	v_lshlrev_b32_e32 v21, 2, v13
	v_add_co_ci_u32_e64 v15, null, 0, 0, s3
	v_add_co_ci_u32_e64 v6, null, s7, v8, vcc_lo
	v_add_co_u32 v7, vcc_lo, s8, v7
	v_add_co_u32 v17, s1, s1, v0
	v_add_co_ci_u32_e64 v8, null, s9, v8, vcc_lo
	v_add_co_u32 v11, vcc_lo, s6, v14
	v_add_co_ci_u32_e64 v18, null, 0, 0, s1
	v_add_co_u32 v19, s1, s6, v21
	v_add_co_ci_u32_e64 v12, null, s7, v15, vcc_lo
	v_add_co_u32 v14, vcc_lo, s8, v14
	v_add_co_ci_u32_e64 v20, null, s7, 0, s1
	v_add_co_u32 v21, s1, s8, v21
	v_add_co_ci_u32_e64 v15, null, s9, v15, vcc_lo
	v_add_co_ci_u32_e64 v16, null, 0, 0, s2
	v_add_co_ci_u32_e64 v22, null, s9, 0, s1
	s_lshl_b32 s21, s0, 2
	s_lshl_b32 s22, s0, 4
	s_branch .LBB14_4
.LBB14_3:                               ;   in Loop: Header=BB14_4 Depth=1
	s_or_b32 exec_lo, exec_lo, s0
	v_add_co_u32 v1, vcc_lo, v1, s22
	v_add_co_ci_u32_e64 v2, null, 0, v2, vcc_lo
	v_add_co_u32 v3, vcc_lo, v3, s22
	v_add_co_ci_u32_e64 v4, null, 0, v4, vcc_lo
	v_add_co_u32 v5, vcc_lo, v5, s22
	v_add_co_ci_u32_e64 v6, null, 0, v6, vcc_lo
	v_add_co_u32 v7, vcc_lo, v7, s22
	v_add_co_ci_u32_e64 v8, null, 0, v8, vcc_lo
	v_add_co_u32 v11, vcc_lo, v11, s22
	s_add_u32 s18, s18, s21
	v_add_co_ci_u32_e64 v12, null, 0, v12, vcc_lo
	v_add_co_u32 v14, vcc_lo, v14, s22
	s_addc_u32 s19, s19, 0
	v_add_co_ci_u32_e64 v15, null, 0, v15, vcc_lo
	v_add_co_u32 v19, vcc_lo, v19, s22
	v_cmp_lt_i64_e64 s0, s[18:19], s[14:15]
	v_add_co_ci_u32_e64 v20, null, 0, v20, vcc_lo
	v_add_co_u32 v21, vcc_lo, v21, s22
	v_add_co_ci_u32_e64 v22, null, 0, v22, vcc_lo
	s_and_b32 vcc_lo, exec_lo, s0
	s_cbranch_vccz .LBB14_20
.LBB14_4:                               ; =>This Inner Loop Header: Depth=1
	s_waitcnt vmcnt(0)
	v_add_co_u32 v23, s0, v0, s18
	v_add_co_ci_u32_e64 v24, null, 0, s19, s0
	v_cmp_gt_u64_e32 vcc_lo, s[16:17], v[23:24]
	v_mov_b32_e32 v24, 0
	s_and_saveexec_b32 s1, vcc_lo
	s_cbranch_execz .LBB14_6
; %bb.5:                                ;   in Loop: Header=BB14_4 Depth=1
	v_add_co_u32 v23, s0, v1, s10
	v_add_co_ci_u32_e64 v24, null, s11, v2, s0
	global_load_dword v24, v[23:24], off
.LBB14_6:                               ;   in Loop: Header=BB14_4 Depth=1
	s_or_b32 exec_lo, exec_lo, s1
	v_add_co_u32 v25, s0, v13, s18
	v_add_co_ci_u32_e64 v26, null, s19, v16, s0
	v_mov_b32_e32 v23, 0
	v_cmp_gt_u64_e64 s0, s[16:17], v[25:26]
	v_mov_b32_e32 v25, 0
	s_and_saveexec_b32 s2, s0
	s_cbranch_execz .LBB14_8
; %bb.7:                                ;   in Loop: Header=BB14_4 Depth=1
	v_add_co_u32 v25, s1, v19, s10
	v_add_co_ci_u32_e64 v26, null, s11, v20, s1
	global_load_dword v25, v[25:26], off
.LBB14_8:                               ;   in Loop: Header=BB14_4 Depth=1
	s_or_b32 exec_lo, exec_lo, s2
	v_add_co_u32 v26, s1, v17, s18
	v_add_co_ci_u32_e64 v27, null, s19, v18, s1
	v_cmp_gt_u64_e64 s1, s[16:17], v[26:27]
	s_and_saveexec_b32 s3, s1
	s_cbranch_execz .LBB14_10
; %bb.9:                                ;   in Loop: Header=BB14_4 Depth=1
	v_add_co_u32 v26, s2, v11, s10
	v_add_co_ci_u32_e64 v27, null, s11, v12, s2
	global_load_dword v23, v[26:27], off
.LBB14_10:                              ;   in Loop: Header=BB14_4 Depth=1
	s_or_b32 exec_lo, exec_lo, s3
	v_add_co_u32 v26, s2, v9, s18
	v_add_co_ci_u32_e64 v27, null, s19, v10, s2
	v_cmp_gt_u64_e64 s2, s[16:17], v[26:27]
	v_mov_b32_e32 v26, 0
	s_and_saveexec_b32 s23, s2
	s_cbranch_execnz .LBB14_15
; %bb.11:                               ;   in Loop: Header=BB14_4 Depth=1
	s_or_b32 exec_lo, exec_lo, s23
	s_and_saveexec_b32 s3, vcc_lo
	s_cbranch_execnz .LBB14_16
.LBB14_12:                              ;   in Loop: Header=BB14_4 Depth=1
	s_or_b32 exec_lo, exec_lo, s3
	s_and_saveexec_b32 s3, s0
	s_cbranch_execnz .LBB14_17
.LBB14_13:                              ;   in Loop: Header=BB14_4 Depth=1
	s_or_b32 exec_lo, exec_lo, s3
	s_and_saveexec_b32 s0, s1
	s_cbranch_execnz .LBB14_18
.LBB14_14:                              ;   in Loop: Header=BB14_4 Depth=1
	s_or_b32 exec_lo, exec_lo, s0
	s_and_saveexec_b32 s0, s2
	s_cbranch_execz .LBB14_3
	s_branch .LBB14_19
.LBB14_15:                              ;   in Loop: Header=BB14_4 Depth=1
	v_add_co_u32 v26, s3, v5, s10
	v_add_co_ci_u32_e64 v27, null, s11, v6, s3
	global_load_dword v26, v[26:27], off
	s_or_b32 exec_lo, exec_lo, s23
	s_and_saveexec_b32 s3, vcc_lo
	s_cbranch_execz .LBB14_12
.LBB14_16:                              ;   in Loop: Header=BB14_4 Depth=1
	v_add_co_u32 v27, vcc_lo, v3, s10
	s_waitcnt vmcnt(0)
	v_add_nc_u32_e32 v24, s20, v24
	v_add_co_ci_u32_e64 v28, null, s11, v4, vcc_lo
	global_store_dword v[27:28], v24, off
	s_or_b32 exec_lo, exec_lo, s3
	s_and_saveexec_b32 s3, s0
	s_cbranch_execz .LBB14_13
.LBB14_17:                              ;   in Loop: Header=BB14_4 Depth=1
	s_waitcnt vmcnt(0)
	v_add_co_u32 v24, vcc_lo, v21, s10
	v_add_nc_u32_e32 v27, s20, v25
	v_add_co_ci_u32_e64 v25, null, s11, v22, vcc_lo
	global_store_dword v[24:25], v27, off
	s_or_b32 exec_lo, exec_lo, s3
	s_and_saveexec_b32 s0, s1
	s_cbranch_execz .LBB14_14
.LBB14_18:                              ;   in Loop: Header=BB14_4 Depth=1
	s_waitcnt vmcnt(0)
	v_add_nc_u32_e32 v25, s20, v23
	v_add_co_u32 v23, vcc_lo, v14, s10
	v_add_co_ci_u32_e64 v24, null, s11, v15, vcc_lo
	global_store_dword v[23:24], v25, off
	s_or_b32 exec_lo, exec_lo, s0
	s_and_saveexec_b32 s0, s2
	s_cbranch_execz .LBB14_3
.LBB14_19:                              ;   in Loop: Header=BB14_4 Depth=1
	s_waitcnt vmcnt(0)
	v_add_co_u32 v23, vcc_lo, v7, s10
	v_add_nc_u32_e32 v25, s20, v26
	v_add_co_ci_u32_e64 v24, null, s11, v8, vcc_lo
	global_store_dword v[23:24], v25, off
	s_branch .LBB14_3
.LBB14_20:
	s_mov_b32 s0, 0
.LBB14_21:
	s_andn2_b32 vcc_lo, exec_lo, s0
	s_cbranch_vccnz .LBB14_25
; %bb.22:
	v_cmp_gt_i64_e64 s0, 0x10000, s[12:13]
	v_mov_b32_e32 v2, 0
	v_lshlrev_b32_e32 v1, 2, v0
	s_mov_b32 s1, 0
	s_and_b32 s0, s0, exec_lo
	s_cselect_b32 s3, s13, 0
	s_cselect_b32 s2, s12, 0x10000
	s_mov_b32 s0, exec_lo
	v_cmpx_gt_i64_e64 s[2:3], v[1:2]
	s_cbranch_execz .LBB14_25
; %bb.23:
	s_load_dword s0, s[4:5], 0xd54
	v_lshlrev_b32_e32 v3, 4, v0
	v_mov_b32_e32 v1, v2
	v_add_co_u32 v2, s4, s10, v3
	v_add_co_ci_u32_e64 v3, null, s11, 0, s4
	s_waitcnt lgkmcnt(0)
	s_and_b32 s4, s0, 0xffff
	s_lshl_b32 s5, s4, 4
	.p2align	6
.LBB14_24:                              ; =>This Inner Loop Header: Depth=1
	v_add_co_u32 v4, vcc_lo, s6, v2
	v_add_co_ci_u32_e64 v5, null, s7, v3, vcc_lo
	v_add_co_u32 v0, vcc_lo, v0, s4
	v_add_co_ci_u32_e64 v1, null, 0, v1, vcc_lo
	global_load_dwordx4 v[4:7], v[4:5], off
	v_add_co_u32 v8, vcc_lo, s8, v2
	v_lshlrev_b64 v[10:11], 2, v[0:1]
	v_add_co_ci_u32_e64 v9, null, s9, v3, vcc_lo
	v_add_co_u32 v2, vcc_lo, v2, s5
	v_add_co_ci_u32_e64 v3, null, 0, v3, vcc_lo
	v_cmp_le_i64_e64 s0, s[2:3], v[10:11]
	s_or_b32 s1, s0, s1
	s_waitcnt vmcnt(0)
	v_add_nc_u32_e32 v4, s20, v4
	v_add_nc_u32_e32 v5, s20, v5
	;; [unrolled: 1-line block ×4, first 2 shown]
	global_store_dwordx4 v[8:9], v[4:7], off
	s_andn2_b32 exec_lo, exec_lo, s1
	s_cbranch_execnz .LBB14_24
.LBB14_25:
	s_endpgm
	.section	.rodata,"a",@progbits
	.p2align	6, 0x0
	.amdhsa_kernel _ZN2at6native12_GLOBAL__N_125multi_tensor_apply_kernelINS1_28TensorListScalarListMetadataIiLi2EEENS1_25BinaryOpScalarListFunctorIiLi2ELi1ELi1EEEJSt4plusIiEEEEvT_T0_DpT1_
		.amdhsa_group_segment_fixed_size 0
		.amdhsa_private_segment_fixed_size 0
		.amdhsa_kernarg_size 3656
		.amdhsa_user_sgpr_count 6
		.amdhsa_user_sgpr_private_segment_buffer 1
		.amdhsa_user_sgpr_dispatch_ptr 0
		.amdhsa_user_sgpr_queue_ptr 0
		.amdhsa_user_sgpr_kernarg_segment_ptr 1
		.amdhsa_user_sgpr_dispatch_id 0
		.amdhsa_user_sgpr_flat_scratch_init 0
		.amdhsa_user_sgpr_private_segment_size 0
		.amdhsa_wavefront_size32 1
		.amdhsa_uses_dynamic_stack 0
		.amdhsa_system_sgpr_private_segment_wavefront_offset 0
		.amdhsa_system_sgpr_workgroup_id_x 1
		.amdhsa_system_sgpr_workgroup_id_y 0
		.amdhsa_system_sgpr_workgroup_id_z 0
		.amdhsa_system_sgpr_workgroup_info 0
		.amdhsa_system_vgpr_workitem_id 0
		.amdhsa_next_free_vgpr 29
		.amdhsa_next_free_sgpr 24
		.amdhsa_reserve_vcc 1
		.amdhsa_reserve_flat_scratch 0
		.amdhsa_float_round_mode_32 0
		.amdhsa_float_round_mode_16_64 0
		.amdhsa_float_denorm_mode_32 3
		.amdhsa_float_denorm_mode_16_64 3
		.amdhsa_dx10_clamp 1
		.amdhsa_ieee_mode 1
		.amdhsa_fp16_overflow 0
		.amdhsa_workgroup_processor_mode 1
		.amdhsa_memory_ordered 1
		.amdhsa_forward_progress 1
		.amdhsa_shared_vgpr_count 0
		.amdhsa_exception_fp_ieee_invalid_op 0
		.amdhsa_exception_fp_denorm_src 0
		.amdhsa_exception_fp_ieee_div_zero 0
		.amdhsa_exception_fp_ieee_overflow 0
		.amdhsa_exception_fp_ieee_underflow 0
		.amdhsa_exception_fp_ieee_inexact 0
		.amdhsa_exception_int_div_zero 0
	.end_amdhsa_kernel
	.section	.text._ZN2at6native12_GLOBAL__N_125multi_tensor_apply_kernelINS1_28TensorListScalarListMetadataIiLi2EEENS1_25BinaryOpScalarListFunctorIiLi2ELi1ELi1EEEJSt4plusIiEEEEvT_T0_DpT1_,"axG",@progbits,_ZN2at6native12_GLOBAL__N_125multi_tensor_apply_kernelINS1_28TensorListScalarListMetadataIiLi2EEENS1_25BinaryOpScalarListFunctorIiLi2ELi1ELi1EEEJSt4plusIiEEEEvT_T0_DpT1_,comdat
.Lfunc_end14:
	.size	_ZN2at6native12_GLOBAL__N_125multi_tensor_apply_kernelINS1_28TensorListScalarListMetadataIiLi2EEENS1_25BinaryOpScalarListFunctorIiLi2ELi1ELi1EEEJSt4plusIiEEEEvT_T0_DpT1_, .Lfunc_end14-_ZN2at6native12_GLOBAL__N_125multi_tensor_apply_kernelINS1_28TensorListScalarListMetadataIiLi2EEENS1_25BinaryOpScalarListFunctorIiLi2ELi1ELi1EEEJSt4plusIiEEEEvT_T0_DpT1_
                                        ; -- End function
	.set _ZN2at6native12_GLOBAL__N_125multi_tensor_apply_kernelINS1_28TensorListScalarListMetadataIiLi2EEENS1_25BinaryOpScalarListFunctorIiLi2ELi1ELi1EEEJSt4plusIiEEEEvT_T0_DpT1_.num_vgpr, 29
	.set _ZN2at6native12_GLOBAL__N_125multi_tensor_apply_kernelINS1_28TensorListScalarListMetadataIiLi2EEENS1_25BinaryOpScalarListFunctorIiLi2ELi1ELi1EEEJSt4plusIiEEEEvT_T0_DpT1_.num_agpr, 0
	.set _ZN2at6native12_GLOBAL__N_125multi_tensor_apply_kernelINS1_28TensorListScalarListMetadataIiLi2EEENS1_25BinaryOpScalarListFunctorIiLi2ELi1ELi1EEEJSt4plusIiEEEEvT_T0_DpT1_.numbered_sgpr, 24
	.set _ZN2at6native12_GLOBAL__N_125multi_tensor_apply_kernelINS1_28TensorListScalarListMetadataIiLi2EEENS1_25BinaryOpScalarListFunctorIiLi2ELi1ELi1EEEJSt4plusIiEEEEvT_T0_DpT1_.num_named_barrier, 0
	.set _ZN2at6native12_GLOBAL__N_125multi_tensor_apply_kernelINS1_28TensorListScalarListMetadataIiLi2EEENS1_25BinaryOpScalarListFunctorIiLi2ELi1ELi1EEEJSt4plusIiEEEEvT_T0_DpT1_.private_seg_size, 0
	.set _ZN2at6native12_GLOBAL__N_125multi_tensor_apply_kernelINS1_28TensorListScalarListMetadataIiLi2EEENS1_25BinaryOpScalarListFunctorIiLi2ELi1ELi1EEEJSt4plusIiEEEEvT_T0_DpT1_.uses_vcc, 1
	.set _ZN2at6native12_GLOBAL__N_125multi_tensor_apply_kernelINS1_28TensorListScalarListMetadataIiLi2EEENS1_25BinaryOpScalarListFunctorIiLi2ELi1ELi1EEEJSt4plusIiEEEEvT_T0_DpT1_.uses_flat_scratch, 0
	.set _ZN2at6native12_GLOBAL__N_125multi_tensor_apply_kernelINS1_28TensorListScalarListMetadataIiLi2EEENS1_25BinaryOpScalarListFunctorIiLi2ELi1ELi1EEEJSt4plusIiEEEEvT_T0_DpT1_.has_dyn_sized_stack, 0
	.set _ZN2at6native12_GLOBAL__N_125multi_tensor_apply_kernelINS1_28TensorListScalarListMetadataIiLi2EEENS1_25BinaryOpScalarListFunctorIiLi2ELi1ELi1EEEJSt4plusIiEEEEvT_T0_DpT1_.has_recursion, 0
	.set _ZN2at6native12_GLOBAL__N_125multi_tensor_apply_kernelINS1_28TensorListScalarListMetadataIiLi2EEENS1_25BinaryOpScalarListFunctorIiLi2ELi1ELi1EEEJSt4plusIiEEEEvT_T0_DpT1_.has_indirect_call, 0
	.section	.AMDGPU.csdata,"",@progbits
; Kernel info:
; codeLenInByte = 1476
; TotalNumSgprs: 26
; NumVgprs: 29
; ScratchSize: 0
; MemoryBound: 0
; FloatMode: 240
; IeeeMode: 1
; LDSByteSize: 0 bytes/workgroup (compile time only)
; SGPRBlocks: 0
; VGPRBlocks: 3
; NumSGPRsForWavesPerEU: 26
; NumVGPRsForWavesPerEU: 29
; Occupancy: 16
; WaveLimiterHint : 0
; COMPUTE_PGM_RSRC2:SCRATCH_EN: 0
; COMPUTE_PGM_RSRC2:USER_SGPR: 6
; COMPUTE_PGM_RSRC2:TRAP_HANDLER: 0
; COMPUTE_PGM_RSRC2:TGID_X_EN: 1
; COMPUTE_PGM_RSRC2:TGID_Y_EN: 0
; COMPUTE_PGM_RSRC2:TGID_Z_EN: 0
; COMPUTE_PGM_RSRC2:TIDIG_COMP_CNT: 0
	.section	.text._ZN2at6native12_GLOBAL__N_125multi_tensor_apply_kernelINS1_28TensorListScalarListMetadataIlLi2EEENS1_25BinaryOpScalarListFunctorIlLi2ELi1ELi1EEEJSt4plusIlEEEEvT_T0_DpT1_,"axG",@progbits,_ZN2at6native12_GLOBAL__N_125multi_tensor_apply_kernelINS1_28TensorListScalarListMetadataIlLi2EEENS1_25BinaryOpScalarListFunctorIlLi2ELi1ELi1EEEJSt4plusIlEEEEvT_T0_DpT1_,comdat
	.globl	_ZN2at6native12_GLOBAL__N_125multi_tensor_apply_kernelINS1_28TensorListScalarListMetadataIlLi2EEENS1_25BinaryOpScalarListFunctorIlLi2ELi1ELi1EEEJSt4plusIlEEEEvT_T0_DpT1_ ; -- Begin function _ZN2at6native12_GLOBAL__N_125multi_tensor_apply_kernelINS1_28TensorListScalarListMetadataIlLi2EEENS1_25BinaryOpScalarListFunctorIlLi2ELi1ELi1EEEJSt4plusIlEEEEvT_T0_DpT1_
	.p2align	8
	.type	_ZN2at6native12_GLOBAL__N_125multi_tensor_apply_kernelINS1_28TensorListScalarListMetadataIlLi2EEENS1_25BinaryOpScalarListFunctorIlLi2ELi1ELi1EEEJSt4plusIlEEEEvT_T0_DpT1_,@function
_ZN2at6native12_GLOBAL__N_125multi_tensor_apply_kernelINS1_28TensorListScalarListMetadataIlLi2EEENS1_25BinaryOpScalarListFunctorIlLi2ELi1ELi1EEEJSt4plusIlEEEEvT_T0_DpT1_: ; @_ZN2at6native12_GLOBAL__N_125multi_tensor_apply_kernelINS1_28TensorListScalarListMetadataIlLi2EEENS1_25BinaryOpScalarListFunctorIlLi2ELi1ELi1EEEJSt4plusIlEEEEvT_T0_DpT1_
; %bb.0:
	v_mov_b32_e32 v1, 0x800
	s_add_u32 s0, s4, s6
	s_addc_u32 s1, s5, 0
	s_mov_b32 s7, 0
	s_mov_b32 s19, s7
	global_load_ubyte v1, v1, s[0:1]
	s_lshl_b64 s[0:1], s[6:7], 2
	s_add_u32 s0, s4, s0
	s_addc_u32 s1, s5, s1
	s_load_dword s0, s[0:1], 0x940
	s_waitcnt vmcnt(0)
	v_readfirstlane_b32 s1, v1
	s_lshl_b32 s1, s1, 3
	s_clause 0x3
	s_load_dwordx2 s[8:9], s[4:5], s1 offset:0x0
	s_load_dwordx2 s[10:11], s[4:5], s1 offset:0x600
	;; [unrolled: 1-line block ×4, first 2 shown]
	s_waitcnt lgkmcnt(0)
	s_ashr_i32 s1, s0, 31
	s_lshl_b64 s[14:15], s[0:1], 19
	s_lshl_b64 s[0:1], s[0:1], 16
	s_add_u32 s6, s8, s14
	s_and_b32 s18, s12, 31
	s_and_b32 s6, s6, 31
	s_sub_u32 s16, s2, s0
	s_subb_u32 s17, s3, s1
	s_and_b32 s0, s2, 3
	s_mov_b32 s1, s7
	s_or_b64 s[0:1], s[18:19], s[0:1]
	s_or_b64 s[0:1], s[0:1], s[6:7]
	s_cmp_eq_u64 s[0:1], 0
	s_mov_b32 s0, -1
	s_cbranch_scc1 .LBB15_21
; %bb.1:
	v_cmp_lt_i64_e64 s0, s[16:17], 1
	s_and_b32 vcc_lo, exec_lo, s0
	s_cbranch_vccnz .LBB15_20
; %bb.2:
	s_load_dword s0, s[4:5], 0xe54
	v_cmp_gt_i64_e64 s1, 0x10000, s[16:17]
	v_lshlrev_b32_e32 v1, 3, v0
	v_mov_b32_e32 v2, 0
	v_cmp_gt_u64_e64 s2, 0x10000, s[16:17]
	s_mov_b64 s[20:21], 0
	s_and_b32 s1, s1, exec_lo
	s_cselect_b32 s7, s17, 0
	s_cselect_b32 s6, s16, 0x10000
	v_add_co_u32 v11, s1, s12, v1
	v_add_co_u32 v9, s3, s8, v1
	v_add_co_ci_u32_e64 v12, null, s13, 0, s1
	v_add_co_ci_u32_e64 v10, null, s9, 0, s3
	s_waitcnt lgkmcnt(0)
	s_and_b32 s0, s0, 0xffff
	s_and_b32 s1, s2, exec_lo
	v_mad_u64_u32 v[2:3], null, s0, 24, v[1:2]
	s_cselect_b32 s19, s17, 0
	s_cselect_b32 s18, s16, 0x10000
	s_mul_i32 s2, s0, 3
	s_lshl_b32 s3, s0, 4
	v_add_co_u32 v17, s2, s2, v0
	v_add_co_u32 v13, vcc_lo, s8, v2
	v_add_co_u32 v1, s3, s3, v1
	v_add_co_ci_u32_e64 v14, null, s9, v3, vcc_lo
	v_add_co_u32 v15, vcc_lo, s12, v2
	v_add_co_ci_u32_e64 v2, null, 0, 0, s3
	v_add_co_ci_u32_e64 v18, null, 0, 0, s2
	v_add_co_u32 v21, s2, v0, s0
	v_add_co_ci_u32_e64 v16, null, s13, v3, vcc_lo
	v_add_co_u32 v19, vcc_lo, s8, v1
	v_add_co_ci_u32_e64 v20, null, s9, v2, vcc_lo
	v_add_co_u32 v22, vcc_lo, s12, v1
	v_lshlrev_b32_e32 v1, 3, v21
	s_lshl_b32 s1, s0, 1
	v_add_co_ci_u32_e64 v23, null, s13, v2, vcc_lo
	v_add_co_u32 v25, s1, s1, v0
	v_add_co_ci_u32_e64 v26, null, 0, 0, s1
	v_add_co_u32 v27, s1, s8, v1
	v_add_co_ci_u32_e64 v28, null, s9, 0, s1
	;; [unrolled: 2-line block ×3, first 2 shown]
	v_add_co_ci_u32_e64 v30, null, s13, 0, s1
	s_lshl_b32 s22, s0, 2
	s_lshl_b32 s23, s0, 5
	s_branch .LBB15_4
.LBB15_3:                               ;   in Loop: Header=BB15_4 Depth=1
	s_or_b32 exec_lo, exec_lo, s0
	v_add_co_u32 v9, vcc_lo, v9, s23
	v_add_co_ci_u32_e64 v10, null, 0, v10, vcc_lo
	v_add_co_u32 v11, vcc_lo, v11, s23
	v_add_co_ci_u32_e64 v12, null, 0, v12, vcc_lo
	;; [unrolled: 2-line block ×4, first 2 shown]
	v_add_co_u32 v19, vcc_lo, v19, s23
	s_add_u32 s20, s20, s22
	v_add_co_ci_u32_e64 v20, null, 0, v20, vcc_lo
	v_add_co_u32 v22, vcc_lo, v22, s23
	s_addc_u32 s21, s21, 0
	v_add_co_ci_u32_e64 v23, null, 0, v23, vcc_lo
	v_add_co_u32 v27, vcc_lo, v27, s23
	v_cmp_lt_i64_e64 s0, s[20:21], s[6:7]
	v_add_co_ci_u32_e64 v28, null, 0, v28, vcc_lo
	v_add_co_u32 v29, vcc_lo, v29, s23
	v_add_co_ci_u32_e64 v30, null, 0, v30, vcc_lo
	s_and_b32 vcc_lo, exec_lo, s0
	s_cbranch_vccz .LBB15_20
.LBB15_4:                               ; =>This Inner Loop Header: Depth=1
	s_waitcnt vmcnt(0)
	v_add_co_u32 v3, s0, v0, s20
	v_add_co_ci_u32_e64 v4, null, 0, s21, s0
	v_mov_b32_e32 v1, 0
	v_mov_b32_e32 v5, 0
	;; [unrolled: 1-line block ×3, first 2 shown]
	v_cmp_gt_u64_e32 vcc_lo, s[18:19], v[3:4]
	v_mov_b32_e32 v6, 0
	s_and_saveexec_b32 s1, vcc_lo
	s_cbranch_execz .LBB15_6
; %bb.5:                                ;   in Loop: Header=BB15_4 Depth=1
	v_add_co_u32 v3, s0, v9, s14
	v_add_co_ci_u32_e64 v4, null, s15, v10, s0
	global_load_dwordx2 v[5:6], v[3:4], off
.LBB15_6:                               ;   in Loop: Header=BB15_4 Depth=1
	s_or_b32 exec_lo, exec_lo, s1
	v_add_co_u32 v3, s0, v21, s20
	v_add_co_ci_u32_e64 v4, null, s21, v24, s0
	v_cmp_gt_u64_e64 s0, s[18:19], v[3:4]
	s_and_saveexec_b32 s2, s0
	s_cbranch_execz .LBB15_8
; %bb.7:                                ;   in Loop: Header=BB15_4 Depth=1
	v_add_co_u32 v1, s1, v27, s14
	v_add_co_ci_u32_e64 v2, null, s15, v28, s1
	global_load_dwordx2 v[1:2], v[1:2], off
.LBB15_8:                               ;   in Loop: Header=BB15_4 Depth=1
	s_or_b32 exec_lo, exec_lo, s2
	v_add_co_u32 v7, s1, v25, s20
	v_add_co_ci_u32_e64 v8, null, s21, v26, s1
	v_mov_b32_e32 v3, 0
	v_mov_b32_e32 v4, 0
	v_cmp_gt_u64_e64 s1, s[18:19], v[7:8]
	v_mov_b32_e32 v7, 0
	v_mov_b32_e32 v8, 0
	s_and_saveexec_b32 s3, s1
	s_cbranch_execz .LBB15_10
; %bb.9:                                ;   in Loop: Header=BB15_4 Depth=1
	v_add_co_u32 v7, s2, v19, s14
	v_add_co_ci_u32_e64 v8, null, s15, v20, s2
	global_load_dwordx2 v[7:8], v[7:8], off
.LBB15_10:                              ;   in Loop: Header=BB15_4 Depth=1
	s_or_b32 exec_lo, exec_lo, s3
	v_add_co_u32 v31, s2, v17, s20
	v_add_co_ci_u32_e64 v32, null, s21, v18, s2
	v_cmp_gt_u64_e64 s2, s[18:19], v[31:32]
	s_and_saveexec_b32 s24, s2
	s_cbranch_execnz .LBB15_15
; %bb.11:                               ;   in Loop: Header=BB15_4 Depth=1
	s_or_b32 exec_lo, exec_lo, s24
	s_and_saveexec_b32 s3, vcc_lo
	s_cbranch_execnz .LBB15_16
.LBB15_12:                              ;   in Loop: Header=BB15_4 Depth=1
	s_or_b32 exec_lo, exec_lo, s3
	s_and_saveexec_b32 s3, s0
	s_cbranch_execnz .LBB15_17
.LBB15_13:                              ;   in Loop: Header=BB15_4 Depth=1
	s_or_b32 exec_lo, exec_lo, s3
	s_and_saveexec_b32 s0, s1
	s_cbranch_execnz .LBB15_18
.LBB15_14:                              ;   in Loop: Header=BB15_4 Depth=1
	s_or_b32 exec_lo, exec_lo, s0
	s_and_saveexec_b32 s0, s2
	s_cbranch_execz .LBB15_3
	s_branch .LBB15_19
.LBB15_15:                              ;   in Loop: Header=BB15_4 Depth=1
	v_add_co_u32 v3, s3, v13, s14
	v_add_co_ci_u32_e64 v4, null, s15, v14, s3
	global_load_dwordx2 v[3:4], v[3:4], off
	s_or_b32 exec_lo, exec_lo, s24
	s_and_saveexec_b32 s3, vcc_lo
	s_cbranch_execz .LBB15_12
.LBB15_16:                              ;   in Loop: Header=BB15_4 Depth=1
	s_waitcnt vmcnt(0)
	v_add_co_u32 v5, vcc_lo, v5, s10
	v_add_co_ci_u32_e64 v6, null, s11, v6, vcc_lo
	v_add_co_u32 v31, vcc_lo, v11, s14
	v_add_co_ci_u32_e64 v32, null, s15, v12, vcc_lo
	global_store_dwordx2 v[31:32], v[5:6], off
	s_or_b32 exec_lo, exec_lo, s3
	s_and_saveexec_b32 s3, s0
	s_cbranch_execz .LBB15_13
.LBB15_17:                              ;   in Loop: Header=BB15_4 Depth=1
	s_waitcnt vmcnt(0)
	v_add_co_u32 v1, vcc_lo, v1, s10
	v_add_co_ci_u32_e64 v2, null, s11, v2, vcc_lo
	v_add_co_u32 v5, vcc_lo, v29, s14
	v_add_co_ci_u32_e64 v6, null, s15, v30, vcc_lo
	global_store_dwordx2 v[5:6], v[1:2], off
	s_or_b32 exec_lo, exec_lo, s3
	s_and_saveexec_b32 s0, s1
	s_cbranch_execz .LBB15_14
.LBB15_18:                              ;   in Loop: Header=BB15_4 Depth=1
	s_waitcnt vmcnt(0)
	v_add_co_u32 v1, vcc_lo, v7, s10
	v_add_co_ci_u32_e64 v2, null, s11, v8, vcc_lo
	v_add_co_u32 v5, vcc_lo, v22, s14
	v_add_co_ci_u32_e64 v6, null, s15, v23, vcc_lo
	global_store_dwordx2 v[5:6], v[1:2], off
	s_or_b32 exec_lo, exec_lo, s0
	s_and_saveexec_b32 s0, s2
	s_cbranch_execz .LBB15_3
.LBB15_19:                              ;   in Loop: Header=BB15_4 Depth=1
	s_waitcnt vmcnt(0)
	v_add_co_u32 v1, vcc_lo, v3, s10
	v_add_co_ci_u32_e64 v2, null, s11, v4, vcc_lo
	v_add_co_u32 v3, vcc_lo, v15, s14
	v_add_co_ci_u32_e64 v4, null, s15, v16, vcc_lo
	global_store_dwordx2 v[3:4], v[1:2], off
	s_branch .LBB15_3
.LBB15_20:
	s_mov_b32 s0, 0
.LBB15_21:
	s_andn2_b32 vcc_lo, exec_lo, s0
	s_cbranch_vccnz .LBB15_25
; %bb.22:
	v_cmp_gt_i64_e64 s0, 0x10000, s[16:17]
	s_waitcnt vmcnt(0)
	v_mov_b32_e32 v2, 0
	v_lshlrev_b32_e32 v1, 2, v0
	s_mov_b32 s6, 0
	s_and_b32 s0, s0, exec_lo
	s_cselect_b32 s3, s17, 0
	s_cselect_b32 s2, s16, 0x10000
	s_mov_b32 s0, exec_lo
	v_cmpx_gt_i64_e64 s[2:3], v[1:2]
	s_cbranch_execz .LBB15_25
; %bb.23:
	s_load_dword s0, s[4:5], 0xe54
	v_lshlrev_b32_e32 v3, 5, v0
	v_mov_b32_e32 v1, v2
	v_add_co_u32 v2, s1, s14, v3
	v_add_co_ci_u32_e64 v3, null, s15, 0, s1
	s_waitcnt lgkmcnt(0)
	s_and_b32 s4, s0, 0xffff
	s_lshl_b32 s5, s4, 5
	s_inst_prefetch 0x1
	.p2align	6
.LBB15_24:                              ; =>This Inner Loop Header: Depth=1
	v_add_co_u32 v8, vcc_lo, s8, v2
	v_add_co_ci_u32_e64 v9, null, s9, v3, vcc_lo
	v_add_co_u32 v0, vcc_lo, v0, s4
	v_add_co_ci_u32_e64 v1, null, 0, v1, vcc_lo
	s_clause 0x1
	global_load_dwordx4 v[4:7], v[8:9], off
	global_load_dwordx4 v[8:11], v[8:9], off offset:16
	v_add_co_u32 v12, vcc_lo, s12, v2
	v_lshlrev_b64 v[14:15], 2, v[0:1]
	v_add_co_ci_u32_e64 v13, null, s13, v3, vcc_lo
	v_add_co_u32 v2, vcc_lo, v2, s5
	v_add_co_ci_u32_e64 v3, null, 0, v3, vcc_lo
	v_cmp_le_i64_e64 s0, s[2:3], v[14:15]
	s_or_b32 s6, s0, s6
	s_waitcnt vmcnt(1)
	v_add_co_u32 v4, s1, v4, s10
	v_add_co_ci_u32_e64 v5, null, s11, v5, s1
	v_add_co_u32 v6, s1, v6, s10
	v_add_co_ci_u32_e64 v7, null, s11, v7, s1
	s_waitcnt vmcnt(0)
	v_add_co_u32 v8, s1, v8, s10
	v_add_co_ci_u32_e64 v9, null, s11, v9, s1
	v_add_co_u32 v10, s1, v10, s10
	v_add_co_ci_u32_e64 v11, null, s11, v11, s1
	global_store_dwordx4 v[12:13], v[4:7], off
	global_store_dwordx4 v[12:13], v[8:11], off offset:16
	s_andn2_b32 exec_lo, exec_lo, s6
	s_cbranch_execnz .LBB15_24
.LBB15_25:
	s_inst_prefetch 0x2
	s_endpgm
	.section	.rodata,"a",@progbits
	.p2align	6, 0x0
	.amdhsa_kernel _ZN2at6native12_GLOBAL__N_125multi_tensor_apply_kernelINS1_28TensorListScalarListMetadataIlLi2EEENS1_25BinaryOpScalarListFunctorIlLi2ELi1ELi1EEEJSt4plusIlEEEEvT_T0_DpT1_
		.amdhsa_group_segment_fixed_size 0
		.amdhsa_private_segment_fixed_size 0
		.amdhsa_kernarg_size 3912
		.amdhsa_user_sgpr_count 6
		.amdhsa_user_sgpr_private_segment_buffer 1
		.amdhsa_user_sgpr_dispatch_ptr 0
		.amdhsa_user_sgpr_queue_ptr 0
		.amdhsa_user_sgpr_kernarg_segment_ptr 1
		.amdhsa_user_sgpr_dispatch_id 0
		.amdhsa_user_sgpr_flat_scratch_init 0
		.amdhsa_user_sgpr_private_segment_size 0
		.amdhsa_wavefront_size32 1
		.amdhsa_uses_dynamic_stack 0
		.amdhsa_system_sgpr_private_segment_wavefront_offset 0
		.amdhsa_system_sgpr_workgroup_id_x 1
		.amdhsa_system_sgpr_workgroup_id_y 0
		.amdhsa_system_sgpr_workgroup_id_z 0
		.amdhsa_system_sgpr_workgroup_info 0
		.amdhsa_system_vgpr_workitem_id 0
		.amdhsa_next_free_vgpr 33
		.amdhsa_next_free_sgpr 25
		.amdhsa_reserve_vcc 1
		.amdhsa_reserve_flat_scratch 0
		.amdhsa_float_round_mode_32 0
		.amdhsa_float_round_mode_16_64 0
		.amdhsa_float_denorm_mode_32 3
		.amdhsa_float_denorm_mode_16_64 3
		.amdhsa_dx10_clamp 1
		.amdhsa_ieee_mode 1
		.amdhsa_fp16_overflow 0
		.amdhsa_workgroup_processor_mode 1
		.amdhsa_memory_ordered 1
		.amdhsa_forward_progress 1
		.amdhsa_shared_vgpr_count 0
		.amdhsa_exception_fp_ieee_invalid_op 0
		.amdhsa_exception_fp_denorm_src 0
		.amdhsa_exception_fp_ieee_div_zero 0
		.amdhsa_exception_fp_ieee_overflow 0
		.amdhsa_exception_fp_ieee_underflow 0
		.amdhsa_exception_fp_ieee_inexact 0
		.amdhsa_exception_int_div_zero 0
	.end_amdhsa_kernel
	.section	.text._ZN2at6native12_GLOBAL__N_125multi_tensor_apply_kernelINS1_28TensorListScalarListMetadataIlLi2EEENS1_25BinaryOpScalarListFunctorIlLi2ELi1ELi1EEEJSt4plusIlEEEEvT_T0_DpT1_,"axG",@progbits,_ZN2at6native12_GLOBAL__N_125multi_tensor_apply_kernelINS1_28TensorListScalarListMetadataIlLi2EEENS1_25BinaryOpScalarListFunctorIlLi2ELi1ELi1EEEJSt4plusIlEEEEvT_T0_DpT1_,comdat
.Lfunc_end15:
	.size	_ZN2at6native12_GLOBAL__N_125multi_tensor_apply_kernelINS1_28TensorListScalarListMetadataIlLi2EEENS1_25BinaryOpScalarListFunctorIlLi2ELi1ELi1EEEJSt4plusIlEEEEvT_T0_DpT1_, .Lfunc_end15-_ZN2at6native12_GLOBAL__N_125multi_tensor_apply_kernelINS1_28TensorListScalarListMetadataIlLi2EEENS1_25BinaryOpScalarListFunctorIlLi2ELi1ELi1EEEJSt4plusIlEEEEvT_T0_DpT1_
                                        ; -- End function
	.set _ZN2at6native12_GLOBAL__N_125multi_tensor_apply_kernelINS1_28TensorListScalarListMetadataIlLi2EEENS1_25BinaryOpScalarListFunctorIlLi2ELi1ELi1EEEJSt4plusIlEEEEvT_T0_DpT1_.num_vgpr, 33
	.set _ZN2at6native12_GLOBAL__N_125multi_tensor_apply_kernelINS1_28TensorListScalarListMetadataIlLi2EEENS1_25BinaryOpScalarListFunctorIlLi2ELi1ELi1EEEJSt4plusIlEEEEvT_T0_DpT1_.num_agpr, 0
	.set _ZN2at6native12_GLOBAL__N_125multi_tensor_apply_kernelINS1_28TensorListScalarListMetadataIlLi2EEENS1_25BinaryOpScalarListFunctorIlLi2ELi1ELi1EEEJSt4plusIlEEEEvT_T0_DpT1_.numbered_sgpr, 25
	.set _ZN2at6native12_GLOBAL__N_125multi_tensor_apply_kernelINS1_28TensorListScalarListMetadataIlLi2EEENS1_25BinaryOpScalarListFunctorIlLi2ELi1ELi1EEEJSt4plusIlEEEEvT_T0_DpT1_.num_named_barrier, 0
	.set _ZN2at6native12_GLOBAL__N_125multi_tensor_apply_kernelINS1_28TensorListScalarListMetadataIlLi2EEENS1_25BinaryOpScalarListFunctorIlLi2ELi1ELi1EEEJSt4plusIlEEEEvT_T0_DpT1_.private_seg_size, 0
	.set _ZN2at6native12_GLOBAL__N_125multi_tensor_apply_kernelINS1_28TensorListScalarListMetadataIlLi2EEENS1_25BinaryOpScalarListFunctorIlLi2ELi1ELi1EEEJSt4plusIlEEEEvT_T0_DpT1_.uses_vcc, 1
	.set _ZN2at6native12_GLOBAL__N_125multi_tensor_apply_kernelINS1_28TensorListScalarListMetadataIlLi2EEENS1_25BinaryOpScalarListFunctorIlLi2ELi1ELi1EEEJSt4plusIlEEEEvT_T0_DpT1_.uses_flat_scratch, 0
	.set _ZN2at6native12_GLOBAL__N_125multi_tensor_apply_kernelINS1_28TensorListScalarListMetadataIlLi2EEENS1_25BinaryOpScalarListFunctorIlLi2ELi1ELi1EEEJSt4plusIlEEEEvT_T0_DpT1_.has_dyn_sized_stack, 0
	.set _ZN2at6native12_GLOBAL__N_125multi_tensor_apply_kernelINS1_28TensorListScalarListMetadataIlLi2EEENS1_25BinaryOpScalarListFunctorIlLi2ELi1ELi1EEEJSt4plusIlEEEEvT_T0_DpT1_.has_recursion, 0
	.set _ZN2at6native12_GLOBAL__N_125multi_tensor_apply_kernelINS1_28TensorListScalarListMetadataIlLi2EEENS1_25BinaryOpScalarListFunctorIlLi2ELi1ELi1EEEJSt4plusIlEEEEvT_T0_DpT1_.has_indirect_call, 0
	.section	.AMDGPU.csdata,"",@progbits
; Kernel info:
; codeLenInByte = 1552
; TotalNumSgprs: 27
; NumVgprs: 33
; ScratchSize: 0
; MemoryBound: 0
; FloatMode: 240
; IeeeMode: 1
; LDSByteSize: 0 bytes/workgroup (compile time only)
; SGPRBlocks: 0
; VGPRBlocks: 4
; NumSGPRsForWavesPerEU: 27
; NumVGPRsForWavesPerEU: 33
; Occupancy: 16
; WaveLimiterHint : 1
; COMPUTE_PGM_RSRC2:SCRATCH_EN: 0
; COMPUTE_PGM_RSRC2:USER_SGPR: 6
; COMPUTE_PGM_RSRC2:TRAP_HANDLER: 0
; COMPUTE_PGM_RSRC2:TGID_X_EN: 1
; COMPUTE_PGM_RSRC2:TGID_Y_EN: 0
; COMPUTE_PGM_RSRC2:TGID_Z_EN: 0
; COMPUTE_PGM_RSRC2:TIDIG_COMP_CNT: 0
	.section	.text._ZN2at6native12_GLOBAL__N_125multi_tensor_apply_kernelINS1_28TensorListScalarListMetadataIsLi2EEENS1_25BinaryOpScalarListFunctorIsLi2ELi1ELi1EEEJSt4plusIsEEEEvT_T0_DpT1_,"axG",@progbits,_ZN2at6native12_GLOBAL__N_125multi_tensor_apply_kernelINS1_28TensorListScalarListMetadataIsLi2EEENS1_25BinaryOpScalarListFunctorIsLi2ELi1ELi1EEEJSt4plusIsEEEEvT_T0_DpT1_,comdat
	.globl	_ZN2at6native12_GLOBAL__N_125multi_tensor_apply_kernelINS1_28TensorListScalarListMetadataIsLi2EEENS1_25BinaryOpScalarListFunctorIsLi2ELi1ELi1EEEJSt4plusIsEEEEvT_T0_DpT1_ ; -- Begin function _ZN2at6native12_GLOBAL__N_125multi_tensor_apply_kernelINS1_28TensorListScalarListMetadataIsLi2EEENS1_25BinaryOpScalarListFunctorIsLi2ELi1ELi1EEEJSt4plusIsEEEEvT_T0_DpT1_
	.p2align	8
	.type	_ZN2at6native12_GLOBAL__N_125multi_tensor_apply_kernelINS1_28TensorListScalarListMetadataIsLi2EEENS1_25BinaryOpScalarListFunctorIsLi2ELi1ELi1EEEJSt4plusIsEEEEvT_T0_DpT1_,@function
_ZN2at6native12_GLOBAL__N_125multi_tensor_apply_kernelINS1_28TensorListScalarListMetadataIsLi2EEENS1_25BinaryOpScalarListFunctorIsLi2ELi1ELi1EEEJSt4plusIsEEEEvT_T0_DpT1_: ; @_ZN2at6native12_GLOBAL__N_125multi_tensor_apply_kernelINS1_28TensorListScalarListMetadataIsLi2EEENS1_25BinaryOpScalarListFunctorIsLi2ELi1ELi1EEEJSt4plusIsEEEEvT_T0_DpT1_
; %bb.0:
	v_mov_b32_e32 v1, s6
	s_add_u32 s0, s4, s6
	s_mul_hi_u32 s1, s6, 3
	s_mul_i32 s6, s6, 3
	s_addc_u32 s2, s5, 0
	global_load_ubyte v1, v1, s[4:5] offset:1664
	s_add_u32 s0, s0, s6
	s_addc_u32 s1, s2, s1
	s_mov_b32 s15, 0
	s_load_dword s0, s[0:1], 0x7c0
	s_mov_b32 s17, s15
	s_waitcnt vmcnt(0)
	v_readfirstlane_b32 s1, v1
	v_mul_lo_u32 v2, v1, -6
	v_mul_hi_i32 v3, v1, -6
	s_lshl_b32 s8, s1, 3
	s_waitcnt lgkmcnt(0)
	s_ashr_i32 s1, s0, 31
	s_add_u32 s6, s4, s8
	s_addc_u32 s7, s5, 0
	v_add_co_u32 v1, vcc_lo, s6, v2
	v_add_co_ci_u32_e64 v2, null, s7, v3, vcc_lo
	s_load_dwordx2 s[2:3], s[4:5], s8 offset:0x400
	s_lshl_b64 s[10:11], s[0:1], 17
	s_lshl_b64 s[0:1], s[0:1], 16
	global_load_ushort v3, v[1:2], off offset:1536
	s_clause 0x1
	s_load_dwordx2 s[6:7], s[4:5], s8 offset:0x0
	s_load_dwordx2 s[8:9], s[4:5], s8 offset:0x200
	s_waitcnt lgkmcnt(0)
	s_add_u32 s12, s6, s10
	s_and_b32 s16, s8, 7
	s_and_b32 s14, s12, 7
	s_sub_u32 s12, s2, s0
	s_subb_u32 s13, s3, s1
	s_and_b32 s0, s2, 3
	s_mov_b32 s1, s15
	s_or_b64 s[0:1], s[16:17], s[0:1]
	s_or_b64 s[0:1], s[0:1], s[14:15]
	s_cmp_eq_u64 s[0:1], 0
	s_mov_b32 s0, -1
	s_cbranch_scc1 .LBB16_21
; %bb.1:
	v_cmp_lt_i64_e64 s0, s[12:13], 1
	s_and_b32 vcc_lo, exec_lo, s0
	s_cbranch_vccnz .LBB16_20
; %bb.2:
	s_load_dword s0, s[4:5], 0xcd4
	v_cmp_gt_i64_e64 s1, 0x10000, s[12:13]
	v_lshlrev_b32_e32 v10, 1, v0
	v_cmp_gt_u64_e64 s2, 0x10000, s[12:13]
	v_mov_b32_e32 v11, 0
	s_mov_b64 s[18:19], 0
	s_and_b32 s1, s1, exec_lo
	v_add_co_u32 v1, s3, s6, v10
	s_cselect_b32 s15, s13, 0
	s_cselect_b32 s14, s12, 0x10000
	v_add_co_ci_u32_e64 v2, null, s7, 0, s3
	v_add_co_u32 v4, s3, s8, v10
	v_add_co_ci_u32_e64 v5, null, s9, 0, s3
	s_waitcnt lgkmcnt(0)
	s_and_b32 s0, s0, 0xffff
	s_and_b32 s1, s2, exec_lo
	s_cselect_b32 s17, s13, 0
	s_cselect_b32 s16, s12, 0x10000
	s_mul_i32 s2, s0, 3
	s_lshl_b32 s20, s0, 2
	v_mad_u64_u32 v[8:9], null, s0, 6, v[10:11]
	v_add_co_u32 v15, s3, s20, v10
	v_add_co_u32 v10, s2, s2, v0
	v_add_co_ci_u32_e64 v11, null, 0, 0, s2
	v_add_co_u32 v14, s2, v0, s0
	s_lshl_b32 s1, s0, 1
	v_add_co_u32 v6, vcc_lo, s6, v8
	v_lshlrev_b32_e32 v22, 1, v14
	v_add_co_ci_u32_e64 v16, null, 0, 0, s3
	v_add_co_ci_u32_e64 v7, null, s7, v9, vcc_lo
	v_add_co_u32 v8, vcc_lo, s8, v8
	v_add_co_u32 v18, s1, s1, v0
	v_add_co_ci_u32_e64 v9, null, s9, v9, vcc_lo
	v_add_co_u32 v12, vcc_lo, s6, v15
	v_add_co_ci_u32_e64 v19, null, 0, 0, s1
	v_add_co_u32 v20, s1, s6, v22
	v_add_co_ci_u32_e64 v13, null, s7, v16, vcc_lo
	v_add_co_u32 v15, vcc_lo, s8, v15
	v_add_co_ci_u32_e64 v21, null, s7, 0, s1
	v_add_co_u32 v22, s1, s8, v22
	v_add_co_ci_u32_e64 v16, null, s9, v16, vcc_lo
	v_add_co_ci_u32_e64 v17, null, 0, 0, s2
	v_add_co_ci_u32_e64 v23, null, s9, 0, s1
	s_lshl_b32 s21, s0, 3
	s_branch .LBB16_4
.LBB16_3:                               ;   in Loop: Header=BB16_4 Depth=1
	s_or_b32 exec_lo, exec_lo, s0
	v_add_co_u32 v1, vcc_lo, v1, s21
	v_add_co_ci_u32_e64 v2, null, 0, v2, vcc_lo
	v_add_co_u32 v4, vcc_lo, v4, s21
	v_add_co_ci_u32_e64 v5, null, 0, v5, vcc_lo
	v_add_co_u32 v6, vcc_lo, v6, s21
	v_add_co_ci_u32_e64 v7, null, 0, v7, vcc_lo
	v_add_co_u32 v8, vcc_lo, v8, s21
	v_add_co_ci_u32_e64 v9, null, 0, v9, vcc_lo
	v_add_co_u32 v12, vcc_lo, v12, s21
	s_add_u32 s18, s18, s20
	v_add_co_ci_u32_e64 v13, null, 0, v13, vcc_lo
	v_add_co_u32 v15, vcc_lo, v15, s21
	s_addc_u32 s19, s19, 0
	v_add_co_ci_u32_e64 v16, null, 0, v16, vcc_lo
	v_add_co_u32 v20, vcc_lo, v20, s21
	v_cmp_lt_i64_e64 s0, s[18:19], s[14:15]
	v_add_co_ci_u32_e64 v21, null, 0, v21, vcc_lo
	v_add_co_u32 v22, vcc_lo, v22, s21
	v_add_co_ci_u32_e64 v23, null, 0, v23, vcc_lo
	s_and_b32 vcc_lo, exec_lo, s0
	s_cbranch_vccz .LBB16_20
.LBB16_4:                               ; =>This Inner Loop Header: Depth=1
	s_waitcnt vmcnt(0)
	v_add_co_u32 v24, s0, v0, s18
	v_add_co_ci_u32_e64 v25, null, 0, s19, s0
	v_cmp_gt_u64_e32 vcc_lo, s[16:17], v[24:25]
	v_mov_b32_e32 v25, 0
	s_and_saveexec_b32 s1, vcc_lo
	s_cbranch_execz .LBB16_6
; %bb.5:                                ;   in Loop: Header=BB16_4 Depth=1
	v_add_co_u32 v24, s0, v1, s10
	v_add_co_ci_u32_e64 v25, null, s11, v2, s0
	global_load_ushort v25, v[24:25], off
.LBB16_6:                               ;   in Loop: Header=BB16_4 Depth=1
	s_or_b32 exec_lo, exec_lo, s1
	v_add_co_u32 v26, s0, v14, s18
	v_add_co_ci_u32_e64 v27, null, s19, v17, s0
	v_mov_b32_e32 v24, 0
	v_cmp_gt_u64_e64 s0, s[16:17], v[26:27]
	v_mov_b32_e32 v26, 0
	s_and_saveexec_b32 s2, s0
	s_cbranch_execz .LBB16_8
; %bb.7:                                ;   in Loop: Header=BB16_4 Depth=1
	v_add_co_u32 v26, s1, v20, s10
	v_add_co_ci_u32_e64 v27, null, s11, v21, s1
	global_load_ushort v26, v[26:27], off
.LBB16_8:                               ;   in Loop: Header=BB16_4 Depth=1
	s_or_b32 exec_lo, exec_lo, s2
	v_add_co_u32 v27, s1, v18, s18
	v_add_co_ci_u32_e64 v28, null, s19, v19, s1
	v_cmp_gt_u64_e64 s1, s[16:17], v[27:28]
	s_and_saveexec_b32 s3, s1
	s_cbranch_execz .LBB16_10
; %bb.9:                                ;   in Loop: Header=BB16_4 Depth=1
	v_add_co_u32 v27, s2, v12, s10
	v_add_co_ci_u32_e64 v28, null, s11, v13, s2
	global_load_ushort v24, v[27:28], off
.LBB16_10:                              ;   in Loop: Header=BB16_4 Depth=1
	s_or_b32 exec_lo, exec_lo, s3
	v_add_co_u32 v27, s2, v10, s18
	v_add_co_ci_u32_e64 v28, null, s19, v11, s2
	v_cmp_gt_u64_e64 s2, s[16:17], v[27:28]
	v_mov_b32_e32 v27, 0
	s_and_saveexec_b32 s22, s2
	s_cbranch_execnz .LBB16_15
; %bb.11:                               ;   in Loop: Header=BB16_4 Depth=1
	s_or_b32 exec_lo, exec_lo, s22
	s_and_saveexec_b32 s3, vcc_lo
	s_cbranch_execnz .LBB16_16
.LBB16_12:                              ;   in Loop: Header=BB16_4 Depth=1
	s_or_b32 exec_lo, exec_lo, s3
	s_and_saveexec_b32 s3, s0
	s_cbranch_execnz .LBB16_17
.LBB16_13:                              ;   in Loop: Header=BB16_4 Depth=1
	s_or_b32 exec_lo, exec_lo, s3
	s_and_saveexec_b32 s0, s1
	s_cbranch_execnz .LBB16_18
.LBB16_14:                              ;   in Loop: Header=BB16_4 Depth=1
	s_or_b32 exec_lo, exec_lo, s0
	s_and_saveexec_b32 s0, s2
	s_cbranch_execz .LBB16_3
	s_branch .LBB16_19
.LBB16_15:                              ;   in Loop: Header=BB16_4 Depth=1
	v_add_co_u32 v27, s3, v6, s10
	v_add_co_ci_u32_e64 v28, null, s11, v7, s3
	global_load_ushort v27, v[27:28], off
	s_or_b32 exec_lo, exec_lo, s22
	s_and_saveexec_b32 s3, vcc_lo
	s_cbranch_execz .LBB16_12
.LBB16_16:                              ;   in Loop: Header=BB16_4 Depth=1
	v_add_co_u32 v28, vcc_lo, v4, s10
	s_waitcnt vmcnt(0)
	v_add_nc_u16 v25, v25, v3
	v_add_co_ci_u32_e64 v29, null, s11, v5, vcc_lo
	global_store_short v[28:29], v25, off
	s_or_b32 exec_lo, exec_lo, s3
	s_and_saveexec_b32 s3, s0
	s_cbranch_execz .LBB16_13
.LBB16_17:                              ;   in Loop: Header=BB16_4 Depth=1
	s_waitcnt vmcnt(0)
	v_add_co_u32 v25, vcc_lo, v22, s10
	v_add_nc_u16 v28, v26, v3
	v_add_co_ci_u32_e64 v26, null, s11, v23, vcc_lo
	global_store_short v[25:26], v28, off
	s_or_b32 exec_lo, exec_lo, s3
	s_and_saveexec_b32 s0, s1
	s_cbranch_execz .LBB16_14
.LBB16_18:                              ;   in Loop: Header=BB16_4 Depth=1
	s_waitcnt vmcnt(0)
	v_add_nc_u16 v26, v24, v3
	v_add_co_u32 v24, vcc_lo, v15, s10
	v_add_co_ci_u32_e64 v25, null, s11, v16, vcc_lo
	global_store_short v[24:25], v26, off
	s_or_b32 exec_lo, exec_lo, s0
	s_and_saveexec_b32 s0, s2
	s_cbranch_execz .LBB16_3
.LBB16_19:                              ;   in Loop: Header=BB16_4 Depth=1
	s_waitcnt vmcnt(0)
	v_add_co_u32 v24, vcc_lo, v8, s10
	v_add_nc_u16 v26, v27, v3
	v_add_co_ci_u32_e64 v25, null, s11, v9, vcc_lo
	global_store_short v[24:25], v26, off
	s_branch .LBB16_3
.LBB16_20:
	s_mov_b32 s0, 0
.LBB16_21:
	s_andn2_b32 vcc_lo, exec_lo, s0
	s_cbranch_vccnz .LBB16_25
; %bb.22:
	v_cmp_gt_i64_e64 s0, 0x10000, s[12:13]
	v_mov_b32_e32 v2, 0
	v_lshlrev_b32_e32 v1, 2, v0
	s_mov_b32 s1, 0
	s_and_b32 s0, s0, exec_lo
	s_cselect_b32 s3, s13, 0
	s_cselect_b32 s2, s12, 0x10000
	s_mov_b32 s0, exec_lo
	v_cmpx_gt_i64_e64 s[2:3], v[1:2]
	s_cbranch_execz .LBB16_25
; %bb.23:
	s_load_dword s0, s[4:5], 0xcd4
	v_lshlrev_b32_e32 v4, 3, v0
	v_mov_b32_e32 v1, v2
	v_add_co_u32 v2, s4, s10, v4
	v_add_co_ci_u32_e64 v4, null, s11, 0, s4
	s_waitcnt lgkmcnt(0)
	s_and_b32 s4, s0, 0xffff
	s_lshl_b32 s5, s4, 3
	s_inst_prefetch 0x1
	.p2align	6
.LBB16_24:                              ; =>This Inner Loop Header: Depth=1
	v_add_co_u32 v5, vcc_lo, s6, v2
	v_add_co_ci_u32_e64 v6, null, s7, v4, vcc_lo
	v_add_co_u32 v0, vcc_lo, v0, s4
	v_add_co_ci_u32_e64 v1, null, 0, v1, vcc_lo
	global_load_dwordx2 v[5:6], v[5:6], off
	v_add_co_u32 v7, vcc_lo, s8, v2
	v_lshlrev_b64 v[9:10], 2, v[0:1]
	v_add_co_ci_u32_e64 v8, null, s9, v4, vcc_lo
	v_add_co_u32 v2, vcc_lo, v2, s5
	v_add_co_ci_u32_e64 v4, null, 0, v4, vcc_lo
	v_cmp_le_i64_e64 s0, s[2:3], v[9:10]
	s_or_b32 s1, s0, s1
	s_waitcnt vmcnt(0)
	v_lshrrev_b32_e32 v11, 16, v6
	v_lshrrev_b32_e32 v12, 16, v5
	v_add_nc_u16 v5, v3, v5
	v_add_nc_u16 v6, v3, v6
	;; [unrolled: 1-line block ×4, first 2 shown]
	v_perm_b32 v6, v11, v6, 0x5040100
	v_perm_b32 v5, v12, v5, 0x5040100
	global_store_dwordx2 v[7:8], v[5:6], off
	s_andn2_b32 exec_lo, exec_lo, s1
	s_cbranch_execnz .LBB16_24
.LBB16_25:
	s_inst_prefetch 0x2
	s_endpgm
	.section	.rodata,"a",@progbits
	.p2align	6, 0x0
	.amdhsa_kernel _ZN2at6native12_GLOBAL__N_125multi_tensor_apply_kernelINS1_28TensorListScalarListMetadataIsLi2EEENS1_25BinaryOpScalarListFunctorIsLi2ELi1ELi1EEEJSt4plusIsEEEEvT_T0_DpT1_
		.amdhsa_group_segment_fixed_size 0
		.amdhsa_private_segment_fixed_size 0
		.amdhsa_kernarg_size 3528
		.amdhsa_user_sgpr_count 6
		.amdhsa_user_sgpr_private_segment_buffer 1
		.amdhsa_user_sgpr_dispatch_ptr 0
		.amdhsa_user_sgpr_queue_ptr 0
		.amdhsa_user_sgpr_kernarg_segment_ptr 1
		.amdhsa_user_sgpr_dispatch_id 0
		.amdhsa_user_sgpr_flat_scratch_init 0
		.amdhsa_user_sgpr_private_segment_size 0
		.amdhsa_wavefront_size32 1
		.amdhsa_uses_dynamic_stack 0
		.amdhsa_system_sgpr_private_segment_wavefront_offset 0
		.amdhsa_system_sgpr_workgroup_id_x 1
		.amdhsa_system_sgpr_workgroup_id_y 0
		.amdhsa_system_sgpr_workgroup_id_z 0
		.amdhsa_system_sgpr_workgroup_info 0
		.amdhsa_system_vgpr_workitem_id 0
		.amdhsa_next_free_vgpr 30
		.amdhsa_next_free_sgpr 23
		.amdhsa_reserve_vcc 1
		.amdhsa_reserve_flat_scratch 0
		.amdhsa_float_round_mode_32 0
		.amdhsa_float_round_mode_16_64 0
		.amdhsa_float_denorm_mode_32 3
		.amdhsa_float_denorm_mode_16_64 3
		.amdhsa_dx10_clamp 1
		.amdhsa_ieee_mode 1
		.amdhsa_fp16_overflow 0
		.amdhsa_workgroup_processor_mode 1
		.amdhsa_memory_ordered 1
		.amdhsa_forward_progress 1
		.amdhsa_shared_vgpr_count 0
		.amdhsa_exception_fp_ieee_invalid_op 0
		.amdhsa_exception_fp_denorm_src 0
		.amdhsa_exception_fp_ieee_div_zero 0
		.amdhsa_exception_fp_ieee_overflow 0
		.amdhsa_exception_fp_ieee_underflow 0
		.amdhsa_exception_fp_ieee_inexact 0
		.amdhsa_exception_int_div_zero 0
	.end_amdhsa_kernel
	.section	.text._ZN2at6native12_GLOBAL__N_125multi_tensor_apply_kernelINS1_28TensorListScalarListMetadataIsLi2EEENS1_25BinaryOpScalarListFunctorIsLi2ELi1ELi1EEEJSt4plusIsEEEEvT_T0_DpT1_,"axG",@progbits,_ZN2at6native12_GLOBAL__N_125multi_tensor_apply_kernelINS1_28TensorListScalarListMetadataIsLi2EEENS1_25BinaryOpScalarListFunctorIsLi2ELi1ELi1EEEJSt4plusIsEEEEvT_T0_DpT1_,comdat
.Lfunc_end16:
	.size	_ZN2at6native12_GLOBAL__N_125multi_tensor_apply_kernelINS1_28TensorListScalarListMetadataIsLi2EEENS1_25BinaryOpScalarListFunctorIsLi2ELi1ELi1EEEJSt4plusIsEEEEvT_T0_DpT1_, .Lfunc_end16-_ZN2at6native12_GLOBAL__N_125multi_tensor_apply_kernelINS1_28TensorListScalarListMetadataIsLi2EEENS1_25BinaryOpScalarListFunctorIsLi2ELi1ELi1EEEJSt4plusIsEEEEvT_T0_DpT1_
                                        ; -- End function
	.set _ZN2at6native12_GLOBAL__N_125multi_tensor_apply_kernelINS1_28TensorListScalarListMetadataIsLi2EEENS1_25BinaryOpScalarListFunctorIsLi2ELi1ELi1EEEJSt4plusIsEEEEvT_T0_DpT1_.num_vgpr, 30
	.set _ZN2at6native12_GLOBAL__N_125multi_tensor_apply_kernelINS1_28TensorListScalarListMetadataIsLi2EEENS1_25BinaryOpScalarListFunctorIsLi2ELi1ELi1EEEJSt4plusIsEEEEvT_T0_DpT1_.num_agpr, 0
	.set _ZN2at6native12_GLOBAL__N_125multi_tensor_apply_kernelINS1_28TensorListScalarListMetadataIsLi2EEENS1_25BinaryOpScalarListFunctorIsLi2ELi1ELi1EEEJSt4plusIsEEEEvT_T0_DpT1_.numbered_sgpr, 23
	.set _ZN2at6native12_GLOBAL__N_125multi_tensor_apply_kernelINS1_28TensorListScalarListMetadataIsLi2EEENS1_25BinaryOpScalarListFunctorIsLi2ELi1ELi1EEEJSt4plusIsEEEEvT_T0_DpT1_.num_named_barrier, 0
	.set _ZN2at6native12_GLOBAL__N_125multi_tensor_apply_kernelINS1_28TensorListScalarListMetadataIsLi2EEENS1_25BinaryOpScalarListFunctorIsLi2ELi1ELi1EEEJSt4plusIsEEEEvT_T0_DpT1_.private_seg_size, 0
	.set _ZN2at6native12_GLOBAL__N_125multi_tensor_apply_kernelINS1_28TensorListScalarListMetadataIsLi2EEENS1_25BinaryOpScalarListFunctorIsLi2ELi1ELi1EEEJSt4plusIsEEEEvT_T0_DpT1_.uses_vcc, 1
	.set _ZN2at6native12_GLOBAL__N_125multi_tensor_apply_kernelINS1_28TensorListScalarListMetadataIsLi2EEENS1_25BinaryOpScalarListFunctorIsLi2ELi1ELi1EEEJSt4plusIsEEEEvT_T0_DpT1_.uses_flat_scratch, 0
	.set _ZN2at6native12_GLOBAL__N_125multi_tensor_apply_kernelINS1_28TensorListScalarListMetadataIsLi2EEENS1_25BinaryOpScalarListFunctorIsLi2ELi1ELi1EEEJSt4plusIsEEEEvT_T0_DpT1_.has_dyn_sized_stack, 0
	.set _ZN2at6native12_GLOBAL__N_125multi_tensor_apply_kernelINS1_28TensorListScalarListMetadataIsLi2EEENS1_25BinaryOpScalarListFunctorIsLi2ELi1ELi1EEEJSt4plusIsEEEEvT_T0_DpT1_.has_recursion, 0
	.set _ZN2at6native12_GLOBAL__N_125multi_tensor_apply_kernelINS1_28TensorListScalarListMetadataIsLi2EEENS1_25BinaryOpScalarListFunctorIsLi2ELi1ELi1EEEJSt4plusIsEEEEvT_T0_DpT1_.has_indirect_call, 0
	.section	.AMDGPU.csdata,"",@progbits
; Kernel info:
; codeLenInByte = 1528
; TotalNumSgprs: 25
; NumVgprs: 30
; ScratchSize: 0
; MemoryBound: 0
; FloatMode: 240
; IeeeMode: 1
; LDSByteSize: 0 bytes/workgroup (compile time only)
; SGPRBlocks: 0
; VGPRBlocks: 3
; NumSGPRsForWavesPerEU: 25
; NumVGPRsForWavesPerEU: 30
; Occupancy: 16
; WaveLimiterHint : 0
; COMPUTE_PGM_RSRC2:SCRATCH_EN: 0
; COMPUTE_PGM_RSRC2:USER_SGPR: 6
; COMPUTE_PGM_RSRC2:TRAP_HANDLER: 0
; COMPUTE_PGM_RSRC2:TGID_X_EN: 1
; COMPUTE_PGM_RSRC2:TGID_Y_EN: 0
; COMPUTE_PGM_RSRC2:TGID_Z_EN: 0
; COMPUTE_PGM_RSRC2:TIDIG_COMP_CNT: 0
	.section	.text._ZN2at6native12_GLOBAL__N_125multi_tensor_apply_kernelINS1_28TensorListScalarListMetadataIdLi2EEENS1_25BinaryOpScalarListFunctorIdLi2ELi1ELi1EEEJSt4plusIdEEEEvT_T0_DpT1_,"axG",@progbits,_ZN2at6native12_GLOBAL__N_125multi_tensor_apply_kernelINS1_28TensorListScalarListMetadataIdLi2EEENS1_25BinaryOpScalarListFunctorIdLi2ELi1ELi1EEEJSt4plusIdEEEEvT_T0_DpT1_,comdat
	.globl	_ZN2at6native12_GLOBAL__N_125multi_tensor_apply_kernelINS1_28TensorListScalarListMetadataIdLi2EEENS1_25BinaryOpScalarListFunctorIdLi2ELi1ELi1EEEJSt4plusIdEEEEvT_T0_DpT1_ ; -- Begin function _ZN2at6native12_GLOBAL__N_125multi_tensor_apply_kernelINS1_28TensorListScalarListMetadataIdLi2EEENS1_25BinaryOpScalarListFunctorIdLi2ELi1ELi1EEEJSt4plusIdEEEEvT_T0_DpT1_
	.p2align	8
	.type	_ZN2at6native12_GLOBAL__N_125multi_tensor_apply_kernelINS1_28TensorListScalarListMetadataIdLi2EEENS1_25BinaryOpScalarListFunctorIdLi2ELi1ELi1EEEJSt4plusIdEEEEvT_T0_DpT1_,@function
_ZN2at6native12_GLOBAL__N_125multi_tensor_apply_kernelINS1_28TensorListScalarListMetadataIdLi2EEENS1_25BinaryOpScalarListFunctorIdLi2ELi1ELi1EEEJSt4plusIdEEEEvT_T0_DpT1_: ; @_ZN2at6native12_GLOBAL__N_125multi_tensor_apply_kernelINS1_28TensorListScalarListMetadataIdLi2EEENS1_25BinaryOpScalarListFunctorIdLi2ELi1ELi1EEEJSt4plusIdEEEEvT_T0_DpT1_
; %bb.0:
	v_mov_b32_e32 v1, 0x800
	s_add_u32 s0, s4, s6
	s_addc_u32 s1, s5, 0
	s_mov_b32 s7, 0
	s_mov_b32 s19, s7
	global_load_ubyte v1, v1, s[0:1]
	s_lshl_b64 s[0:1], s[6:7], 2
	s_add_u32 s0, s4, s0
	s_addc_u32 s1, s5, s1
	s_load_dword s0, s[0:1], 0x940
	s_waitcnt vmcnt(0)
	v_readfirstlane_b32 s1, v1
	s_lshl_b32 s1, s1, 3
	s_clause 0x3
	s_load_dwordx2 s[8:9], s[4:5], s1 offset:0x0
	s_load_dwordx2 s[10:11], s[4:5], s1 offset:0x600
	;; [unrolled: 1-line block ×4, first 2 shown]
	s_waitcnt lgkmcnt(0)
	s_ashr_i32 s1, s0, 31
	s_lshl_b64 s[14:15], s[0:1], 19
	s_lshl_b64 s[0:1], s[0:1], 16
	s_add_u32 s6, s8, s14
	s_and_b32 s18, s12, 31
	s_and_b32 s6, s6, 31
	s_sub_u32 s16, s2, s0
	s_subb_u32 s17, s3, s1
	s_and_b32 s0, s2, 3
	s_mov_b32 s1, s7
	s_or_b64 s[0:1], s[18:19], s[0:1]
	s_or_b64 s[0:1], s[0:1], s[6:7]
	s_cmp_eq_u64 s[0:1], 0
	s_mov_b32 s0, -1
	s_cbranch_scc1 .LBB17_21
; %bb.1:
	v_cmp_lt_i64_e64 s0, s[16:17], 1
	s_and_b32 vcc_lo, exec_lo, s0
	s_cbranch_vccnz .LBB17_20
; %bb.2:
	s_load_dword s0, s[4:5], 0xe54
	v_cmp_gt_i64_e64 s1, 0x10000, s[16:17]
	v_lshlrev_b32_e32 v1, 3, v0
	v_mov_b32_e32 v2, 0
	v_cmp_gt_u64_e64 s2, 0x10000, s[16:17]
	s_mov_b64 s[20:21], 0
	s_and_b32 s1, s1, exec_lo
	s_cselect_b32 s7, s17, 0
	s_cselect_b32 s6, s16, 0x10000
	v_add_co_u32 v11, s1, s12, v1
	v_add_co_u32 v9, s3, s8, v1
	v_add_co_ci_u32_e64 v12, null, s13, 0, s1
	v_add_co_ci_u32_e64 v10, null, s9, 0, s3
	s_waitcnt lgkmcnt(0)
	s_and_b32 s0, s0, 0xffff
	s_and_b32 s1, s2, exec_lo
	v_mad_u64_u32 v[2:3], null, s0, 24, v[1:2]
	s_cselect_b32 s19, s17, 0
	s_cselect_b32 s18, s16, 0x10000
	s_mul_i32 s2, s0, 3
	s_lshl_b32 s3, s0, 4
	v_add_co_u32 v17, s2, s2, v0
	v_add_co_u32 v13, vcc_lo, s8, v2
	v_add_co_u32 v1, s3, s3, v1
	v_add_co_ci_u32_e64 v14, null, s9, v3, vcc_lo
	v_add_co_u32 v15, vcc_lo, s12, v2
	v_add_co_ci_u32_e64 v2, null, 0, 0, s3
	v_add_co_ci_u32_e64 v18, null, 0, 0, s2
	v_add_co_u32 v21, s2, v0, s0
	v_add_co_ci_u32_e64 v16, null, s13, v3, vcc_lo
	v_add_co_u32 v19, vcc_lo, s8, v1
	v_add_co_ci_u32_e64 v20, null, s9, v2, vcc_lo
	v_add_co_u32 v22, vcc_lo, s12, v1
	v_lshlrev_b32_e32 v1, 3, v21
	s_lshl_b32 s1, s0, 1
	v_add_co_ci_u32_e64 v23, null, s13, v2, vcc_lo
	v_add_co_u32 v25, s1, s1, v0
	v_add_co_ci_u32_e64 v26, null, 0, 0, s1
	v_add_co_u32 v27, s1, s8, v1
	v_add_co_ci_u32_e64 v28, null, s9, 0, s1
	;; [unrolled: 2-line block ×3, first 2 shown]
	v_add_co_ci_u32_e64 v30, null, s13, 0, s1
	s_lshl_b32 s22, s0, 2
	s_lshl_b32 s23, s0, 5
	s_branch .LBB17_4
.LBB17_3:                               ;   in Loop: Header=BB17_4 Depth=1
	s_or_b32 exec_lo, exec_lo, s0
	v_add_co_u32 v9, vcc_lo, v9, s23
	v_add_co_ci_u32_e64 v10, null, 0, v10, vcc_lo
	v_add_co_u32 v11, vcc_lo, v11, s23
	v_add_co_ci_u32_e64 v12, null, 0, v12, vcc_lo
	;; [unrolled: 2-line block ×4, first 2 shown]
	v_add_co_u32 v19, vcc_lo, v19, s23
	s_add_u32 s20, s20, s22
	v_add_co_ci_u32_e64 v20, null, 0, v20, vcc_lo
	v_add_co_u32 v22, vcc_lo, v22, s23
	s_addc_u32 s21, s21, 0
	v_add_co_ci_u32_e64 v23, null, 0, v23, vcc_lo
	v_add_co_u32 v27, vcc_lo, v27, s23
	v_cmp_lt_i64_e64 s0, s[20:21], s[6:7]
	v_add_co_ci_u32_e64 v28, null, 0, v28, vcc_lo
	v_add_co_u32 v29, vcc_lo, v29, s23
	v_add_co_ci_u32_e64 v30, null, 0, v30, vcc_lo
	s_and_b32 vcc_lo, exec_lo, s0
	s_cbranch_vccz .LBB17_20
.LBB17_4:                               ; =>This Inner Loop Header: Depth=1
	s_waitcnt vmcnt(0)
	v_add_co_u32 v3, s0, v0, s20
	v_add_co_ci_u32_e64 v4, null, 0, s21, s0
	v_mov_b32_e32 v1, 0
	v_mov_b32_e32 v2, 0
	v_cmp_gt_u64_e32 vcc_lo, s[18:19], v[3:4]
	v_mov_b32_e32 v3, 0
	v_mov_b32_e32 v4, 0
	s_and_saveexec_b32 s1, vcc_lo
	s_cbranch_execz .LBB17_6
; %bb.5:                                ;   in Loop: Header=BB17_4 Depth=1
	v_add_co_u32 v3, s0, v9, s14
	v_add_co_ci_u32_e64 v4, null, s15, v10, s0
	global_load_dwordx2 v[3:4], v[3:4], off
.LBB17_6:                               ;   in Loop: Header=BB17_4 Depth=1
	s_or_b32 exec_lo, exec_lo, s1
	v_add_co_u32 v5, s0, v21, s20
	v_add_co_ci_u32_e64 v6, null, s21, v24, s0
	v_cmp_gt_u64_e64 s0, s[18:19], v[5:6]
	s_and_saveexec_b32 s2, s0
	s_cbranch_execz .LBB17_8
; %bb.7:                                ;   in Loop: Header=BB17_4 Depth=1
	v_add_co_u32 v1, s1, v27, s14
	v_add_co_ci_u32_e64 v2, null, s15, v28, s1
	global_load_dwordx2 v[1:2], v[1:2], off
.LBB17_8:                               ;   in Loop: Header=BB17_4 Depth=1
	s_or_b32 exec_lo, exec_lo, s2
	v_add_co_u32 v7, s1, v25, s20
	v_add_co_ci_u32_e64 v8, null, s21, v26, s1
	v_mov_b32_e32 v5, 0
	v_mov_b32_e32 v6, 0
	v_cmp_gt_u64_e64 s1, s[18:19], v[7:8]
	v_mov_b32_e32 v7, 0
	v_mov_b32_e32 v8, 0
	s_and_saveexec_b32 s3, s1
	s_cbranch_execz .LBB17_10
; %bb.9:                                ;   in Loop: Header=BB17_4 Depth=1
	v_add_co_u32 v7, s2, v19, s14
	v_add_co_ci_u32_e64 v8, null, s15, v20, s2
	global_load_dwordx2 v[7:8], v[7:8], off
.LBB17_10:                              ;   in Loop: Header=BB17_4 Depth=1
	s_or_b32 exec_lo, exec_lo, s3
	v_add_co_u32 v31, s2, v17, s20
	v_add_co_ci_u32_e64 v32, null, s21, v18, s2
	v_cmp_gt_u64_e64 s2, s[18:19], v[31:32]
	s_and_saveexec_b32 s24, s2
	s_cbranch_execnz .LBB17_15
; %bb.11:                               ;   in Loop: Header=BB17_4 Depth=1
	s_or_b32 exec_lo, exec_lo, s24
	s_and_saveexec_b32 s3, vcc_lo
	s_cbranch_execnz .LBB17_16
.LBB17_12:                              ;   in Loop: Header=BB17_4 Depth=1
	s_or_b32 exec_lo, exec_lo, s3
	s_and_saveexec_b32 s3, s0
	s_cbranch_execnz .LBB17_17
.LBB17_13:                              ;   in Loop: Header=BB17_4 Depth=1
	s_or_b32 exec_lo, exec_lo, s3
	s_and_saveexec_b32 s0, s1
	s_cbranch_execnz .LBB17_18
.LBB17_14:                              ;   in Loop: Header=BB17_4 Depth=1
	s_or_b32 exec_lo, exec_lo, s0
	s_and_saveexec_b32 s0, s2
	s_cbranch_execz .LBB17_3
	s_branch .LBB17_19
.LBB17_15:                              ;   in Loop: Header=BB17_4 Depth=1
	v_add_co_u32 v5, s3, v13, s14
	v_add_co_ci_u32_e64 v6, null, s15, v14, s3
	global_load_dwordx2 v[5:6], v[5:6], off
	s_or_b32 exec_lo, exec_lo, s24
	s_and_saveexec_b32 s3, vcc_lo
	s_cbranch_execz .LBB17_12
.LBB17_16:                              ;   in Loop: Header=BB17_4 Depth=1
	s_waitcnt vmcnt(0)
	v_add_f64 v[3:4], s[10:11], v[3:4]
	v_add_co_u32 v31, vcc_lo, v11, s14
	v_add_co_ci_u32_e64 v32, null, s15, v12, vcc_lo
	global_store_dwordx2 v[31:32], v[3:4], off
	s_or_b32 exec_lo, exec_lo, s3
	s_and_saveexec_b32 s3, s0
	s_cbranch_execz .LBB17_13
.LBB17_17:                              ;   in Loop: Header=BB17_4 Depth=1
	s_waitcnt vmcnt(0)
	v_add_f64 v[1:2], s[10:11], v[1:2]
	v_add_co_u32 v3, vcc_lo, v29, s14
	v_add_co_ci_u32_e64 v4, null, s15, v30, vcc_lo
	global_store_dwordx2 v[3:4], v[1:2], off
	s_or_b32 exec_lo, exec_lo, s3
	s_and_saveexec_b32 s0, s1
	s_cbranch_execz .LBB17_14
.LBB17_18:                              ;   in Loop: Header=BB17_4 Depth=1
	s_waitcnt vmcnt(0)
	v_add_f64 v[1:2], s[10:11], v[7:8]
	v_add_co_u32 v3, vcc_lo, v22, s14
	v_add_co_ci_u32_e64 v4, null, s15, v23, vcc_lo
	global_store_dwordx2 v[3:4], v[1:2], off
	s_or_b32 exec_lo, exec_lo, s0
	s_and_saveexec_b32 s0, s2
	s_cbranch_execz .LBB17_3
.LBB17_19:                              ;   in Loop: Header=BB17_4 Depth=1
	s_waitcnt vmcnt(0)
	v_add_f64 v[1:2], s[10:11], v[5:6]
	v_add_co_u32 v3, vcc_lo, v15, s14
	v_add_co_ci_u32_e64 v4, null, s15, v16, vcc_lo
	global_store_dwordx2 v[3:4], v[1:2], off
	s_branch .LBB17_3
.LBB17_20:
	s_mov_b32 s0, 0
.LBB17_21:
	s_andn2_b32 vcc_lo, exec_lo, s0
	s_cbranch_vccnz .LBB17_25
; %bb.22:
	v_cmp_gt_i64_e64 s0, 0x10000, s[16:17]
	s_waitcnt vmcnt(0)
	v_mov_b32_e32 v2, 0
	v_lshlrev_b32_e32 v1, 2, v0
	s_mov_b32 s1, 0
	s_and_b32 s0, s0, exec_lo
	s_cselect_b32 s3, s17, 0
	s_cselect_b32 s2, s16, 0x10000
	s_mov_b32 s0, exec_lo
	v_cmpx_gt_i64_e64 s[2:3], v[1:2]
	s_cbranch_execz .LBB17_25
; %bb.23:
	s_load_dword s0, s[4:5], 0xe54
	v_lshlrev_b32_e32 v3, 5, v0
	v_mov_b32_e32 v1, v2
	v_add_co_u32 v2, s4, s14, v3
	v_add_co_ci_u32_e64 v3, null, s15, 0, s4
	s_waitcnt lgkmcnt(0)
	s_and_b32 s4, s0, 0xffff
	s_lshl_b32 s5, s4, 5
	s_inst_prefetch 0x1
	.p2align	6
.LBB17_24:                              ; =>This Inner Loop Header: Depth=1
	v_add_co_u32 v8, vcc_lo, s8, v2
	v_add_co_ci_u32_e64 v9, null, s9, v3, vcc_lo
	v_add_co_u32 v0, vcc_lo, v0, s4
	v_add_co_ci_u32_e64 v1, null, 0, v1, vcc_lo
	s_clause 0x1
	global_load_dwordx4 v[4:7], v[8:9], off
	global_load_dwordx4 v[8:11], v[8:9], off offset:16
	v_add_co_u32 v14, vcc_lo, s12, v2
	v_lshlrev_b64 v[12:13], 2, v[0:1]
	v_add_co_ci_u32_e64 v15, null, s13, v3, vcc_lo
	v_add_co_u32 v2, s0, v2, s5
	v_add_co_ci_u32_e64 v3, null, 0, v3, s0
	v_cmp_le_i64_e32 vcc_lo, s[2:3], v[12:13]
	s_or_b32 s1, vcc_lo, s1
	s_waitcnt vmcnt(1)
	v_add_f64 v[4:5], s[10:11], v[4:5]
	v_add_f64 v[6:7], s[10:11], v[6:7]
	s_waitcnt vmcnt(0)
	v_add_f64 v[8:9], s[10:11], v[8:9]
	v_add_f64 v[10:11], s[10:11], v[10:11]
	global_store_dwordx4 v[14:15], v[4:7], off
	global_store_dwordx4 v[14:15], v[8:11], off offset:16
	s_andn2_b32 exec_lo, exec_lo, s1
	s_cbranch_execnz .LBB17_24
.LBB17_25:
	s_inst_prefetch 0x2
	s_endpgm
	.section	.rodata,"a",@progbits
	.p2align	6, 0x0
	.amdhsa_kernel _ZN2at6native12_GLOBAL__N_125multi_tensor_apply_kernelINS1_28TensorListScalarListMetadataIdLi2EEENS1_25BinaryOpScalarListFunctorIdLi2ELi1ELi1EEEJSt4plusIdEEEEvT_T0_DpT1_
		.amdhsa_group_segment_fixed_size 0
		.amdhsa_private_segment_fixed_size 0
		.amdhsa_kernarg_size 3912
		.amdhsa_user_sgpr_count 6
		.amdhsa_user_sgpr_private_segment_buffer 1
		.amdhsa_user_sgpr_dispatch_ptr 0
		.amdhsa_user_sgpr_queue_ptr 0
		.amdhsa_user_sgpr_kernarg_segment_ptr 1
		.amdhsa_user_sgpr_dispatch_id 0
		.amdhsa_user_sgpr_flat_scratch_init 0
		.amdhsa_user_sgpr_private_segment_size 0
		.amdhsa_wavefront_size32 1
		.amdhsa_uses_dynamic_stack 0
		.amdhsa_system_sgpr_private_segment_wavefront_offset 0
		.amdhsa_system_sgpr_workgroup_id_x 1
		.amdhsa_system_sgpr_workgroup_id_y 0
		.amdhsa_system_sgpr_workgroup_id_z 0
		.amdhsa_system_sgpr_workgroup_info 0
		.amdhsa_system_vgpr_workitem_id 0
		.amdhsa_next_free_vgpr 33
		.amdhsa_next_free_sgpr 25
		.amdhsa_reserve_vcc 1
		.amdhsa_reserve_flat_scratch 0
		.amdhsa_float_round_mode_32 0
		.amdhsa_float_round_mode_16_64 0
		.amdhsa_float_denorm_mode_32 3
		.amdhsa_float_denorm_mode_16_64 3
		.amdhsa_dx10_clamp 1
		.amdhsa_ieee_mode 1
		.amdhsa_fp16_overflow 0
		.amdhsa_workgroup_processor_mode 1
		.amdhsa_memory_ordered 1
		.amdhsa_forward_progress 1
		.amdhsa_shared_vgpr_count 0
		.amdhsa_exception_fp_ieee_invalid_op 0
		.amdhsa_exception_fp_denorm_src 0
		.amdhsa_exception_fp_ieee_div_zero 0
		.amdhsa_exception_fp_ieee_overflow 0
		.amdhsa_exception_fp_ieee_underflow 0
		.amdhsa_exception_fp_ieee_inexact 0
		.amdhsa_exception_int_div_zero 0
	.end_amdhsa_kernel
	.section	.text._ZN2at6native12_GLOBAL__N_125multi_tensor_apply_kernelINS1_28TensorListScalarListMetadataIdLi2EEENS1_25BinaryOpScalarListFunctorIdLi2ELi1ELi1EEEJSt4plusIdEEEEvT_T0_DpT1_,"axG",@progbits,_ZN2at6native12_GLOBAL__N_125multi_tensor_apply_kernelINS1_28TensorListScalarListMetadataIdLi2EEENS1_25BinaryOpScalarListFunctorIdLi2ELi1ELi1EEEJSt4plusIdEEEEvT_T0_DpT1_,comdat
.Lfunc_end17:
	.size	_ZN2at6native12_GLOBAL__N_125multi_tensor_apply_kernelINS1_28TensorListScalarListMetadataIdLi2EEENS1_25BinaryOpScalarListFunctorIdLi2ELi1ELi1EEEJSt4plusIdEEEEvT_T0_DpT1_, .Lfunc_end17-_ZN2at6native12_GLOBAL__N_125multi_tensor_apply_kernelINS1_28TensorListScalarListMetadataIdLi2EEENS1_25BinaryOpScalarListFunctorIdLi2ELi1ELi1EEEJSt4plusIdEEEEvT_T0_DpT1_
                                        ; -- End function
	.set _ZN2at6native12_GLOBAL__N_125multi_tensor_apply_kernelINS1_28TensorListScalarListMetadataIdLi2EEENS1_25BinaryOpScalarListFunctorIdLi2ELi1ELi1EEEJSt4plusIdEEEEvT_T0_DpT1_.num_vgpr, 33
	.set _ZN2at6native12_GLOBAL__N_125multi_tensor_apply_kernelINS1_28TensorListScalarListMetadataIdLi2EEENS1_25BinaryOpScalarListFunctorIdLi2ELi1ELi1EEEJSt4plusIdEEEEvT_T0_DpT1_.num_agpr, 0
	.set _ZN2at6native12_GLOBAL__N_125multi_tensor_apply_kernelINS1_28TensorListScalarListMetadataIdLi2EEENS1_25BinaryOpScalarListFunctorIdLi2ELi1ELi1EEEJSt4plusIdEEEEvT_T0_DpT1_.numbered_sgpr, 25
	.set _ZN2at6native12_GLOBAL__N_125multi_tensor_apply_kernelINS1_28TensorListScalarListMetadataIdLi2EEENS1_25BinaryOpScalarListFunctorIdLi2ELi1ELi1EEEJSt4plusIdEEEEvT_T0_DpT1_.num_named_barrier, 0
	.set _ZN2at6native12_GLOBAL__N_125multi_tensor_apply_kernelINS1_28TensorListScalarListMetadataIdLi2EEENS1_25BinaryOpScalarListFunctorIdLi2ELi1ELi1EEEJSt4plusIdEEEEvT_T0_DpT1_.private_seg_size, 0
	.set _ZN2at6native12_GLOBAL__N_125multi_tensor_apply_kernelINS1_28TensorListScalarListMetadataIdLi2EEENS1_25BinaryOpScalarListFunctorIdLi2ELi1ELi1EEEJSt4plusIdEEEEvT_T0_DpT1_.uses_vcc, 1
	.set _ZN2at6native12_GLOBAL__N_125multi_tensor_apply_kernelINS1_28TensorListScalarListMetadataIdLi2EEENS1_25BinaryOpScalarListFunctorIdLi2ELi1ELi1EEEJSt4plusIdEEEEvT_T0_DpT1_.uses_flat_scratch, 0
	.set _ZN2at6native12_GLOBAL__N_125multi_tensor_apply_kernelINS1_28TensorListScalarListMetadataIdLi2EEENS1_25BinaryOpScalarListFunctorIdLi2ELi1ELi1EEEJSt4plusIdEEEEvT_T0_DpT1_.has_dyn_sized_stack, 0
	.set _ZN2at6native12_GLOBAL__N_125multi_tensor_apply_kernelINS1_28TensorListScalarListMetadataIdLi2EEENS1_25BinaryOpScalarListFunctorIdLi2ELi1ELi1EEEJSt4plusIdEEEEvT_T0_DpT1_.has_recursion, 0
	.set _ZN2at6native12_GLOBAL__N_125multi_tensor_apply_kernelINS1_28TensorListScalarListMetadataIdLi2EEENS1_25BinaryOpScalarListFunctorIdLi2ELi1ELi1EEEJSt4plusIdEEEEvT_T0_DpT1_.has_indirect_call, 0
	.section	.AMDGPU.csdata,"",@progbits
; Kernel info:
; codeLenInByte = 1516
; TotalNumSgprs: 27
; NumVgprs: 33
; ScratchSize: 0
; MemoryBound: 0
; FloatMode: 240
; IeeeMode: 1
; LDSByteSize: 0 bytes/workgroup (compile time only)
; SGPRBlocks: 0
; VGPRBlocks: 4
; NumSGPRsForWavesPerEU: 27
; NumVGPRsForWavesPerEU: 33
; Occupancy: 16
; WaveLimiterHint : 1
; COMPUTE_PGM_RSRC2:SCRATCH_EN: 0
; COMPUTE_PGM_RSRC2:USER_SGPR: 6
; COMPUTE_PGM_RSRC2:TRAP_HANDLER: 0
; COMPUTE_PGM_RSRC2:TGID_X_EN: 1
; COMPUTE_PGM_RSRC2:TGID_Y_EN: 0
; COMPUTE_PGM_RSRC2:TGID_Z_EN: 0
; COMPUTE_PGM_RSRC2:TIDIG_COMP_CNT: 0
	.section	.text._ZN2at6native12_GLOBAL__N_125multi_tensor_apply_kernelINS1_28TensorListScalarListMetadataIfLi2EEENS1_25BinaryOpScalarListFunctorIfLi2ELi1ELi1EEEJSt4plusIfEEEEvT_T0_DpT1_,"axG",@progbits,_ZN2at6native12_GLOBAL__N_125multi_tensor_apply_kernelINS1_28TensorListScalarListMetadataIfLi2EEENS1_25BinaryOpScalarListFunctorIfLi2ELi1ELi1EEEJSt4plusIfEEEEvT_T0_DpT1_,comdat
	.globl	_ZN2at6native12_GLOBAL__N_125multi_tensor_apply_kernelINS1_28TensorListScalarListMetadataIfLi2EEENS1_25BinaryOpScalarListFunctorIfLi2ELi1ELi1EEEJSt4plusIfEEEEvT_T0_DpT1_ ; -- Begin function _ZN2at6native12_GLOBAL__N_125multi_tensor_apply_kernelINS1_28TensorListScalarListMetadataIfLi2EEENS1_25BinaryOpScalarListFunctorIfLi2ELi1ELi1EEEJSt4plusIfEEEEvT_T0_DpT1_
	.p2align	8
	.type	_ZN2at6native12_GLOBAL__N_125multi_tensor_apply_kernelINS1_28TensorListScalarListMetadataIfLi2EEENS1_25BinaryOpScalarListFunctorIfLi2ELi1ELi1EEEJSt4plusIfEEEEvT_T0_DpT1_,@function
_ZN2at6native12_GLOBAL__N_125multi_tensor_apply_kernelINS1_28TensorListScalarListMetadataIfLi2EEENS1_25BinaryOpScalarListFunctorIfLi2ELi1ELi1EEEJSt4plusIfEEEEvT_T0_DpT1_: ; @_ZN2at6native12_GLOBAL__N_125multi_tensor_apply_kernelINS1_28TensorListScalarListMetadataIfLi2EEENS1_25BinaryOpScalarListFunctorIfLi2ELi1ELi1EEEJSt4plusIfEEEEvT_T0_DpT1_
; %bb.0:
	v_mov_b32_e32 v1, s6
	s_add_u32 s0, s4, s6
	s_mul_hi_u32 s1, s6, 3
	s_mul_i32 s6, s6, 3
	s_addc_u32 s2, s5, 0
	global_load_ubyte v1, v1, s[4:5] offset:1792
	s_add_u32 s0, s0, s6
	s_addc_u32 s1, s2, s1
	s_mov_b32 s15, 0
	s_load_dword s0, s[0:1], 0x840
	s_mov_b32 s17, s15
	s_waitcnt vmcnt(0)
	v_readfirstlane_b32 s1, v1
	v_lshlrev_b32_e32 v1, 2, v1
	s_lshl_b32 s10, s1, 3
	v_sub_co_u32 v1, s1, 0, v1
	v_sub_co_ci_u32_e64 v2, null, 0, 0, s1
	s_waitcnt lgkmcnt(0)
	s_ashr_i32 s1, s0, 31
	s_clause 0x2
	s_load_dwordx2 s[2:3], s[4:5], s10 offset:0x400
	s_load_dwordx2 s[6:7], s[4:5], s10 offset:0x0
	;; [unrolled: 1-line block ×3, first 2 shown]
	s_add_u32 s10, s4, s10
	s_addc_u32 s11, s5, 0
	v_add_co_u32 v1, vcc_lo, s10, v1
	v_add_co_ci_u32_e64 v2, null, s11, v2, vcc_lo
	v_readfirstlane_b32 s10, v1
	v_readfirstlane_b32 s11, v2
	s_load_dword s20, s[10:11], 0x600
	s_lshl_b64 s[10:11], s[0:1], 18
	s_lshl_b64 s[0:1], s[0:1], 16
	s_waitcnt lgkmcnt(0)
	s_add_u32 s12, s6, s10
	s_and_b32 s16, s8, 15
	s_and_b32 s14, s12, 15
	s_sub_u32 s12, s2, s0
	s_subb_u32 s13, s3, s1
	s_and_b32 s0, s2, 3
	s_mov_b32 s1, s15
	s_or_b64 s[0:1], s[16:17], s[0:1]
	s_or_b64 s[0:1], s[0:1], s[14:15]
	s_cmp_eq_u64 s[0:1], 0
	s_mov_b32 s0, -1
	s_cbranch_scc1 .LBB18_21
; %bb.1:
	v_cmp_lt_i64_e64 s0, s[12:13], 1
	s_and_b32 vcc_lo, exec_lo, s0
	s_cbranch_vccnz .LBB18_20
; %bb.2:
	s_load_dword s0, s[4:5], 0xd54
	v_cmp_gt_i64_e64 s1, 0x10000, s[12:13]
	v_lshlrev_b32_e32 v9, 2, v0
	v_cmp_gt_u64_e64 s2, 0x10000, s[12:13]
	v_mov_b32_e32 v10, 0
	s_mov_b64 s[18:19], 0
	s_and_b32 s1, s1, exec_lo
	v_add_co_u32 v3, s1, s8, v9
	v_add_co_u32 v1, s3, s6, v9
	s_cselect_b32 s15, s13, 0
	s_cselect_b32 s14, s12, 0x10000
	v_add_co_ci_u32_e64 v4, null, s9, 0, s1
	v_add_co_ci_u32_e64 v2, null, s7, 0, s3
	s_waitcnt lgkmcnt(0)
	s_and_b32 s0, s0, 0xffff
	s_and_b32 s1, s2, exec_lo
	s_cselect_b32 s17, s13, 0
	s_cselect_b32 s16, s12, 0x10000
	s_mul_i32 s2, s0, 3
	s_lshl_b32 s3, s0, 3
	v_mad_u64_u32 v[7:8], null, s0, 12, v[9:10]
	v_add_co_u32 v14, s3, s3, v9
	v_add_co_u32 v9, s2, s2, v0
	v_add_co_ci_u32_e64 v10, null, 0, 0, s2
	v_add_co_u32 v13, s2, v0, s0
	s_lshl_b32 s1, s0, 1
	v_add_co_u32 v5, vcc_lo, s6, v7
	v_lshlrev_b32_e32 v21, 2, v13
	v_add_co_ci_u32_e64 v15, null, 0, 0, s3
	v_add_co_ci_u32_e64 v6, null, s7, v8, vcc_lo
	v_add_co_u32 v7, vcc_lo, s8, v7
	v_add_co_u32 v17, s1, s1, v0
	v_add_co_ci_u32_e64 v8, null, s9, v8, vcc_lo
	v_add_co_u32 v11, vcc_lo, s6, v14
	v_add_co_ci_u32_e64 v18, null, 0, 0, s1
	v_add_co_u32 v19, s1, s6, v21
	v_add_co_ci_u32_e64 v12, null, s7, v15, vcc_lo
	v_add_co_u32 v14, vcc_lo, s8, v14
	v_add_co_ci_u32_e64 v20, null, s7, 0, s1
	v_add_co_u32 v21, s1, s8, v21
	v_add_co_ci_u32_e64 v15, null, s9, v15, vcc_lo
	v_add_co_ci_u32_e64 v16, null, 0, 0, s2
	v_add_co_ci_u32_e64 v22, null, s9, 0, s1
	s_lshl_b32 s21, s0, 2
	s_lshl_b32 s22, s0, 4
	s_branch .LBB18_4
.LBB18_3:                               ;   in Loop: Header=BB18_4 Depth=1
	s_or_b32 exec_lo, exec_lo, s0
	v_add_co_u32 v1, vcc_lo, v1, s22
	v_add_co_ci_u32_e64 v2, null, 0, v2, vcc_lo
	v_add_co_u32 v3, vcc_lo, v3, s22
	v_add_co_ci_u32_e64 v4, null, 0, v4, vcc_lo
	v_add_co_u32 v5, vcc_lo, v5, s22
	v_add_co_ci_u32_e64 v6, null, 0, v6, vcc_lo
	v_add_co_u32 v7, vcc_lo, v7, s22
	v_add_co_ci_u32_e64 v8, null, 0, v8, vcc_lo
	v_add_co_u32 v11, vcc_lo, v11, s22
	s_add_u32 s18, s18, s21
	v_add_co_ci_u32_e64 v12, null, 0, v12, vcc_lo
	v_add_co_u32 v14, vcc_lo, v14, s22
	s_addc_u32 s19, s19, 0
	v_add_co_ci_u32_e64 v15, null, 0, v15, vcc_lo
	v_add_co_u32 v19, vcc_lo, v19, s22
	v_cmp_lt_i64_e64 s0, s[18:19], s[14:15]
	v_add_co_ci_u32_e64 v20, null, 0, v20, vcc_lo
	v_add_co_u32 v21, vcc_lo, v21, s22
	v_add_co_ci_u32_e64 v22, null, 0, v22, vcc_lo
	s_and_b32 vcc_lo, exec_lo, s0
	s_cbranch_vccz .LBB18_20
.LBB18_4:                               ; =>This Inner Loop Header: Depth=1
	s_waitcnt vmcnt(0)
	v_add_co_u32 v23, s0, v0, s18
	v_add_co_ci_u32_e64 v24, null, 0, s19, s0
	v_cmp_gt_u64_e32 vcc_lo, s[16:17], v[23:24]
	v_mov_b32_e32 v24, 0
	s_and_saveexec_b32 s1, vcc_lo
	s_cbranch_execz .LBB18_6
; %bb.5:                                ;   in Loop: Header=BB18_4 Depth=1
	v_add_co_u32 v23, s0, v1, s10
	v_add_co_ci_u32_e64 v24, null, s11, v2, s0
	global_load_dword v24, v[23:24], off
.LBB18_6:                               ;   in Loop: Header=BB18_4 Depth=1
	s_or_b32 exec_lo, exec_lo, s1
	v_add_co_u32 v25, s0, v13, s18
	v_add_co_ci_u32_e64 v26, null, s19, v16, s0
	v_mov_b32_e32 v23, 0
	v_cmp_gt_u64_e64 s0, s[16:17], v[25:26]
	v_mov_b32_e32 v25, 0
	s_and_saveexec_b32 s2, s0
	s_cbranch_execz .LBB18_8
; %bb.7:                                ;   in Loop: Header=BB18_4 Depth=1
	v_add_co_u32 v25, s1, v19, s10
	v_add_co_ci_u32_e64 v26, null, s11, v20, s1
	global_load_dword v25, v[25:26], off
.LBB18_8:                               ;   in Loop: Header=BB18_4 Depth=1
	s_or_b32 exec_lo, exec_lo, s2
	v_add_co_u32 v26, s1, v17, s18
	v_add_co_ci_u32_e64 v27, null, s19, v18, s1
	v_cmp_gt_u64_e64 s1, s[16:17], v[26:27]
	s_and_saveexec_b32 s3, s1
	s_cbranch_execz .LBB18_10
; %bb.9:                                ;   in Loop: Header=BB18_4 Depth=1
	v_add_co_u32 v26, s2, v11, s10
	v_add_co_ci_u32_e64 v27, null, s11, v12, s2
	global_load_dword v23, v[26:27], off
.LBB18_10:                              ;   in Loop: Header=BB18_4 Depth=1
	s_or_b32 exec_lo, exec_lo, s3
	v_add_co_u32 v26, s2, v9, s18
	v_add_co_ci_u32_e64 v27, null, s19, v10, s2
	v_cmp_gt_u64_e64 s2, s[16:17], v[26:27]
	v_mov_b32_e32 v26, 0
	s_and_saveexec_b32 s23, s2
	s_cbranch_execnz .LBB18_15
; %bb.11:                               ;   in Loop: Header=BB18_4 Depth=1
	s_or_b32 exec_lo, exec_lo, s23
	s_and_saveexec_b32 s3, vcc_lo
	s_cbranch_execnz .LBB18_16
.LBB18_12:                              ;   in Loop: Header=BB18_4 Depth=1
	s_or_b32 exec_lo, exec_lo, s3
	s_and_saveexec_b32 s3, s0
	s_cbranch_execnz .LBB18_17
.LBB18_13:                              ;   in Loop: Header=BB18_4 Depth=1
	s_or_b32 exec_lo, exec_lo, s3
	s_and_saveexec_b32 s0, s1
	s_cbranch_execnz .LBB18_18
.LBB18_14:                              ;   in Loop: Header=BB18_4 Depth=1
	s_or_b32 exec_lo, exec_lo, s0
	s_and_saveexec_b32 s0, s2
	s_cbranch_execz .LBB18_3
	s_branch .LBB18_19
.LBB18_15:                              ;   in Loop: Header=BB18_4 Depth=1
	v_add_co_u32 v26, s3, v5, s10
	v_add_co_ci_u32_e64 v27, null, s11, v6, s3
	global_load_dword v26, v[26:27], off
	s_or_b32 exec_lo, exec_lo, s23
	s_and_saveexec_b32 s3, vcc_lo
	s_cbranch_execz .LBB18_12
.LBB18_16:                              ;   in Loop: Header=BB18_4 Depth=1
	v_add_co_u32 v27, vcc_lo, v3, s10
	s_waitcnt vmcnt(0)
	v_add_f32_e32 v24, s20, v24
	v_add_co_ci_u32_e64 v28, null, s11, v4, vcc_lo
	global_store_dword v[27:28], v24, off
	s_or_b32 exec_lo, exec_lo, s3
	s_and_saveexec_b32 s3, s0
	s_cbranch_execz .LBB18_13
.LBB18_17:                              ;   in Loop: Header=BB18_4 Depth=1
	s_waitcnt vmcnt(0)
	v_add_co_u32 v24, vcc_lo, v21, s10
	v_add_f32_e32 v27, s20, v25
	v_add_co_ci_u32_e64 v25, null, s11, v22, vcc_lo
	global_store_dword v[24:25], v27, off
	s_or_b32 exec_lo, exec_lo, s3
	s_and_saveexec_b32 s0, s1
	s_cbranch_execz .LBB18_14
.LBB18_18:                              ;   in Loop: Header=BB18_4 Depth=1
	s_waitcnt vmcnt(0)
	v_add_f32_e32 v25, s20, v23
	v_add_co_u32 v23, vcc_lo, v14, s10
	v_add_co_ci_u32_e64 v24, null, s11, v15, vcc_lo
	global_store_dword v[23:24], v25, off
	s_or_b32 exec_lo, exec_lo, s0
	s_and_saveexec_b32 s0, s2
	s_cbranch_execz .LBB18_3
.LBB18_19:                              ;   in Loop: Header=BB18_4 Depth=1
	s_waitcnt vmcnt(0)
	v_add_co_u32 v23, vcc_lo, v7, s10
	v_add_f32_e32 v25, s20, v26
	v_add_co_ci_u32_e64 v24, null, s11, v8, vcc_lo
	global_store_dword v[23:24], v25, off
	s_branch .LBB18_3
.LBB18_20:
	s_mov_b32 s0, 0
.LBB18_21:
	s_andn2_b32 vcc_lo, exec_lo, s0
	s_cbranch_vccnz .LBB18_25
; %bb.22:
	v_cmp_gt_i64_e64 s0, 0x10000, s[12:13]
	v_mov_b32_e32 v2, 0
	v_lshlrev_b32_e32 v1, 2, v0
	s_mov_b32 s1, 0
	s_and_b32 s0, s0, exec_lo
	s_cselect_b32 s3, s13, 0
	s_cselect_b32 s2, s12, 0x10000
	s_mov_b32 s0, exec_lo
	v_cmpx_gt_i64_e64 s[2:3], v[1:2]
	s_cbranch_execz .LBB18_25
; %bb.23:
	s_load_dword s0, s[4:5], 0xd54
	v_lshlrev_b32_e32 v3, 4, v0
	v_mov_b32_e32 v1, v2
	v_add_co_u32 v2, s4, s10, v3
	v_add_co_ci_u32_e64 v3, null, s11, 0, s4
	s_waitcnt lgkmcnt(0)
	s_and_b32 s4, s0, 0xffff
	s_lshl_b32 s5, s4, 4
	.p2align	6
.LBB18_24:                              ; =>This Inner Loop Header: Depth=1
	v_add_co_u32 v4, vcc_lo, s6, v2
	v_add_co_ci_u32_e64 v5, null, s7, v3, vcc_lo
	v_add_co_u32 v0, vcc_lo, v0, s4
	v_add_co_ci_u32_e64 v1, null, 0, v1, vcc_lo
	global_load_dwordx4 v[4:7], v[4:5], off
	v_add_co_u32 v8, vcc_lo, s8, v2
	v_lshlrev_b64 v[10:11], 2, v[0:1]
	v_add_co_ci_u32_e64 v9, null, s9, v3, vcc_lo
	v_add_co_u32 v2, vcc_lo, v2, s5
	v_add_co_ci_u32_e64 v3, null, 0, v3, vcc_lo
	v_cmp_le_i64_e64 s0, s[2:3], v[10:11]
	s_or_b32 s1, s0, s1
	s_waitcnt vmcnt(0)
	v_add_f32_e32 v4, s20, v4
	v_add_f32_e32 v5, s20, v5
	;; [unrolled: 1-line block ×4, first 2 shown]
	global_store_dwordx4 v[8:9], v[4:7], off
	s_andn2_b32 exec_lo, exec_lo, s1
	s_cbranch_execnz .LBB18_24
.LBB18_25:
	s_endpgm
	.section	.rodata,"a",@progbits
	.p2align	6, 0x0
	.amdhsa_kernel _ZN2at6native12_GLOBAL__N_125multi_tensor_apply_kernelINS1_28TensorListScalarListMetadataIfLi2EEENS1_25BinaryOpScalarListFunctorIfLi2ELi1ELi1EEEJSt4plusIfEEEEvT_T0_DpT1_
		.amdhsa_group_segment_fixed_size 0
		.amdhsa_private_segment_fixed_size 0
		.amdhsa_kernarg_size 3656
		.amdhsa_user_sgpr_count 6
		.amdhsa_user_sgpr_private_segment_buffer 1
		.amdhsa_user_sgpr_dispatch_ptr 0
		.amdhsa_user_sgpr_queue_ptr 0
		.amdhsa_user_sgpr_kernarg_segment_ptr 1
		.amdhsa_user_sgpr_dispatch_id 0
		.amdhsa_user_sgpr_flat_scratch_init 0
		.amdhsa_user_sgpr_private_segment_size 0
		.amdhsa_wavefront_size32 1
		.amdhsa_uses_dynamic_stack 0
		.amdhsa_system_sgpr_private_segment_wavefront_offset 0
		.amdhsa_system_sgpr_workgroup_id_x 1
		.amdhsa_system_sgpr_workgroup_id_y 0
		.amdhsa_system_sgpr_workgroup_id_z 0
		.amdhsa_system_sgpr_workgroup_info 0
		.amdhsa_system_vgpr_workitem_id 0
		.amdhsa_next_free_vgpr 29
		.amdhsa_next_free_sgpr 24
		.amdhsa_reserve_vcc 1
		.amdhsa_reserve_flat_scratch 0
		.amdhsa_float_round_mode_32 0
		.amdhsa_float_round_mode_16_64 0
		.amdhsa_float_denorm_mode_32 3
		.amdhsa_float_denorm_mode_16_64 3
		.amdhsa_dx10_clamp 1
		.amdhsa_ieee_mode 1
		.amdhsa_fp16_overflow 0
		.amdhsa_workgroup_processor_mode 1
		.amdhsa_memory_ordered 1
		.amdhsa_forward_progress 1
		.amdhsa_shared_vgpr_count 0
		.amdhsa_exception_fp_ieee_invalid_op 0
		.amdhsa_exception_fp_denorm_src 0
		.amdhsa_exception_fp_ieee_div_zero 0
		.amdhsa_exception_fp_ieee_overflow 0
		.amdhsa_exception_fp_ieee_underflow 0
		.amdhsa_exception_fp_ieee_inexact 0
		.amdhsa_exception_int_div_zero 0
	.end_amdhsa_kernel
	.section	.text._ZN2at6native12_GLOBAL__N_125multi_tensor_apply_kernelINS1_28TensorListScalarListMetadataIfLi2EEENS1_25BinaryOpScalarListFunctorIfLi2ELi1ELi1EEEJSt4plusIfEEEEvT_T0_DpT1_,"axG",@progbits,_ZN2at6native12_GLOBAL__N_125multi_tensor_apply_kernelINS1_28TensorListScalarListMetadataIfLi2EEENS1_25BinaryOpScalarListFunctorIfLi2ELi1ELi1EEEJSt4plusIfEEEEvT_T0_DpT1_,comdat
.Lfunc_end18:
	.size	_ZN2at6native12_GLOBAL__N_125multi_tensor_apply_kernelINS1_28TensorListScalarListMetadataIfLi2EEENS1_25BinaryOpScalarListFunctorIfLi2ELi1ELi1EEEJSt4plusIfEEEEvT_T0_DpT1_, .Lfunc_end18-_ZN2at6native12_GLOBAL__N_125multi_tensor_apply_kernelINS1_28TensorListScalarListMetadataIfLi2EEENS1_25BinaryOpScalarListFunctorIfLi2ELi1ELi1EEEJSt4plusIfEEEEvT_T0_DpT1_
                                        ; -- End function
	.set _ZN2at6native12_GLOBAL__N_125multi_tensor_apply_kernelINS1_28TensorListScalarListMetadataIfLi2EEENS1_25BinaryOpScalarListFunctorIfLi2ELi1ELi1EEEJSt4plusIfEEEEvT_T0_DpT1_.num_vgpr, 29
	.set _ZN2at6native12_GLOBAL__N_125multi_tensor_apply_kernelINS1_28TensorListScalarListMetadataIfLi2EEENS1_25BinaryOpScalarListFunctorIfLi2ELi1ELi1EEEJSt4plusIfEEEEvT_T0_DpT1_.num_agpr, 0
	.set _ZN2at6native12_GLOBAL__N_125multi_tensor_apply_kernelINS1_28TensorListScalarListMetadataIfLi2EEENS1_25BinaryOpScalarListFunctorIfLi2ELi1ELi1EEEJSt4plusIfEEEEvT_T0_DpT1_.numbered_sgpr, 24
	.set _ZN2at6native12_GLOBAL__N_125multi_tensor_apply_kernelINS1_28TensorListScalarListMetadataIfLi2EEENS1_25BinaryOpScalarListFunctorIfLi2ELi1ELi1EEEJSt4plusIfEEEEvT_T0_DpT1_.num_named_barrier, 0
	.set _ZN2at6native12_GLOBAL__N_125multi_tensor_apply_kernelINS1_28TensorListScalarListMetadataIfLi2EEENS1_25BinaryOpScalarListFunctorIfLi2ELi1ELi1EEEJSt4plusIfEEEEvT_T0_DpT1_.private_seg_size, 0
	.set _ZN2at6native12_GLOBAL__N_125multi_tensor_apply_kernelINS1_28TensorListScalarListMetadataIfLi2EEENS1_25BinaryOpScalarListFunctorIfLi2ELi1ELi1EEEJSt4plusIfEEEEvT_T0_DpT1_.uses_vcc, 1
	.set _ZN2at6native12_GLOBAL__N_125multi_tensor_apply_kernelINS1_28TensorListScalarListMetadataIfLi2EEENS1_25BinaryOpScalarListFunctorIfLi2ELi1ELi1EEEJSt4plusIfEEEEvT_T0_DpT1_.uses_flat_scratch, 0
	.set _ZN2at6native12_GLOBAL__N_125multi_tensor_apply_kernelINS1_28TensorListScalarListMetadataIfLi2EEENS1_25BinaryOpScalarListFunctorIfLi2ELi1ELi1EEEJSt4plusIfEEEEvT_T0_DpT1_.has_dyn_sized_stack, 0
	.set _ZN2at6native12_GLOBAL__N_125multi_tensor_apply_kernelINS1_28TensorListScalarListMetadataIfLi2EEENS1_25BinaryOpScalarListFunctorIfLi2ELi1ELi1EEEJSt4plusIfEEEEvT_T0_DpT1_.has_recursion, 0
	.set _ZN2at6native12_GLOBAL__N_125multi_tensor_apply_kernelINS1_28TensorListScalarListMetadataIfLi2EEENS1_25BinaryOpScalarListFunctorIfLi2ELi1ELi1EEEJSt4plusIfEEEEvT_T0_DpT1_.has_indirect_call, 0
	.section	.AMDGPU.csdata,"",@progbits
; Kernel info:
; codeLenInByte = 1476
; TotalNumSgprs: 26
; NumVgprs: 29
; ScratchSize: 0
; MemoryBound: 0
; FloatMode: 240
; IeeeMode: 1
; LDSByteSize: 0 bytes/workgroup (compile time only)
; SGPRBlocks: 0
; VGPRBlocks: 3
; NumSGPRsForWavesPerEU: 26
; NumVGPRsForWavesPerEU: 29
; Occupancy: 16
; WaveLimiterHint : 0
; COMPUTE_PGM_RSRC2:SCRATCH_EN: 0
; COMPUTE_PGM_RSRC2:USER_SGPR: 6
; COMPUTE_PGM_RSRC2:TRAP_HANDLER: 0
; COMPUTE_PGM_RSRC2:TGID_X_EN: 1
; COMPUTE_PGM_RSRC2:TGID_Y_EN: 0
; COMPUTE_PGM_RSRC2:TGID_Z_EN: 0
; COMPUTE_PGM_RSRC2:TIDIG_COMP_CNT: 0
	.section	.text._ZN2at6native12_GLOBAL__N_125multi_tensor_apply_kernelINS1_28TensorListScalarListMetadataIN3c107complexIdEELi2EEENS1_25BinaryOpScalarListFunctorIS6_Li2ELi1ELi1EEEJSt4plusIS6_EEEEvT_T0_DpT1_,"axG",@progbits,_ZN2at6native12_GLOBAL__N_125multi_tensor_apply_kernelINS1_28TensorListScalarListMetadataIN3c107complexIdEELi2EEENS1_25BinaryOpScalarListFunctorIS6_Li2ELi1ELi1EEEJSt4plusIS6_EEEEvT_T0_DpT1_,comdat
	.globl	_ZN2at6native12_GLOBAL__N_125multi_tensor_apply_kernelINS1_28TensorListScalarListMetadataIN3c107complexIdEELi2EEENS1_25BinaryOpScalarListFunctorIS6_Li2ELi1ELi1EEEJSt4plusIS6_EEEEvT_T0_DpT1_ ; -- Begin function _ZN2at6native12_GLOBAL__N_125multi_tensor_apply_kernelINS1_28TensorListScalarListMetadataIN3c107complexIdEELi2EEENS1_25BinaryOpScalarListFunctorIS6_Li2ELi1ELi1EEEJSt4plusIS6_EEEEvT_T0_DpT1_
	.p2align	8
	.type	_ZN2at6native12_GLOBAL__N_125multi_tensor_apply_kernelINS1_28TensorListScalarListMetadataIN3c107complexIdEELi2EEENS1_25BinaryOpScalarListFunctorIS6_Li2ELi1ELi1EEEJSt4plusIS6_EEEEvT_T0_DpT1_,@function
_ZN2at6native12_GLOBAL__N_125multi_tensor_apply_kernelINS1_28TensorListScalarListMetadataIN3c107complexIdEELi2EEENS1_25BinaryOpScalarListFunctorIS6_Li2ELi1ELi1EEEJSt4plusIS6_EEEEvT_T0_DpT1_: ; @_ZN2at6native12_GLOBAL__N_125multi_tensor_apply_kernelINS1_28TensorListScalarListMetadataIN3c107complexIdEELi2EEENS1_25BinaryOpScalarListFunctorIS6_Li2ELi1ELi1EEEJSt4plusIS6_EEEEvT_T0_DpT1_
; %bb.0:
	v_mov_b32_e32 v1, 0x800
	s_add_u32 s0, s4, s6
	s_addc_u32 s1, s5, 0
	s_mov_b32 s7, 0
	s_mov_b32 s17, s7
	global_load_ubyte v1, v1, s[0:1] offset:352
	s_lshl_b64 s[0:1], s[6:7], 2
	s_add_u32 s0, s4, s0
	s_addc_u32 s1, s5, s1
	s_load_dword s0, s[0:1], 0xaa0
	s_waitcnt lgkmcnt(0)
	s_ashr_i32 s1, s0, 31
	s_waitcnt vmcnt(0)
	v_readfirstlane_b32 s2, v1
	s_lshl_b32 s6, s2, 3
	s_clause 0x2
	s_load_dwordx2 s[2:3], s[4:5], s6 offset:0x0
	s_load_dwordx2 s[12:13], s[4:5], s6 offset:0x1e0
	;; [unrolled: 1-line block ×3, first 2 shown]
	s_add_u32 s8, s4, s6
	s_addc_u32 s9, s5, 0
	s_lshl_b64 s[20:21], s[0:1], 20
	s_load_dwordx4 s[8:11], s[8:9], s6 offset:0x5a0
	s_waitcnt lgkmcnt(0)
	s_add_u32 s18, s2, s20
	s_addc_u32 s19, s3, s21
	s_and_b32 s6, s18, 63
	s_add_u32 s20, s12, s20
	s_addc_u32 s21, s13, s21
	s_lshl_b64 s[0:1], s[0:1], 16
	s_and_b32 s16, s20, 63
	s_sub_u32 s12, s14, s0
	s_subb_u32 s13, s15, s1
	s_and_b32 s0, s14, 3
	s_mov_b32 s1, s7
	s_or_b64 s[0:1], s[16:17], s[0:1]
	s_or_b64 s[0:1], s[0:1], s[6:7]
	s_cmp_eq_u64 s[0:1], 0
	s_mov_b32 s0, -1
	s_cbranch_scc1 .LBB19_21
; %bb.1:
	v_cmp_lt_i64_e64 s0, s[12:13], 1
	s_and_b32 vcc_lo, exec_lo, s0
	s_cbranch_vccnz .LBB19_20
; %bb.2:
	s_load_dword s0, s[4:5], 0xfb4
	v_cmp_gt_i64_e64 s1, 0x10000, s[12:13]
	v_cmp_gt_u64_e64 s2, 0x10000, s[12:13]
	s_mov_b64 s[16:17], 0
	s_and_b32 s1, s1, exec_lo
	s_cselect_b32 s7, s13, 0
	s_cselect_b32 s6, s12, 0x10000
	s_waitcnt lgkmcnt(0)
	s_and_b32 s22, s0, 0xffff
	s_and_b32 s0, s2, exec_lo
	s_cselect_b32 s15, s13, 0
	s_cselect_b32 s14, s12, 0x10000
	s_lshl_b32 s23, s22, 1
	s_mul_i32 s24, s22, 3
	s_lshl_b32 s25, s22, 2
	s_branch .LBB19_4
.LBB19_3:                               ;   in Loop: Header=BB19_4 Depth=1
	s_or_b32 exec_lo, exec_lo, s0
	s_add_u32 s16, s16, s25
	s_addc_u32 s17, s17, 0
	v_cmp_lt_i64_e64 s0, s[16:17], s[6:7]
	s_and_b32 vcc_lo, exec_lo, s0
	s_cbranch_vccz .LBB19_20
.LBB19_4:                               ; =>This Inner Loop Header: Depth=1
	v_add_co_u32 v17, s0, s16, v0
	v_add_co_ci_u32_e64 v18, null, s17, 0, s0
	s_waitcnt vmcnt(0)
	v_mov_b32_e32 v3, 0
	v_mov_b32_e32 v7, 0
	;; [unrolled: 1-line block ×3, first 2 shown]
	v_cmp_gt_u64_e32 vcc_lo, s[14:15], v[17:18]
	v_mov_b32_e32 v4, 0
	v_mov_b32_e32 v8, 0
	;; [unrolled: 1-line block ×3, first 2 shown]
	s_and_saveexec_b32 s1, vcc_lo
	s_cbranch_execz .LBB19_6
; %bb.5:                                ;   in Loop: Header=BB19_4 Depth=1
	v_lshlrev_b64 v[1:2], 4, v[17:18]
	v_add_co_u32 v1, s0, s18, v1
	v_add_co_ci_u32_e64 v2, null, s19, v2, s0
	global_load_dwordx4 v[5:8], v[1:2], off
.LBB19_6:                               ;   in Loop: Header=BB19_4 Depth=1
	s_or_b32 exec_lo, exec_lo, s1
	v_add_co_u32 v19, s0, v17, s22
	v_add_co_ci_u32_e64 v20, null, 0, v18, s0
	v_mov_b32_e32 v1, 0
	v_mov_b32_e32 v2, 0
	v_cmp_gt_u64_e64 s0, s[14:15], v[19:20]
	s_and_saveexec_b32 s2, s0
	s_cbranch_execz .LBB19_8
; %bb.7:                                ;   in Loop: Header=BB19_4 Depth=1
	v_lshlrev_b64 v[1:2], 4, v[19:20]
	v_add_co_u32 v1, s1, s18, v1
	v_add_co_ci_u32_e64 v2, null, s19, v2, s1
	global_load_dwordx4 v[1:4], v[1:2], off
.LBB19_8:                               ;   in Loop: Header=BB19_4 Depth=1
	s_or_b32 exec_lo, exec_lo, s2
	v_add_co_u32 v21, s1, v17, s23
	v_add_co_ci_u32_e64 v22, null, 0, v18, s1
	v_mov_b32_e32 v11, 0
	v_mov_b32_e32 v15, 0
	;; [unrolled: 1-line block ×3, first 2 shown]
	v_cmp_gt_u64_e64 s1, s[14:15], v[21:22]
	v_mov_b32_e32 v12, 0
	v_mov_b32_e32 v16, 0
	;; [unrolled: 1-line block ×3, first 2 shown]
	s_and_saveexec_b32 s3, s1
	s_cbranch_execz .LBB19_10
; %bb.9:                                ;   in Loop: Header=BB19_4 Depth=1
	v_lshlrev_b64 v[9:10], 4, v[21:22]
	v_add_co_u32 v9, s2, s18, v9
	v_add_co_ci_u32_e64 v10, null, s19, v10, s2
	global_load_dwordx4 v[13:16], v[9:10], off
.LBB19_10:                              ;   in Loop: Header=BB19_4 Depth=1
	s_or_b32 exec_lo, exec_lo, s3
	v_add_co_u32 v23, s2, v17, s24
	v_add_co_ci_u32_e64 v24, null, 0, v18, s2
	v_mov_b32_e32 v9, 0
	v_mov_b32_e32 v10, 0
	v_cmp_gt_u64_e64 s2, s[14:15], v[23:24]
	s_and_saveexec_b32 s26, s2
	s_cbranch_execnz .LBB19_15
; %bb.11:                               ;   in Loop: Header=BB19_4 Depth=1
	s_or_b32 exec_lo, exec_lo, s26
	s_and_saveexec_b32 s3, vcc_lo
	s_cbranch_execnz .LBB19_16
.LBB19_12:                              ;   in Loop: Header=BB19_4 Depth=1
	s_or_b32 exec_lo, exec_lo, s3
	s_and_saveexec_b32 s3, s0
	s_cbranch_execnz .LBB19_17
.LBB19_13:                              ;   in Loop: Header=BB19_4 Depth=1
	s_or_b32 exec_lo, exec_lo, s3
	s_and_saveexec_b32 s0, s1
	s_cbranch_execnz .LBB19_18
.LBB19_14:                              ;   in Loop: Header=BB19_4 Depth=1
	s_or_b32 exec_lo, exec_lo, s0
	s_and_saveexec_b32 s0, s2
	s_cbranch_execz .LBB19_3
	s_branch .LBB19_19
.LBB19_15:                              ;   in Loop: Header=BB19_4 Depth=1
	v_lshlrev_b64 v[9:10], 4, v[23:24]
	v_add_co_u32 v9, s3, s18, v9
	v_add_co_ci_u32_e64 v10, null, s19, v10, s3
	global_load_dwordx4 v[9:12], v[9:10], off
	s_or_b32 exec_lo, exec_lo, s26
	s_and_saveexec_b32 s3, vcc_lo
	s_cbranch_execz .LBB19_12
.LBB19_16:                              ;   in Loop: Header=BB19_4 Depth=1
	s_waitcnt vmcnt(0)
	v_add_f64 v[7:8], s[10:11], v[7:8]
	v_add_f64 v[5:6], s[8:9], v[5:6]
	v_lshlrev_b64 v[17:18], 4, v[17:18]
	v_add_co_u32 v17, vcc_lo, s20, v17
	v_add_co_ci_u32_e64 v18, null, s21, v18, vcc_lo
	global_store_dwordx4 v[17:18], v[5:8], off
	s_or_b32 exec_lo, exec_lo, s3
	s_and_saveexec_b32 s3, s0
	s_cbranch_execz .LBB19_13
.LBB19_17:                              ;   in Loop: Header=BB19_4 Depth=1
	s_waitcnt vmcnt(0)
	v_add_f64 v[1:2], s[8:9], v[1:2]
	v_add_f64 v[3:4], s[10:11], v[3:4]
	v_lshlrev_b64 v[5:6], 4, v[19:20]
	v_add_co_u32 v5, vcc_lo, s20, v5
	v_add_co_ci_u32_e64 v6, null, s21, v6, vcc_lo
	global_store_dwordx4 v[5:6], v[1:4], off
	s_or_b32 exec_lo, exec_lo, s3
	s_and_saveexec_b32 s0, s1
	s_cbranch_execz .LBB19_14
.LBB19_18:                              ;   in Loop: Header=BB19_4 Depth=1
	s_waitcnt vmcnt(0)
	v_add_f64 v[1:2], s[8:9], v[13:14]
	v_add_f64 v[3:4], s[10:11], v[15:16]
	v_lshlrev_b64 v[5:6], 4, v[21:22]
	v_add_co_u32 v5, vcc_lo, s20, v5
	v_add_co_ci_u32_e64 v6, null, s21, v6, vcc_lo
	global_store_dwordx4 v[5:6], v[1:4], off
	s_or_b32 exec_lo, exec_lo, s0
	s_and_saveexec_b32 s0, s2
	s_cbranch_execz .LBB19_3
.LBB19_19:                              ;   in Loop: Header=BB19_4 Depth=1
	s_waitcnt vmcnt(0)
	v_add_f64 v[1:2], s[8:9], v[9:10]
	v_add_f64 v[3:4], s[10:11], v[11:12]
	v_lshlrev_b64 v[5:6], 4, v[23:24]
	v_add_co_u32 v5, vcc_lo, s20, v5
	v_add_co_ci_u32_e64 v6, null, s21, v6, vcc_lo
	global_store_dwordx4 v[5:6], v[1:4], off
	s_branch .LBB19_3
.LBB19_20:
	s_mov_b32 s0, 0
.LBB19_21:
	s_andn2_b32 vcc_lo, exec_lo, s0
	s_cbranch_vccnz .LBB19_25
; %bb.22:
	v_cmp_gt_i64_e64 s0, 0x10000, s[12:13]
	s_waitcnt vmcnt(0)
	v_mov_b32_e32 v2, 0
	v_lshlrev_b32_e32 v1, 2, v0
	s_mov_b32 s2, 0
	s_mov_b32 s3, exec_lo
	s_and_b32 s0, s0, exec_lo
	s_cselect_b32 s1, s13, 0
	s_cselect_b32 s0, s12, 0x10000
	v_cmpx_gt_i64_e64 s[0:1], v[1:2]
	s_cbranch_execz .LBB19_25
; %bb.23:
	s_load_dword s3, s[4:5], 0xfb4
	v_mov_b32_e32 v1, v2
	v_lshlrev_b32_e32 v2, 6, v0
	s_waitcnt lgkmcnt(0)
	s_and_b32 s3, s3, 0xffff
	s_lshl_b32 s4, s3, 6
.LBB19_24:                              ; =>This Inner Loop Header: Depth=1
	v_add_co_u32 v15, s5, s18, v2
	v_add_co_ci_u32_e64 v16, null, s19, 0, s5
	v_add_co_u32 v0, vcc_lo, v0, s3
	v_add_co_ci_u32_e64 v1, null, 0, v1, vcc_lo
	s_clause 0x3
	global_load_dwordx4 v[3:6], v[15:16], off
	global_load_dwordx4 v[7:10], v[15:16], off offset:16
	global_load_dwordx4 v[11:14], v[15:16], off offset:32
	;; [unrolled: 1-line block ×3, first 2 shown]
	v_add_co_u32 v19, s5, s20, v2
	v_lshlrev_b64 v[21:22], 2, v[0:1]
	s_add_u32 s20, s20, s4
	v_add_co_ci_u32_e64 v20, null, s21, 0, s5
	s_addc_u32 s21, s21, 0
	s_add_u32 s18, s18, s4
	v_cmp_le_i64_e32 vcc_lo, s[0:1], v[21:22]
	s_addc_u32 s19, s19, 0
	s_or_b32 s2, vcc_lo, s2
	s_waitcnt vmcnt(3)
	v_add_f64 v[3:4], s[8:9], v[3:4]
	v_add_f64 v[5:6], s[10:11], v[5:6]
	s_waitcnt vmcnt(2)
	v_add_f64 v[7:8], s[8:9], v[7:8]
	v_add_f64 v[9:10], s[10:11], v[9:10]
	;; [unrolled: 3-line block ×4, first 2 shown]
	global_store_dwordx4 v[19:20], v[3:6], off
	global_store_dwordx4 v[19:20], v[7:10], off offset:16
	global_store_dwordx4 v[19:20], v[11:14], off offset:32
	;; [unrolled: 1-line block ×3, first 2 shown]
	s_andn2_b32 exec_lo, exec_lo, s2
	s_cbranch_execnz .LBB19_24
.LBB19_25:
	s_endpgm
	.section	.rodata,"a",@progbits
	.p2align	6, 0x0
	.amdhsa_kernel _ZN2at6native12_GLOBAL__N_125multi_tensor_apply_kernelINS1_28TensorListScalarListMetadataIN3c107complexIdEELi2EEENS1_25BinaryOpScalarListFunctorIS6_Li2ELi1ELi1EEEJSt4plusIS6_EEEEvT_T0_DpT1_
		.amdhsa_group_segment_fixed_size 0
		.amdhsa_private_segment_fixed_size 0
		.amdhsa_kernarg_size 4264
		.amdhsa_user_sgpr_count 6
		.amdhsa_user_sgpr_private_segment_buffer 1
		.amdhsa_user_sgpr_dispatch_ptr 0
		.amdhsa_user_sgpr_queue_ptr 0
		.amdhsa_user_sgpr_kernarg_segment_ptr 1
		.amdhsa_user_sgpr_dispatch_id 0
		.amdhsa_user_sgpr_flat_scratch_init 0
		.amdhsa_user_sgpr_private_segment_size 0
		.amdhsa_wavefront_size32 1
		.amdhsa_uses_dynamic_stack 0
		.amdhsa_system_sgpr_private_segment_wavefront_offset 0
		.amdhsa_system_sgpr_workgroup_id_x 1
		.amdhsa_system_sgpr_workgroup_id_y 0
		.amdhsa_system_sgpr_workgroup_id_z 0
		.amdhsa_system_sgpr_workgroup_info 0
		.amdhsa_system_vgpr_workitem_id 0
		.amdhsa_next_free_vgpr 25
		.amdhsa_next_free_sgpr 27
		.amdhsa_reserve_vcc 1
		.amdhsa_reserve_flat_scratch 0
		.amdhsa_float_round_mode_32 0
		.amdhsa_float_round_mode_16_64 0
		.amdhsa_float_denorm_mode_32 3
		.amdhsa_float_denorm_mode_16_64 3
		.amdhsa_dx10_clamp 1
		.amdhsa_ieee_mode 1
		.amdhsa_fp16_overflow 0
		.amdhsa_workgroup_processor_mode 1
		.amdhsa_memory_ordered 1
		.amdhsa_forward_progress 1
		.amdhsa_shared_vgpr_count 0
		.amdhsa_exception_fp_ieee_invalid_op 0
		.amdhsa_exception_fp_denorm_src 0
		.amdhsa_exception_fp_ieee_div_zero 0
		.amdhsa_exception_fp_ieee_overflow 0
		.amdhsa_exception_fp_ieee_underflow 0
		.amdhsa_exception_fp_ieee_inexact 0
		.amdhsa_exception_int_div_zero 0
	.end_amdhsa_kernel
	.section	.text._ZN2at6native12_GLOBAL__N_125multi_tensor_apply_kernelINS1_28TensorListScalarListMetadataIN3c107complexIdEELi2EEENS1_25BinaryOpScalarListFunctorIS6_Li2ELi1ELi1EEEJSt4plusIS6_EEEEvT_T0_DpT1_,"axG",@progbits,_ZN2at6native12_GLOBAL__N_125multi_tensor_apply_kernelINS1_28TensorListScalarListMetadataIN3c107complexIdEELi2EEENS1_25BinaryOpScalarListFunctorIS6_Li2ELi1ELi1EEEJSt4plusIS6_EEEEvT_T0_DpT1_,comdat
.Lfunc_end19:
	.size	_ZN2at6native12_GLOBAL__N_125multi_tensor_apply_kernelINS1_28TensorListScalarListMetadataIN3c107complexIdEELi2EEENS1_25BinaryOpScalarListFunctorIS6_Li2ELi1ELi1EEEJSt4plusIS6_EEEEvT_T0_DpT1_, .Lfunc_end19-_ZN2at6native12_GLOBAL__N_125multi_tensor_apply_kernelINS1_28TensorListScalarListMetadataIN3c107complexIdEELi2EEENS1_25BinaryOpScalarListFunctorIS6_Li2ELi1ELi1EEEJSt4plusIS6_EEEEvT_T0_DpT1_
                                        ; -- End function
	.set _ZN2at6native12_GLOBAL__N_125multi_tensor_apply_kernelINS1_28TensorListScalarListMetadataIN3c107complexIdEELi2EEENS1_25BinaryOpScalarListFunctorIS6_Li2ELi1ELi1EEEJSt4plusIS6_EEEEvT_T0_DpT1_.num_vgpr, 25
	.set _ZN2at6native12_GLOBAL__N_125multi_tensor_apply_kernelINS1_28TensorListScalarListMetadataIN3c107complexIdEELi2EEENS1_25BinaryOpScalarListFunctorIS6_Li2ELi1ELi1EEEJSt4plusIS6_EEEEvT_T0_DpT1_.num_agpr, 0
	.set _ZN2at6native12_GLOBAL__N_125multi_tensor_apply_kernelINS1_28TensorListScalarListMetadataIN3c107complexIdEELi2EEENS1_25BinaryOpScalarListFunctorIS6_Li2ELi1ELi1EEEJSt4plusIS6_EEEEvT_T0_DpT1_.numbered_sgpr, 27
	.set _ZN2at6native12_GLOBAL__N_125multi_tensor_apply_kernelINS1_28TensorListScalarListMetadataIN3c107complexIdEELi2EEENS1_25BinaryOpScalarListFunctorIS6_Li2ELi1ELi1EEEJSt4plusIS6_EEEEvT_T0_DpT1_.num_named_barrier, 0
	.set _ZN2at6native12_GLOBAL__N_125multi_tensor_apply_kernelINS1_28TensorListScalarListMetadataIN3c107complexIdEELi2EEENS1_25BinaryOpScalarListFunctorIS6_Li2ELi1ELi1EEEJSt4plusIS6_EEEEvT_T0_DpT1_.private_seg_size, 0
	.set _ZN2at6native12_GLOBAL__N_125multi_tensor_apply_kernelINS1_28TensorListScalarListMetadataIN3c107complexIdEELi2EEENS1_25BinaryOpScalarListFunctorIS6_Li2ELi1ELi1EEEJSt4plusIS6_EEEEvT_T0_DpT1_.uses_vcc, 1
	.set _ZN2at6native12_GLOBAL__N_125multi_tensor_apply_kernelINS1_28TensorListScalarListMetadataIN3c107complexIdEELi2EEENS1_25BinaryOpScalarListFunctorIS6_Li2ELi1ELi1EEEJSt4plusIS6_EEEEvT_T0_DpT1_.uses_flat_scratch, 0
	.set _ZN2at6native12_GLOBAL__N_125multi_tensor_apply_kernelINS1_28TensorListScalarListMetadataIN3c107complexIdEELi2EEENS1_25BinaryOpScalarListFunctorIS6_Li2ELi1ELi1EEEJSt4plusIS6_EEEEvT_T0_DpT1_.has_dyn_sized_stack, 0
	.set _ZN2at6native12_GLOBAL__N_125multi_tensor_apply_kernelINS1_28TensorListScalarListMetadataIN3c107complexIdEELi2EEENS1_25BinaryOpScalarListFunctorIS6_Li2ELi1ELi1EEEJSt4plusIS6_EEEEvT_T0_DpT1_.has_recursion, 0
	.set _ZN2at6native12_GLOBAL__N_125multi_tensor_apply_kernelINS1_28TensorListScalarListMetadataIN3c107complexIdEELi2EEENS1_25BinaryOpScalarListFunctorIS6_Li2ELi1ELi1EEEJSt4plusIS6_EEEEvT_T0_DpT1_.has_indirect_call, 0
	.section	.AMDGPU.csdata,"",@progbits
; Kernel info:
; codeLenInByte = 1316
; TotalNumSgprs: 29
; NumVgprs: 25
; ScratchSize: 0
; MemoryBound: 1
; FloatMode: 240
; IeeeMode: 1
; LDSByteSize: 0 bytes/workgroup (compile time only)
; SGPRBlocks: 0
; VGPRBlocks: 3
; NumSGPRsForWavesPerEU: 29
; NumVGPRsForWavesPerEU: 25
; Occupancy: 16
; WaveLimiterHint : 0
; COMPUTE_PGM_RSRC2:SCRATCH_EN: 0
; COMPUTE_PGM_RSRC2:USER_SGPR: 6
; COMPUTE_PGM_RSRC2:TRAP_HANDLER: 0
; COMPUTE_PGM_RSRC2:TGID_X_EN: 1
; COMPUTE_PGM_RSRC2:TGID_Y_EN: 0
; COMPUTE_PGM_RSRC2:TGID_Z_EN: 0
; COMPUTE_PGM_RSRC2:TIDIG_COMP_CNT: 0
	.section	.text._ZN2at6native12_GLOBAL__N_125multi_tensor_apply_kernelINS1_28TensorListScalarListMetadataIN3c107complexIfEELi2EEENS1_25BinaryOpScalarListFunctorIS6_Li2ELi1ELi1EEEJSt4plusIS6_EEEEvT_T0_DpT1_,"axG",@progbits,_ZN2at6native12_GLOBAL__N_125multi_tensor_apply_kernelINS1_28TensorListScalarListMetadataIN3c107complexIfEELi2EEENS1_25BinaryOpScalarListFunctorIS6_Li2ELi1ELi1EEEJSt4plusIS6_EEEEvT_T0_DpT1_,comdat
	.globl	_ZN2at6native12_GLOBAL__N_125multi_tensor_apply_kernelINS1_28TensorListScalarListMetadataIN3c107complexIfEELi2EEENS1_25BinaryOpScalarListFunctorIS6_Li2ELi1ELi1EEEJSt4plusIS6_EEEEvT_T0_DpT1_ ; -- Begin function _ZN2at6native12_GLOBAL__N_125multi_tensor_apply_kernelINS1_28TensorListScalarListMetadataIN3c107complexIfEELi2EEENS1_25BinaryOpScalarListFunctorIS6_Li2ELi1ELi1EEEJSt4plusIS6_EEEEvT_T0_DpT1_
	.p2align	8
	.type	_ZN2at6native12_GLOBAL__N_125multi_tensor_apply_kernelINS1_28TensorListScalarListMetadataIN3c107complexIfEELi2EEENS1_25BinaryOpScalarListFunctorIS6_Li2ELi1ELi1EEEJSt4plusIS6_EEEEvT_T0_DpT1_,@function
_ZN2at6native12_GLOBAL__N_125multi_tensor_apply_kernelINS1_28TensorListScalarListMetadataIN3c107complexIfEELi2EEENS1_25BinaryOpScalarListFunctorIS6_Li2ELi1ELi1EEEJSt4plusIS6_EEEEvT_T0_DpT1_: ; @_ZN2at6native12_GLOBAL__N_125multi_tensor_apply_kernelINS1_28TensorListScalarListMetadataIN3c107complexIfEELi2EEENS1_25BinaryOpScalarListFunctorIS6_Li2ELi1ELi1EEEJSt4plusIS6_EEEEvT_T0_DpT1_
; %bb.0:
	s_add_u32 s6, s6, s9
	s_addc_u32 s7, s7, 0
	s_setreg_b32 hwreg(HW_REG_FLAT_SCR_LO), s6
	s_setreg_b32 hwreg(HW_REG_FLAT_SCR_HI), s7
	s_add_u32 s0, s0, s9
	v_mov_b32_e32 v1, 0x800
	s_addc_u32 s1, s1, 0
	s_add_u32 s6, s4, s8
	s_addc_u32 s7, s5, 0
	s_mov_b32 s9, 0
	global_load_ubyte v1, v1, s[6:7]
	s_lshl_b64 s[6:7], s[8:9], 2
	s_mov_b32 s25, s9
	s_add_u32 s6, s4, s6
	s_addc_u32 s7, s5, s7
	s_load_dword s6, s[6:7], 0x940
	s_waitcnt vmcnt(0)
	v_readfirstlane_b32 s7, v1
	s_lshl_b32 s7, s7, 3
	s_clause 0x3
	s_load_dwordx2 s[12:13], s[4:5], s7 offset:0x0
	s_load_dwordx2 s[10:11], s[4:5], s7 offset:0x600
	s_load_dwordx2 s[14:15], s[4:5], s7 offset:0x200
	s_load_dwordx2 s[16:17], s[4:5], s7 offset:0x400
	s_waitcnt lgkmcnt(0)
	s_ashr_i32 s7, s6, 31
	s_lshl_b64 s[18:19], s[6:7], 19
	s_add_u32 s20, s12, s18
	s_addc_u32 s21, s13, s19
	s_and_b32 s8, s20, 31
	s_add_u32 s22, s14, s18
	s_addc_u32 s23, s15, s19
	s_lshl_b64 s[6:7], s[6:7], 16
	s_and_b32 s24, s22, 31
	s_sub_u32 s12, s16, s6
	s_subb_u32 s13, s17, s7
	s_and_b32 s6, s16, 3
	s_mov_b32 s7, s9
	s_or_b64 s[6:7], s[24:25], s[6:7]
	s_or_b64 s[6:7], s[6:7], s[8:9]
	s_cmp_eq_u64 s[6:7], 0
	s_mov_b32 s6, -1
	s_cbranch_scc1 .LBB20_19
; %bb.1:
	v_cmp_lt_i64_e64 s6, s[12:13], 1
	s_and_b32 vcc_lo, exec_lo, s6
	s_cbranch_vccnz .LBB20_18
; %bb.2:
	s_load_dword s6, s[4:5], 0xe54
	v_cmp_gt_i64_e64 s7, 0x10000, s[12:13]
	s_mov_b64 s[8:9], src_private_base
	v_cmp_gt_u64_e64 s8, 0x10000, s[12:13]
	v_mov_b32_e32 v15, 0
	s_mov_b64 s[18:19], 0
	s_and_b32 s7, s7, exec_lo
	s_cselect_b32 s15, s13, 0
	s_cselect_b32 s14, s12, 0x10000
	s_waitcnt lgkmcnt(0)
	s_and_b32 s24, s6, 0xffff
	s_and_b32 s6, s8, exec_lo
	s_cselect_b32 s17, s13, 0
	s_cselect_b32 s16, s12, 0x10000
	s_lshl_b32 s25, s24, 1
	s_mul_i32 s26, s24, 3
	s_lshl_b32 s27, s24, 2
	s_branch .LBB20_4
.LBB20_3:                               ;   in Loop: Header=BB20_4 Depth=1
	s_or_b32 exec_lo, exec_lo, s6
	s_add_u32 s18, s18, s27
	s_addc_u32 s19, s19, 0
	v_cmp_lt_i64_e64 s6, s[18:19], s[14:15]
	s_and_b32 vcc_lo, exec_lo, s6
	s_cbranch_vccz .LBB20_18
.LBB20_4:                               ; =>This Inner Loop Header: Depth=1
	v_add_co_u32 v1, s6, s18, v0
	v_add_co_ci_u32_e64 v2, null, s19, 0, s6
	v_mov_b32_e32 v4, 0
	v_mov_b32_e32 v3, 0
	v_cmp_gt_u64_e32 vcc_lo, s[16:17], v[1:2]
	s_and_saveexec_b32 s7, vcc_lo
	s_cbranch_execz .LBB20_6
; %bb.5:                                ;   in Loop: Header=BB20_4 Depth=1
	v_lshlrev_b64 v[3:4], 3, v[1:2]
	v_add_co_u32 v3, s6, s20, v3
	v_add_co_ci_u32_e64 v4, null, s21, v4, s6
	global_load_dwordx2 v[3:4], v[3:4], off
.LBB20_6:                               ;   in Loop: Header=BB20_4 Depth=1
	s_or_b32 exec_lo, exec_lo, s7
	v_add_co_u32 v5, s6, v1, s24
	v_add_co_ci_u32_e64 v6, null, 0, v2, s6
	v_mov_b32_e32 v10, 0
	v_mov_b32_e32 v9, 0
	v_cmp_gt_u64_e64 s6, s[16:17], v[5:6]
	s_and_saveexec_b32 s8, s6
	s_cbranch_execz .LBB20_8
; %bb.7:                                ;   in Loop: Header=BB20_4 Depth=1
	v_lshlrev_b64 v[7:8], 3, v[5:6]
	v_add_co_u32 v7, s7, s20, v7
	v_add_co_ci_u32_e64 v8, null, s21, v8, s7
	global_load_dwordx2 v[9:10], v[7:8], off
.LBB20_8:                               ;   in Loop: Header=BB20_4 Depth=1
	s_or_b32 exec_lo, exec_lo, s8
	v_add_co_u32 v7, s7, v1, s25
	v_add_co_ci_u32_e64 v8, null, 0, v2, s7
	v_mov_b32_e32 v13, 0
	v_mov_b32_e32 v14, 0
	v_cmp_gt_u64_e64 s7, s[16:17], v[7:8]
	s_and_saveexec_b32 s28, s7
	s_cbranch_execz .LBB20_10
; %bb.9:                                ;   in Loop: Header=BB20_4 Depth=1
	v_lshlrev_b64 v[11:12], 3, v[7:8]
	v_add_co_u32 v11, s8, s20, v11
	v_add_co_ci_u32_e64 v12, null, s21, v12, s8
	global_load_dwordx2 v[13:14], v[11:12], off
.LBB20_10:                              ;   in Loop: Header=BB20_4 Depth=1
	s_or_b32 exec_lo, exec_lo, s28
	v_add_co_u32 v16, s8, v1, s26
	v_add_co_ci_u32_e64 v17, null, 0, v2, s8
	buffer_store_dword v15, off, s[0:3], 0
	buffer_store_dword v15, off, s[0:3], 0 offset:4
	v_lshlrev_b64 v[11:12], 3, v[16:17]
	v_add_co_u32 v18, s8, s20, v11
	v_add_co_ci_u32_e64 v19, null, s21, v12, s8
	v_cmp_gt_u64_e64 s8, s[16:17], v[16:17]
	v_cndmask_b32_e64 v17, s9, v19, s8
	v_cndmask_b32_e64 v16, 0, v18, s8
	flat_load_dwordx2 v[16:17], v[16:17]
	s_waitcnt vmcnt(0) lgkmcnt(0)
	v_add_f32_e32 v16, s10, v16
	v_add_f32_e32 v17, s11, v17
	buffer_store_dword v16, off, s[0:3], 0
	buffer_store_dword v17, off, s[0:3], 0 offset:4
	s_and_saveexec_b32 s28, vcc_lo
	s_cbranch_execnz .LBB20_14
; %bb.11:                               ;   in Loop: Header=BB20_4 Depth=1
	s_or_b32 exec_lo, exec_lo, s28
	s_and_saveexec_b32 s28, s6
	s_cbranch_execnz .LBB20_15
.LBB20_12:                              ;   in Loop: Header=BB20_4 Depth=1
	s_or_b32 exec_lo, exec_lo, s28
	s_and_saveexec_b32 s6, s7
	s_cbranch_execnz .LBB20_16
.LBB20_13:                              ;   in Loop: Header=BB20_4 Depth=1
	s_or_b32 exec_lo, exec_lo, s6
	s_and_saveexec_b32 s6, s8
	s_cbranch_execz .LBB20_3
	s_branch .LBB20_17
.LBB20_14:                              ;   in Loop: Header=BB20_4 Depth=1
	v_lshlrev_b64 v[1:2], 3, v[1:2]
	v_add_f32_e32 v3, s10, v3
	v_add_f32_e32 v4, s11, v4
	v_add_co_u32 v1, vcc_lo, s22, v1
	v_add_co_ci_u32_e64 v2, null, s23, v2, vcc_lo
	global_store_dwordx2 v[1:2], v[3:4], off
	s_or_b32 exec_lo, exec_lo, s28
	s_and_saveexec_b32 s28, s6
	s_cbranch_execz .LBB20_12
.LBB20_15:                              ;   in Loop: Header=BB20_4 Depth=1
	v_lshlrev_b64 v[1:2], 3, v[5:6]
	v_add_f32_e32 v3, s10, v9
	v_add_f32_e32 v4, s11, v10
	v_add_co_u32 v1, vcc_lo, s22, v1
	v_add_co_ci_u32_e64 v2, null, s23, v2, vcc_lo
	global_store_dwordx2 v[1:2], v[3:4], off
	s_or_b32 exec_lo, exec_lo, s28
	s_and_saveexec_b32 s6, s7
	s_cbranch_execz .LBB20_13
.LBB20_16:                              ;   in Loop: Header=BB20_4 Depth=1
	v_lshlrev_b64 v[1:2], 3, v[7:8]
	v_add_f32_e32 v3, s10, v13
	v_add_f32_e32 v4, s11, v14
	v_add_co_u32 v1, vcc_lo, s22, v1
	v_add_co_ci_u32_e64 v2, null, s23, v2, vcc_lo
	global_store_dwordx2 v[1:2], v[3:4], off
	s_or_b32 exec_lo, exec_lo, s6
	s_and_saveexec_b32 s6, s8
	s_cbranch_execz .LBB20_3
.LBB20_17:                              ;   in Loop: Header=BB20_4 Depth=1
	s_clause 0x1
	buffer_load_dword v1, off, s[0:3], 0
	buffer_load_dword v2, off, s[0:3], 0 offset:4
	v_add_co_u32 v3, vcc_lo, s22, v11
	v_add_co_ci_u32_e64 v4, null, s23, v12, vcc_lo
	s_waitcnt vmcnt(0)
	global_store_dwordx2 v[3:4], v[1:2], off
	s_branch .LBB20_3
.LBB20_18:
	s_mov_b32 s6, 0
.LBB20_19:
	s_andn2_b32 vcc_lo, exec_lo, s6
	s_cbranch_vccnz .LBB20_23
; %bb.20:
	v_cmp_gt_i64_e64 s6, 0x10000, s[12:13]
	v_mov_b32_e32 v2, 0
	v_lshlrev_b32_e32 v1, 2, v0
	s_mov_b32 s8, 0
	s_mov_b32 s9, exec_lo
	s_and_b32 s6, s6, exec_lo
	s_cselect_b32 s7, s13, 0
	s_cselect_b32 s6, s12, 0x10000
	v_cmpx_gt_i64_e64 s[6:7], v[1:2]
	s_cbranch_execz .LBB20_23
; %bb.21:
	s_load_dword s4, s[4:5], 0xe54
	v_mov_b32_e32 v1, v2
	v_lshlrev_b32_e32 v2, 5, v0
	s_waitcnt lgkmcnt(0)
	s_and_b32 s4, s4, 0xffff
	s_lshl_b32 s5, s4, 5
	s_inst_prefetch 0x1
	.p2align	6
.LBB20_22:                              ; =>This Inner Loop Header: Depth=1
	v_add_co_u32 v7, s9, s20, v2
	v_add_co_ci_u32_e64 v8, null, s21, 0, s9
	v_add_co_u32 v0, vcc_lo, v0, s4
	v_add_co_ci_u32_e64 v1, null, 0, v1, vcc_lo
	s_clause 0x1
	global_load_dwordx4 v[3:6], v[7:8], off
	global_load_dwordx4 v[7:10], v[7:8], off offset:16
	v_add_co_u32 v11, s9, s22, v2
	v_lshlrev_b64 v[13:14], 2, v[0:1]
	s_add_u32 s22, s22, s5
	v_add_co_ci_u32_e64 v12, null, s23, 0, s9
	s_addc_u32 s23, s23, 0
	s_add_u32 s20, s20, s5
	v_cmp_le_i64_e32 vcc_lo, s[6:7], v[13:14]
	s_addc_u32 s21, s21, 0
	s_or_b32 s8, vcc_lo, s8
	s_waitcnt vmcnt(1)
	v_add_f32_e32 v3, s10, v3
	v_add_f32_e32 v4, s11, v4
	;; [unrolled: 1-line block ×4, first 2 shown]
	s_waitcnt vmcnt(0)
	v_add_f32_e32 v9, s10, v9
	v_add_f32_e32 v10, s11, v10
	;; [unrolled: 1-line block ×4, first 2 shown]
	buffer_store_dword v9, off, s[0:3], 0
	buffer_store_dword v10, off, s[0:3], 0 offset:4
	global_store_dwordx4 v[11:12], v[3:6], off
	global_store_dwordx4 v[11:12], v[7:10], off offset:16
	s_andn2_b32 exec_lo, exec_lo, s8
	s_cbranch_execnz .LBB20_22
.LBB20_23:
	s_inst_prefetch 0x2
	s_endpgm
	.section	.rodata,"a",@progbits
	.p2align	6, 0x0
	.amdhsa_kernel _ZN2at6native12_GLOBAL__N_125multi_tensor_apply_kernelINS1_28TensorListScalarListMetadataIN3c107complexIfEELi2EEENS1_25BinaryOpScalarListFunctorIS6_Li2ELi1ELi1EEEJSt4plusIS6_EEEEvT_T0_DpT1_
		.amdhsa_group_segment_fixed_size 0
		.amdhsa_private_segment_fixed_size 16
		.amdhsa_kernarg_size 3912
		.amdhsa_user_sgpr_count 8
		.amdhsa_user_sgpr_private_segment_buffer 1
		.amdhsa_user_sgpr_dispatch_ptr 0
		.amdhsa_user_sgpr_queue_ptr 0
		.amdhsa_user_sgpr_kernarg_segment_ptr 1
		.amdhsa_user_sgpr_dispatch_id 0
		.amdhsa_user_sgpr_flat_scratch_init 1
		.amdhsa_user_sgpr_private_segment_size 0
		.amdhsa_wavefront_size32 1
		.amdhsa_uses_dynamic_stack 0
		.amdhsa_system_sgpr_private_segment_wavefront_offset 1
		.amdhsa_system_sgpr_workgroup_id_x 1
		.amdhsa_system_sgpr_workgroup_id_y 0
		.amdhsa_system_sgpr_workgroup_id_z 0
		.amdhsa_system_sgpr_workgroup_info 0
		.amdhsa_system_vgpr_workitem_id 0
		.amdhsa_next_free_vgpr 20
		.amdhsa_next_free_sgpr 29
		.amdhsa_reserve_vcc 1
		.amdhsa_reserve_flat_scratch 1
		.amdhsa_float_round_mode_32 0
		.amdhsa_float_round_mode_16_64 0
		.amdhsa_float_denorm_mode_32 3
		.amdhsa_float_denorm_mode_16_64 3
		.amdhsa_dx10_clamp 1
		.amdhsa_ieee_mode 1
		.amdhsa_fp16_overflow 0
		.amdhsa_workgroup_processor_mode 1
		.amdhsa_memory_ordered 1
		.amdhsa_forward_progress 1
		.amdhsa_shared_vgpr_count 0
		.amdhsa_exception_fp_ieee_invalid_op 0
		.amdhsa_exception_fp_denorm_src 0
		.amdhsa_exception_fp_ieee_div_zero 0
		.amdhsa_exception_fp_ieee_overflow 0
		.amdhsa_exception_fp_ieee_underflow 0
		.amdhsa_exception_fp_ieee_inexact 0
		.amdhsa_exception_int_div_zero 0
	.end_amdhsa_kernel
	.section	.text._ZN2at6native12_GLOBAL__N_125multi_tensor_apply_kernelINS1_28TensorListScalarListMetadataIN3c107complexIfEELi2EEENS1_25BinaryOpScalarListFunctorIS6_Li2ELi1ELi1EEEJSt4plusIS6_EEEEvT_T0_DpT1_,"axG",@progbits,_ZN2at6native12_GLOBAL__N_125multi_tensor_apply_kernelINS1_28TensorListScalarListMetadataIN3c107complexIfEELi2EEENS1_25BinaryOpScalarListFunctorIS6_Li2ELi1ELi1EEEJSt4plusIS6_EEEEvT_T0_DpT1_,comdat
.Lfunc_end20:
	.size	_ZN2at6native12_GLOBAL__N_125multi_tensor_apply_kernelINS1_28TensorListScalarListMetadataIN3c107complexIfEELi2EEENS1_25BinaryOpScalarListFunctorIS6_Li2ELi1ELi1EEEJSt4plusIS6_EEEEvT_T0_DpT1_, .Lfunc_end20-_ZN2at6native12_GLOBAL__N_125multi_tensor_apply_kernelINS1_28TensorListScalarListMetadataIN3c107complexIfEELi2EEENS1_25BinaryOpScalarListFunctorIS6_Li2ELi1ELi1EEEJSt4plusIS6_EEEEvT_T0_DpT1_
                                        ; -- End function
	.set _ZN2at6native12_GLOBAL__N_125multi_tensor_apply_kernelINS1_28TensorListScalarListMetadataIN3c107complexIfEELi2EEENS1_25BinaryOpScalarListFunctorIS6_Li2ELi1ELi1EEEJSt4plusIS6_EEEEvT_T0_DpT1_.num_vgpr, 20
	.set _ZN2at6native12_GLOBAL__N_125multi_tensor_apply_kernelINS1_28TensorListScalarListMetadataIN3c107complexIfEELi2EEENS1_25BinaryOpScalarListFunctorIS6_Li2ELi1ELi1EEEJSt4plusIS6_EEEEvT_T0_DpT1_.num_agpr, 0
	.set _ZN2at6native12_GLOBAL__N_125multi_tensor_apply_kernelINS1_28TensorListScalarListMetadataIN3c107complexIfEELi2EEENS1_25BinaryOpScalarListFunctorIS6_Li2ELi1ELi1EEEJSt4plusIS6_EEEEvT_T0_DpT1_.numbered_sgpr, 29
	.set _ZN2at6native12_GLOBAL__N_125multi_tensor_apply_kernelINS1_28TensorListScalarListMetadataIN3c107complexIfEELi2EEENS1_25BinaryOpScalarListFunctorIS6_Li2ELi1ELi1EEEJSt4plusIS6_EEEEvT_T0_DpT1_.num_named_barrier, 0
	.set _ZN2at6native12_GLOBAL__N_125multi_tensor_apply_kernelINS1_28TensorListScalarListMetadataIN3c107complexIfEELi2EEENS1_25BinaryOpScalarListFunctorIS6_Li2ELi1ELi1EEEJSt4plusIS6_EEEEvT_T0_DpT1_.private_seg_size, 16
	.set _ZN2at6native12_GLOBAL__N_125multi_tensor_apply_kernelINS1_28TensorListScalarListMetadataIN3c107complexIfEELi2EEENS1_25BinaryOpScalarListFunctorIS6_Li2ELi1ELi1EEEJSt4plusIS6_EEEEvT_T0_DpT1_.uses_vcc, 1
	.set _ZN2at6native12_GLOBAL__N_125multi_tensor_apply_kernelINS1_28TensorListScalarListMetadataIN3c107complexIfEELi2EEENS1_25BinaryOpScalarListFunctorIS6_Li2ELi1ELi1EEEJSt4plusIS6_EEEEvT_T0_DpT1_.uses_flat_scratch, 1
	.set _ZN2at6native12_GLOBAL__N_125multi_tensor_apply_kernelINS1_28TensorListScalarListMetadataIN3c107complexIfEELi2EEENS1_25BinaryOpScalarListFunctorIS6_Li2ELi1ELi1EEEJSt4plusIS6_EEEEvT_T0_DpT1_.has_dyn_sized_stack, 0
	.set _ZN2at6native12_GLOBAL__N_125multi_tensor_apply_kernelINS1_28TensorListScalarListMetadataIN3c107complexIfEELi2EEENS1_25BinaryOpScalarListFunctorIS6_Li2ELi1ELi1EEEJSt4plusIS6_EEEEvT_T0_DpT1_.has_recursion, 0
	.set _ZN2at6native12_GLOBAL__N_125multi_tensor_apply_kernelINS1_28TensorListScalarListMetadataIN3c107complexIfEELi2EEENS1_25BinaryOpScalarListFunctorIS6_Li2ELi1ELi1EEEJSt4plusIS6_EEEEvT_T0_DpT1_.has_indirect_call, 0
	.section	.AMDGPU.csdata,"",@progbits
; Kernel info:
; codeLenInByte = 1276
; TotalNumSgprs: 31
; NumVgprs: 20
; ScratchSize: 16
; MemoryBound: 0
; FloatMode: 240
; IeeeMode: 1
; LDSByteSize: 0 bytes/workgroup (compile time only)
; SGPRBlocks: 0
; VGPRBlocks: 2
; NumSGPRsForWavesPerEU: 31
; NumVGPRsForWavesPerEU: 20
; Occupancy: 16
; WaveLimiterHint : 1
; COMPUTE_PGM_RSRC2:SCRATCH_EN: 1
; COMPUTE_PGM_RSRC2:USER_SGPR: 8
; COMPUTE_PGM_RSRC2:TRAP_HANDLER: 0
; COMPUTE_PGM_RSRC2:TGID_X_EN: 1
; COMPUTE_PGM_RSRC2:TGID_Y_EN: 0
; COMPUTE_PGM_RSRC2:TGID_Z_EN: 0
; COMPUTE_PGM_RSRC2:TIDIG_COMP_CNT: 0
	.section	.text._ZN2at6native12_GLOBAL__N_125multi_tensor_apply_kernelINS1_28TensorListScalarListMetadataIbLi2EEENS1_25BinaryOpScalarListFunctorIbLi2ELi1ELi1EEEJSt4plusIbEEEEvT_T0_DpT1_,"axG",@progbits,_ZN2at6native12_GLOBAL__N_125multi_tensor_apply_kernelINS1_28TensorListScalarListMetadataIbLi2EEENS1_25BinaryOpScalarListFunctorIbLi2ELi1ELi1EEEJSt4plusIbEEEEvT_T0_DpT1_,comdat
	.globl	_ZN2at6native12_GLOBAL__N_125multi_tensor_apply_kernelINS1_28TensorListScalarListMetadataIbLi2EEENS1_25BinaryOpScalarListFunctorIbLi2ELi1ELi1EEEJSt4plusIbEEEEvT_T0_DpT1_ ; -- Begin function _ZN2at6native12_GLOBAL__N_125multi_tensor_apply_kernelINS1_28TensorListScalarListMetadataIbLi2EEENS1_25BinaryOpScalarListFunctorIbLi2ELi1ELi1EEEJSt4plusIbEEEEvT_T0_DpT1_
	.p2align	8
	.type	_ZN2at6native12_GLOBAL__N_125multi_tensor_apply_kernelINS1_28TensorListScalarListMetadataIbLi2EEENS1_25BinaryOpScalarListFunctorIbLi2ELi1ELi1EEEJSt4plusIbEEEEvT_T0_DpT1_,@function
_ZN2at6native12_GLOBAL__N_125multi_tensor_apply_kernelINS1_28TensorListScalarListMetadataIbLi2EEENS1_25BinaryOpScalarListFunctorIbLi2ELi1ELi1EEEJSt4plusIbEEEEvT_T0_DpT1_: ; @_ZN2at6native12_GLOBAL__N_125multi_tensor_apply_kernelINS1_28TensorListScalarListMetadataIbLi2EEENS1_25BinaryOpScalarListFunctorIbLi2ELi1ELi1EEEJSt4plusIbEEEEvT_T0_DpT1_
; %bb.0:
	v_mov_b32_e32 v1, s6
	s_mul_i32 s2, s6, 3
	s_mul_hi_u32 s3, s6, 3
	global_load_ubyte v3, v1, s[4:5] offset:1600
	s_waitcnt vmcnt(0)
	v_add_co_u32 v1, s0, s4, v3
	v_add_co_ci_u32_e64 v2, null, s5, 0, s0
	s_add_u32 s0, s4, s6
	s_addc_u32 s1, s5, 0
	s_add_u32 s0, s0, s2
	global_load_ubyte v4, v[1:2], off offset:1536
	s_addc_u32 s1, s1, s3
	v_readfirstlane_b32 s2, v3
	s_load_dword s0, s[0:1], 0x780
	s_lshl_b32 s1, s2, 3
	s_clause 0x2
	s_load_dwordx2 s[6:7], s[4:5], s1 offset:0x0
	s_load_dwordx2 s[2:3], s[4:5], s1 offset:0x400
	;; [unrolled: 1-line block ×3, first 2 shown]
	s_waitcnt lgkmcnt(0)
	s_ashr_i32 s1, s0, 31
	s_lshl_b64 s[10:11], s[0:1], 16
	s_add_u32 s0, s6, s10
	s_sub_u32 s12, s2, s10
	s_subb_u32 s13, s3, s11
	s_or_b32 s1, s2, s8
	s_or_b32 s0, s1, s0
	s_and_b32 s0, s0, 3
	s_cmp_eq_u32 s0, 0
	s_mov_b32 s0, -1
	s_cbranch_scc1 .LBB21_21
; %bb.1:
	v_cmp_lt_i64_e64 s0, s[12:13], 1
	s_and_b32 vcc_lo, exec_lo, s0
	s_cbranch_vccnz .LBB21_20
; %bb.2:
	s_load_dword s0, s[4:5], 0xc94
	v_cmp_gt_i64_e64 s1, 0x10000, s[12:13]
	v_add_co_u32 v16, s2, s10, v0
	v_add_co_ci_u32_e64 v17, null, s11, 0, s2
	v_cmp_gt_u64_e64 s2, 0x10000, s[12:13]
	s_and_b32 s1, s1, exec_lo
	s_cselect_b32 s15, s13, 0
	s_cselect_b32 s14, s12, 0x10000
	v_add_co_u32 v1, vcc_lo, s6, v16
	v_add_co_ci_u32_e64 v2, null, s7, v17, vcc_lo
	v_add_co_u32 v3, vcc_lo, s8, v16
	v_add_co_ci_u32_e64 v5, null, s9, v17, vcc_lo
	s_waitcnt lgkmcnt(0)
	s_and_b32 s0, s0, 0xffff
	s_and_b32 s1, s2, exec_lo
	s_mul_i32 s2, s0, 3
	s_cselect_b32 s17, s13, 0
	s_cselect_b32 s16, s12, 0x10000
	s_lshl_b32 s1, s0, 1
	s_lshl_b32 s20, s0, 2
	s_add_u32 s3, s10, s2
	s_addc_u32 s18, s11, 0
	v_add_co_u32 v8, s3, s3, v0
	v_add_co_ci_u32_e64 v9, null, s18, 0, s3
	s_add_u32 s3, s10, s1
	s_addc_u32 s18, s11, 0
	v_add_co_u32 v14, s3, s3, v0
	v_add_co_u32 v6, vcc_lo, s6, v8
	v_add_co_ci_u32_e64 v15, null, s18, 0, s3
	v_add_co_ci_u32_e64 v7, null, s7, v9, vcc_lo
	v_add_co_u32 v8, vcc_lo, s8, v8
	v_add_co_ci_u32_e64 v9, null, s9, v9, vcc_lo
	v_add_co_u32 v12, vcc_lo, s6, v14
	v_add_co_ci_u32_e64 v13, null, s7, v15, vcc_lo
	v_add_co_u32 v14, vcc_lo, s8, v14
	v_add_co_ci_u32_e64 v15, null, s9, v15, vcc_lo
	v_add_co_u32 v20, vcc_lo, v16, s0
	v_add_co_ci_u32_e64 v21, null, 0, v17, vcc_lo
	v_add_co_u32 v10, s2, s2, v0
	v_add_co_u32 v18, vcc_lo, s6, v20
	v_add_co_u32 v16, s1, s1, v0
	v_add_co_ci_u32_e64 v19, null, s7, v21, vcc_lo
	v_add_co_u32 v20, vcc_lo, s8, v20
	v_add_co_u32 v22, s0, v0, s0
	v_add_co_ci_u32_e64 v11, null, 0, 0, s2
	v_add_co_ci_u32_e64 v17, null, 0, 0, s1
	v_add_co_ci_u32_e64 v21, null, s9, v21, vcc_lo
	v_add_co_ci_u32_e64 v23, null, 0, 0, s0
	s_mov_b64 s[18:19], 0
	s_branch .LBB21_4
.LBB21_3:                               ;   in Loop: Header=BB21_4 Depth=1
	s_or_b32 exec_lo, exec_lo, s0
	s_add_u32 s18, s18, s20
	s_addc_u32 s19, s19, 0
	v_cmp_lt_i64_e64 s0, s[18:19], s[14:15]
	s_and_b32 vcc_lo, exec_lo, s0
	s_cbranch_vccz .LBB21_20
.LBB21_4:                               ; =>This Inner Loop Header: Depth=1
	s_waitcnt vmcnt(0)
	v_add_co_u32 v24, s0, v0, s18
	v_add_co_ci_u32_e64 v25, null, 0, s19, s0
	v_cmp_gt_u64_e32 vcc_lo, s[16:17], v[24:25]
	v_mov_b32_e32 v25, 0
	s_and_saveexec_b32 s1, vcc_lo
	s_cbranch_execz .LBB21_6
; %bb.5:                                ;   in Loop: Header=BB21_4 Depth=1
	v_add_co_u32 v24, s0, v1, s18
	v_add_co_ci_u32_e64 v25, null, s19, v2, s0
	global_load_ubyte v25, v[24:25], off
.LBB21_6:                               ;   in Loop: Header=BB21_4 Depth=1
	s_or_b32 exec_lo, exec_lo, s1
	v_add_co_u32 v26, s0, v22, s18
	v_add_co_ci_u32_e64 v27, null, s19, v23, s0
	v_mov_b32_e32 v24, 0
	v_cmp_gt_u64_e64 s0, s[16:17], v[26:27]
	v_mov_b32_e32 v26, 0
	s_and_saveexec_b32 s2, s0
	s_cbranch_execz .LBB21_8
; %bb.7:                                ;   in Loop: Header=BB21_4 Depth=1
	v_add_co_u32 v26, s1, v18, s18
	v_add_co_ci_u32_e64 v27, null, s19, v19, s1
	global_load_ubyte v26, v[26:27], off
.LBB21_8:                               ;   in Loop: Header=BB21_4 Depth=1
	s_or_b32 exec_lo, exec_lo, s2
	v_add_co_u32 v27, s1, v16, s18
	v_add_co_ci_u32_e64 v28, null, s19, v17, s1
	v_cmp_gt_u64_e64 s1, s[16:17], v[27:28]
	s_and_saveexec_b32 s3, s1
	s_cbranch_execz .LBB21_10
; %bb.9:                                ;   in Loop: Header=BB21_4 Depth=1
	v_add_co_u32 v27, s2, v12, s18
	v_add_co_ci_u32_e64 v28, null, s19, v13, s2
	global_load_ubyte v24, v[27:28], off
.LBB21_10:                              ;   in Loop: Header=BB21_4 Depth=1
	s_or_b32 exec_lo, exec_lo, s3
	v_add_co_u32 v27, s2, v10, s18
	v_add_co_ci_u32_e64 v28, null, s19, v11, s2
	v_cmp_gt_u64_e64 s2, s[16:17], v[27:28]
	v_mov_b32_e32 v27, 0
	s_and_saveexec_b32 s21, s2
	s_cbranch_execnz .LBB21_15
; %bb.11:                               ;   in Loop: Header=BB21_4 Depth=1
	s_or_b32 exec_lo, exec_lo, s21
	s_and_saveexec_b32 s3, vcc_lo
	s_cbranch_execnz .LBB21_16
.LBB21_12:                              ;   in Loop: Header=BB21_4 Depth=1
	s_or_b32 exec_lo, exec_lo, s3
	s_and_saveexec_b32 s3, s0
	s_cbranch_execnz .LBB21_17
.LBB21_13:                              ;   in Loop: Header=BB21_4 Depth=1
	s_or_b32 exec_lo, exec_lo, s3
	s_and_saveexec_b32 s0, s1
	s_cbranch_execnz .LBB21_18
.LBB21_14:                              ;   in Loop: Header=BB21_4 Depth=1
	s_or_b32 exec_lo, exec_lo, s0
	s_and_saveexec_b32 s0, s2
	s_cbranch_execz .LBB21_3
	s_branch .LBB21_19
.LBB21_15:                              ;   in Loop: Header=BB21_4 Depth=1
	v_add_co_u32 v27, s3, v6, s18
	v_add_co_ci_u32_e64 v28, null, s19, v7, s3
	global_load_ubyte v27, v[27:28], off
	s_or_b32 exec_lo, exec_lo, s21
	s_and_saveexec_b32 s3, vcc_lo
	s_cbranch_execz .LBB21_12
.LBB21_16:                              ;   in Loop: Header=BB21_4 Depth=1
	v_add_co_u32 v28, vcc_lo, v3, s18
	s_waitcnt vmcnt(0)
	v_or_b32_e32 v25, v25, v4
	v_add_co_ci_u32_e64 v29, null, s19, v5, vcc_lo
	global_store_byte v[28:29], v25, off
	s_or_b32 exec_lo, exec_lo, s3
	s_and_saveexec_b32 s3, s0
	s_cbranch_execz .LBB21_13
.LBB21_17:                              ;   in Loop: Header=BB21_4 Depth=1
	s_waitcnt vmcnt(0)
	v_add_co_u32 v25, vcc_lo, v20, s18
	v_or_b32_e32 v28, v26, v4
	v_add_co_ci_u32_e64 v26, null, s19, v21, vcc_lo
	global_store_byte v[25:26], v28, off
	s_or_b32 exec_lo, exec_lo, s3
	s_and_saveexec_b32 s0, s1
	s_cbranch_execz .LBB21_14
.LBB21_18:                              ;   in Loop: Header=BB21_4 Depth=1
	s_waitcnt vmcnt(0)
	v_or_b32_e32 v26, v24, v4
	v_add_co_u32 v24, vcc_lo, v14, s18
	v_add_co_ci_u32_e64 v25, null, s19, v15, vcc_lo
	global_store_byte v[24:25], v26, off
	s_or_b32 exec_lo, exec_lo, s0
	s_and_saveexec_b32 s0, s2
	s_cbranch_execz .LBB21_3
.LBB21_19:                              ;   in Loop: Header=BB21_4 Depth=1
	s_waitcnt vmcnt(0)
	v_add_co_u32 v24, vcc_lo, v8, s18
	v_or_b32_e32 v26, v27, v4
	v_add_co_ci_u32_e64 v25, null, s19, v9, vcc_lo
	global_store_byte v[24:25], v26, off
	s_branch .LBB21_3
.LBB21_20:
	s_mov_b32 s0, 0
.LBB21_21:
	s_andn2_b32 vcc_lo, exec_lo, s0
	s_cbranch_vccnz .LBB21_25
; %bb.22:
	v_cmp_gt_i64_e64 s0, 0x10000, s[12:13]
	v_mov_b32_e32 v3, 0
	v_lshlrev_b32_e32 v2, 2, v0
	s_mov_b32 s1, 0
	s_and_b32 s0, s0, exec_lo
	s_cselect_b32 s3, s13, 0
	s_cselect_b32 s2, s12, 0x10000
	s_mov_b32 s0, exec_lo
	v_cmpx_gt_i64_e64 s[2:3], v[2:3]
	s_cbranch_execz .LBB21_25
; %bb.23:
	s_load_dword s0, s[4:5], 0xc94
	v_add_co_u32 v2, s4, s10, v2
	v_mov_b32_e32 v1, v3
	v_add_co_ci_u32_e64 v3, null, s11, 0, s4
	s_waitcnt lgkmcnt(0)
	s_and_b32 s4, s0, 0xffff
	s_lshl_b32 s5, s4, 2
	s_inst_prefetch 0x1
	.p2align	6
.LBB21_24:                              ; =>This Inner Loop Header: Depth=1
	v_add_co_u32 v5, vcc_lo, s6, v2
	v_add_co_ci_u32_e64 v6, null, s7, v3, vcc_lo
	v_add_co_u32 v0, vcc_lo, v0, s4
	v_add_co_ci_u32_e64 v1, null, 0, v1, vcc_lo
	global_load_dword v6, v[5:6], off
	v_add_co_u32 v5, vcc_lo, s8, v2
	v_lshlrev_b64 v[7:8], 2, v[0:1]
	v_add_co_u32 v2, s0, v2, s5
	s_waitcnt vmcnt(0)
	v_lshrrev_b32_e32 v9, 8, v6
	v_or_b32_e32 v10, v4, v6
	v_or_b32_sdwa v11, v4, v6 dst_sel:DWORD dst_unused:UNUSED_PAD src0_sel:DWORD src1_sel:WORD_1
	v_or_b32_sdwa v12, v4, v6 dst_sel:BYTE_1 dst_unused:UNUSED_PAD src0_sel:DWORD src1_sel:BYTE_3
	v_add_co_ci_u32_e64 v6, null, s9, v3, vcc_lo
	v_or_b32_sdwa v9, v4, v9 dst_sel:BYTE_1 dst_unused:UNUSED_PAD src0_sel:DWORD src1_sel:DWORD
	v_cmp_le_i64_e32 vcc_lo, s[2:3], v[7:8]
	v_or_b32_sdwa v11, v11, v12 dst_sel:WORD_1 dst_unused:UNUSED_PAD src0_sel:BYTE_0 src1_sel:DWORD
	v_add_co_ci_u32_e64 v3, null, 0, v3, s0
	v_or_b32_sdwa v9, v10, v9 dst_sel:DWORD dst_unused:UNUSED_PAD src0_sel:BYTE_0 src1_sel:DWORD
	s_or_b32 s1, vcc_lo, s1
	v_or_b32_sdwa v7, v9, v11 dst_sel:DWORD dst_unused:UNUSED_PAD src0_sel:WORD_0 src1_sel:DWORD
	global_store_dword v[5:6], v7, off
	s_andn2_b32 exec_lo, exec_lo, s1
	s_cbranch_execnz .LBB21_24
.LBB21_25:
	s_inst_prefetch 0x2
	s_endpgm
	.section	.rodata,"a",@progbits
	.p2align	6, 0x0
	.amdhsa_kernel _ZN2at6native12_GLOBAL__N_125multi_tensor_apply_kernelINS1_28TensorListScalarListMetadataIbLi2EEENS1_25BinaryOpScalarListFunctorIbLi2ELi1ELi1EEEJSt4plusIbEEEEvT_T0_DpT1_
		.amdhsa_group_segment_fixed_size 0
		.amdhsa_private_segment_fixed_size 0
		.amdhsa_kernarg_size 3464
		.amdhsa_user_sgpr_count 6
		.amdhsa_user_sgpr_private_segment_buffer 1
		.amdhsa_user_sgpr_dispatch_ptr 0
		.amdhsa_user_sgpr_queue_ptr 0
		.amdhsa_user_sgpr_kernarg_segment_ptr 1
		.amdhsa_user_sgpr_dispatch_id 0
		.amdhsa_user_sgpr_flat_scratch_init 0
		.amdhsa_user_sgpr_private_segment_size 0
		.amdhsa_wavefront_size32 1
		.amdhsa_uses_dynamic_stack 0
		.amdhsa_system_sgpr_private_segment_wavefront_offset 0
		.amdhsa_system_sgpr_workgroup_id_x 1
		.amdhsa_system_sgpr_workgroup_id_y 0
		.amdhsa_system_sgpr_workgroup_id_z 0
		.amdhsa_system_sgpr_workgroup_info 0
		.amdhsa_system_vgpr_workitem_id 0
		.amdhsa_next_free_vgpr 30
		.amdhsa_next_free_sgpr 22
		.amdhsa_reserve_vcc 1
		.amdhsa_reserve_flat_scratch 0
		.amdhsa_float_round_mode_32 0
		.amdhsa_float_round_mode_16_64 0
		.amdhsa_float_denorm_mode_32 3
		.amdhsa_float_denorm_mode_16_64 3
		.amdhsa_dx10_clamp 1
		.amdhsa_ieee_mode 1
		.amdhsa_fp16_overflow 0
		.amdhsa_workgroup_processor_mode 1
		.amdhsa_memory_ordered 1
		.amdhsa_forward_progress 1
		.amdhsa_shared_vgpr_count 0
		.amdhsa_exception_fp_ieee_invalid_op 0
		.amdhsa_exception_fp_denorm_src 0
		.amdhsa_exception_fp_ieee_div_zero 0
		.amdhsa_exception_fp_ieee_overflow 0
		.amdhsa_exception_fp_ieee_underflow 0
		.amdhsa_exception_fp_ieee_inexact 0
		.amdhsa_exception_int_div_zero 0
	.end_amdhsa_kernel
	.section	.text._ZN2at6native12_GLOBAL__N_125multi_tensor_apply_kernelINS1_28TensorListScalarListMetadataIbLi2EEENS1_25BinaryOpScalarListFunctorIbLi2ELi1ELi1EEEJSt4plusIbEEEEvT_T0_DpT1_,"axG",@progbits,_ZN2at6native12_GLOBAL__N_125multi_tensor_apply_kernelINS1_28TensorListScalarListMetadataIbLi2EEENS1_25BinaryOpScalarListFunctorIbLi2ELi1ELi1EEEJSt4plusIbEEEEvT_T0_DpT1_,comdat
.Lfunc_end21:
	.size	_ZN2at6native12_GLOBAL__N_125multi_tensor_apply_kernelINS1_28TensorListScalarListMetadataIbLi2EEENS1_25BinaryOpScalarListFunctorIbLi2ELi1ELi1EEEJSt4plusIbEEEEvT_T0_DpT1_, .Lfunc_end21-_ZN2at6native12_GLOBAL__N_125multi_tensor_apply_kernelINS1_28TensorListScalarListMetadataIbLi2EEENS1_25BinaryOpScalarListFunctorIbLi2ELi1ELi1EEEJSt4plusIbEEEEvT_T0_DpT1_
                                        ; -- End function
	.set _ZN2at6native12_GLOBAL__N_125multi_tensor_apply_kernelINS1_28TensorListScalarListMetadataIbLi2EEENS1_25BinaryOpScalarListFunctorIbLi2ELi1ELi1EEEJSt4plusIbEEEEvT_T0_DpT1_.num_vgpr, 30
	.set _ZN2at6native12_GLOBAL__N_125multi_tensor_apply_kernelINS1_28TensorListScalarListMetadataIbLi2EEENS1_25BinaryOpScalarListFunctorIbLi2ELi1ELi1EEEJSt4plusIbEEEEvT_T0_DpT1_.num_agpr, 0
	.set _ZN2at6native12_GLOBAL__N_125multi_tensor_apply_kernelINS1_28TensorListScalarListMetadataIbLi2EEENS1_25BinaryOpScalarListFunctorIbLi2ELi1ELi1EEEJSt4plusIbEEEEvT_T0_DpT1_.numbered_sgpr, 22
	.set _ZN2at6native12_GLOBAL__N_125multi_tensor_apply_kernelINS1_28TensorListScalarListMetadataIbLi2EEENS1_25BinaryOpScalarListFunctorIbLi2ELi1ELi1EEEJSt4plusIbEEEEvT_T0_DpT1_.num_named_barrier, 0
	.set _ZN2at6native12_GLOBAL__N_125multi_tensor_apply_kernelINS1_28TensorListScalarListMetadataIbLi2EEENS1_25BinaryOpScalarListFunctorIbLi2ELi1ELi1EEEJSt4plusIbEEEEvT_T0_DpT1_.private_seg_size, 0
	.set _ZN2at6native12_GLOBAL__N_125multi_tensor_apply_kernelINS1_28TensorListScalarListMetadataIbLi2EEENS1_25BinaryOpScalarListFunctorIbLi2ELi1ELi1EEEJSt4plusIbEEEEvT_T0_DpT1_.uses_vcc, 1
	.set _ZN2at6native12_GLOBAL__N_125multi_tensor_apply_kernelINS1_28TensorListScalarListMetadataIbLi2EEENS1_25BinaryOpScalarListFunctorIbLi2ELi1ELi1EEEJSt4plusIbEEEEvT_T0_DpT1_.uses_flat_scratch, 0
	.set _ZN2at6native12_GLOBAL__N_125multi_tensor_apply_kernelINS1_28TensorListScalarListMetadataIbLi2EEENS1_25BinaryOpScalarListFunctorIbLi2ELi1ELi1EEEJSt4plusIbEEEEvT_T0_DpT1_.has_dyn_sized_stack, 0
	.set _ZN2at6native12_GLOBAL__N_125multi_tensor_apply_kernelINS1_28TensorListScalarListMetadataIbLi2EEENS1_25BinaryOpScalarListFunctorIbLi2ELi1ELi1EEEJSt4plusIbEEEEvT_T0_DpT1_.has_recursion, 0
	.set _ZN2at6native12_GLOBAL__N_125multi_tensor_apply_kernelINS1_28TensorListScalarListMetadataIbLi2EEENS1_25BinaryOpScalarListFunctorIbLi2ELi1ELi1EEEJSt4plusIbEEEEvT_T0_DpT1_.has_indirect_call, 0
	.section	.AMDGPU.csdata,"",@progbits
; Kernel info:
; codeLenInByte = 1324
; TotalNumSgprs: 24
; NumVgprs: 30
; ScratchSize: 0
; MemoryBound: 0
; FloatMode: 240
; IeeeMode: 1
; LDSByteSize: 0 bytes/workgroup (compile time only)
; SGPRBlocks: 0
; VGPRBlocks: 3
; NumSGPRsForWavesPerEU: 24
; NumVGPRsForWavesPerEU: 30
; Occupancy: 16
; WaveLimiterHint : 0
; COMPUTE_PGM_RSRC2:SCRATCH_EN: 0
; COMPUTE_PGM_RSRC2:USER_SGPR: 6
; COMPUTE_PGM_RSRC2:TRAP_HANDLER: 0
; COMPUTE_PGM_RSRC2:TGID_X_EN: 1
; COMPUTE_PGM_RSRC2:TGID_Y_EN: 0
; COMPUTE_PGM_RSRC2:TGID_Z_EN: 0
; COMPUTE_PGM_RSRC2:TIDIG_COMP_CNT: 0
	.section	.text._ZN2at6native12_GLOBAL__N_125multi_tensor_apply_kernelINS1_28TensorListScalarListMetadataIfLi2EEENS1_25BinaryOpScalarListFunctorIN3c104HalfELi2ELi1ELi1EEEJSt4plusIfEEEEvT_T0_DpT1_,"axG",@progbits,_ZN2at6native12_GLOBAL__N_125multi_tensor_apply_kernelINS1_28TensorListScalarListMetadataIfLi2EEENS1_25BinaryOpScalarListFunctorIN3c104HalfELi2ELi1ELi1EEEJSt4plusIfEEEEvT_T0_DpT1_,comdat
	.globl	_ZN2at6native12_GLOBAL__N_125multi_tensor_apply_kernelINS1_28TensorListScalarListMetadataIfLi2EEENS1_25BinaryOpScalarListFunctorIN3c104HalfELi2ELi1ELi1EEEJSt4plusIfEEEEvT_T0_DpT1_ ; -- Begin function _ZN2at6native12_GLOBAL__N_125multi_tensor_apply_kernelINS1_28TensorListScalarListMetadataIfLi2EEENS1_25BinaryOpScalarListFunctorIN3c104HalfELi2ELi1ELi1EEEJSt4plusIfEEEEvT_T0_DpT1_
	.p2align	8
	.type	_ZN2at6native12_GLOBAL__N_125multi_tensor_apply_kernelINS1_28TensorListScalarListMetadataIfLi2EEENS1_25BinaryOpScalarListFunctorIN3c104HalfELi2ELi1ELi1EEEJSt4plusIfEEEEvT_T0_DpT1_,@function
_ZN2at6native12_GLOBAL__N_125multi_tensor_apply_kernelINS1_28TensorListScalarListMetadataIfLi2EEENS1_25BinaryOpScalarListFunctorIN3c104HalfELi2ELi1ELi1EEEJSt4plusIfEEEEvT_T0_DpT1_: ; @_ZN2at6native12_GLOBAL__N_125multi_tensor_apply_kernelINS1_28TensorListScalarListMetadataIfLi2EEENS1_25BinaryOpScalarListFunctorIN3c104HalfELi2ELi1ELi1EEEJSt4plusIfEEEEvT_T0_DpT1_
; %bb.0:
	v_mov_b32_e32 v1, s6
	s_add_u32 s0, s4, s6
	s_mul_hi_u32 s1, s6, 3
	s_mul_i32 s6, s6, 3
	s_addc_u32 s2, s5, 0
	global_load_ubyte v1, v1, s[4:5] offset:1792
	s_add_u32 s0, s0, s6
	s_addc_u32 s1, s2, s1
	s_mov_b32 s15, 0
	s_load_dword s0, s[0:1], 0x840
	s_mov_b32 s17, s15
	s_waitcnt vmcnt(0)
	v_readfirstlane_b32 s1, v1
	v_lshlrev_b32_e32 v1, 2, v1
	s_lshl_b32 s10, s1, 3
	v_sub_co_u32 v1, s1, 0, v1
	v_sub_co_ci_u32_e64 v2, null, 0, 0, s1
	s_waitcnt lgkmcnt(0)
	s_ashr_i32 s1, s0, 31
	s_clause 0x2
	s_load_dwordx2 s[2:3], s[4:5], s10 offset:0x400
	s_load_dwordx2 s[6:7], s[4:5], s10 offset:0x0
	;; [unrolled: 1-line block ×3, first 2 shown]
	s_add_u32 s10, s4, s10
	s_addc_u32 s11, s5, 0
	v_add_co_u32 v1, vcc_lo, s10, v1
	v_add_co_ci_u32_e64 v2, null, s11, v2, vcc_lo
	v_readfirstlane_b32 s10, v1
	v_readfirstlane_b32 s11, v2
	s_load_dword s20, s[10:11], 0x600
	s_lshl_b64 s[10:11], s[0:1], 17
	s_lshl_b64 s[0:1], s[0:1], 16
	s_waitcnt lgkmcnt(0)
	s_add_u32 s12, s6, s10
	s_and_b32 s16, s8, 7
	s_and_b32 s14, s12, 7
	s_sub_u32 s12, s2, s0
	s_subb_u32 s13, s3, s1
	s_and_b32 s0, s2, 3
	s_mov_b32 s1, s15
	s_or_b64 s[0:1], s[16:17], s[0:1]
	s_or_b64 s[0:1], s[0:1], s[14:15]
	s_cmp_eq_u64 s[0:1], 0
	s_mov_b32 s0, -1
	s_cbranch_scc1 .LBB22_21
; %bb.1:
	v_cmp_lt_i64_e64 s0, s[12:13], 1
	s_and_b32 vcc_lo, exec_lo, s0
	s_cbranch_vccnz .LBB22_20
; %bb.2:
	s_load_dword s0, s[4:5], 0xd54
	v_cmp_gt_i64_e64 s1, 0x10000, s[12:13]
	v_lshlrev_b32_e32 v9, 1, v0
	v_cmp_gt_u64_e64 s2, 0x10000, s[12:13]
	v_mov_b32_e32 v10, 0
	s_mov_b64 s[18:19], 0
	s_and_b32 s1, s1, exec_lo
	v_add_co_u32 v1, s3, s6, v9
	s_cselect_b32 s15, s13, 0
	s_cselect_b32 s14, s12, 0x10000
	v_add_co_ci_u32_e64 v2, null, s7, 0, s3
	v_add_co_u32 v3, s3, s8, v9
	v_add_co_ci_u32_e64 v4, null, s9, 0, s3
	s_waitcnt lgkmcnt(0)
	s_and_b32 s0, s0, 0xffff
	s_and_b32 s1, s2, exec_lo
	s_cselect_b32 s17, s13, 0
	s_cselect_b32 s16, s12, 0x10000
	s_mul_i32 s2, s0, 3
	s_lshl_b32 s21, s0, 2
	v_mad_u64_u32 v[7:8], null, s0, 6, v[9:10]
	v_add_co_u32 v14, s3, s21, v9
	v_add_co_u32 v9, s2, s2, v0
	v_add_co_ci_u32_e64 v10, null, 0, 0, s2
	v_add_co_u32 v13, s2, v0, s0
	s_lshl_b32 s1, s0, 1
	v_add_co_u32 v5, vcc_lo, s6, v7
	v_lshlrev_b32_e32 v21, 1, v13
	v_add_co_ci_u32_e64 v15, null, 0, 0, s3
	v_add_co_ci_u32_e64 v6, null, s7, v8, vcc_lo
	v_add_co_u32 v7, vcc_lo, s8, v7
	v_add_co_u32 v17, s1, s1, v0
	v_add_co_ci_u32_e64 v8, null, s9, v8, vcc_lo
	v_add_co_u32 v11, vcc_lo, s6, v14
	v_add_co_ci_u32_e64 v18, null, 0, 0, s1
	v_add_co_u32 v19, s1, s6, v21
	v_add_co_ci_u32_e64 v12, null, s7, v15, vcc_lo
	v_add_co_u32 v14, vcc_lo, s8, v14
	v_add_co_ci_u32_e64 v20, null, s7, 0, s1
	v_add_co_u32 v21, s1, s8, v21
	v_add_co_ci_u32_e64 v15, null, s9, v15, vcc_lo
	v_add_co_ci_u32_e64 v16, null, 0, 0, s2
	v_add_co_ci_u32_e64 v22, null, s9, 0, s1
	s_lshl_b32 s22, s0, 3
	s_branch .LBB22_4
.LBB22_3:                               ;   in Loop: Header=BB22_4 Depth=1
	s_or_b32 exec_lo, exec_lo, s0
	v_add_co_u32 v1, vcc_lo, v1, s22
	v_add_co_ci_u32_e64 v2, null, 0, v2, vcc_lo
	v_add_co_u32 v3, vcc_lo, v3, s22
	v_add_co_ci_u32_e64 v4, null, 0, v4, vcc_lo
	v_add_co_u32 v5, vcc_lo, v5, s22
	v_add_co_ci_u32_e64 v6, null, 0, v6, vcc_lo
	v_add_co_u32 v7, vcc_lo, v7, s22
	v_add_co_ci_u32_e64 v8, null, 0, v8, vcc_lo
	v_add_co_u32 v11, vcc_lo, v11, s22
	s_add_u32 s18, s18, s21
	v_add_co_ci_u32_e64 v12, null, 0, v12, vcc_lo
	v_add_co_u32 v14, vcc_lo, v14, s22
	s_addc_u32 s19, s19, 0
	v_add_co_ci_u32_e64 v15, null, 0, v15, vcc_lo
	v_add_co_u32 v19, vcc_lo, v19, s22
	v_cmp_lt_i64_e64 s0, s[18:19], s[14:15]
	v_add_co_ci_u32_e64 v20, null, 0, v20, vcc_lo
	v_add_co_u32 v21, vcc_lo, v21, s22
	v_add_co_ci_u32_e64 v22, null, 0, v22, vcc_lo
	s_and_b32 vcc_lo, exec_lo, s0
	s_cbranch_vccz .LBB22_20
.LBB22_4:                               ; =>This Inner Loop Header: Depth=1
	v_add_co_u32 v23, s0, v0, s18
	v_add_co_ci_u32_e64 v24, null, 0, s19, s0
	v_cmp_gt_u64_e32 vcc_lo, s[16:17], v[23:24]
	v_mov_b32_e32 v24, 0
	s_and_saveexec_b32 s1, vcc_lo
	s_cbranch_execz .LBB22_6
; %bb.5:                                ;   in Loop: Header=BB22_4 Depth=1
	v_add_co_u32 v23, s0, v1, s10
	v_add_co_ci_u32_e64 v24, null, s11, v2, s0
	global_load_ushort v23, v[23:24], off
	s_waitcnt vmcnt(0)
	v_cvt_f32_f16_e32 v24, v23
.LBB22_6:                               ;   in Loop: Header=BB22_4 Depth=1
	s_or_b32 exec_lo, exec_lo, s1
	v_add_co_u32 v25, s0, v13, s18
	v_add_co_ci_u32_e64 v26, null, s19, v16, s0
	v_mov_b32_e32 v23, 0
	v_cmp_gt_u64_e64 s0, s[16:17], v[25:26]
	v_mov_b32_e32 v25, 0
	s_and_saveexec_b32 s2, s0
	s_cbranch_execz .LBB22_8
; %bb.7:                                ;   in Loop: Header=BB22_4 Depth=1
	v_add_co_u32 v25, s1, v19, s10
	v_add_co_ci_u32_e64 v26, null, s11, v20, s1
	global_load_ushort v25, v[25:26], off
	s_waitcnt vmcnt(0)
	v_cvt_f32_f16_e32 v25, v25
.LBB22_8:                               ;   in Loop: Header=BB22_4 Depth=1
	s_or_b32 exec_lo, exec_lo, s2
	v_add_co_u32 v26, s1, v17, s18
	v_add_co_ci_u32_e64 v27, null, s19, v18, s1
	v_cmp_gt_u64_e64 s1, s[16:17], v[26:27]
	s_and_saveexec_b32 s3, s1
	s_cbranch_execz .LBB22_10
; %bb.9:                                ;   in Loop: Header=BB22_4 Depth=1
	v_add_co_u32 v26, s2, v11, s10
	v_add_co_ci_u32_e64 v27, null, s11, v12, s2
	global_load_ushort v23, v[26:27], off
	s_waitcnt vmcnt(0)
	v_cvt_f32_f16_e32 v23, v23
.LBB22_10:                              ;   in Loop: Header=BB22_4 Depth=1
	s_or_b32 exec_lo, exec_lo, s3
	v_add_co_u32 v26, s2, v9, s18
	v_add_co_ci_u32_e64 v27, null, s19, v10, s2
	v_cmp_gt_u64_e64 s2, s[16:17], v[26:27]
	v_mov_b32_e32 v26, 0
	s_and_saveexec_b32 s23, s2
	s_cbranch_execnz .LBB22_15
; %bb.11:                               ;   in Loop: Header=BB22_4 Depth=1
	s_or_b32 exec_lo, exec_lo, s23
	s_and_saveexec_b32 s3, vcc_lo
	s_cbranch_execnz .LBB22_16
.LBB22_12:                              ;   in Loop: Header=BB22_4 Depth=1
	s_or_b32 exec_lo, exec_lo, s3
	s_and_saveexec_b32 s3, s0
	s_cbranch_execnz .LBB22_17
.LBB22_13:                              ;   in Loop: Header=BB22_4 Depth=1
	s_or_b32 exec_lo, exec_lo, s3
	s_and_saveexec_b32 s0, s1
	s_cbranch_execnz .LBB22_18
.LBB22_14:                              ;   in Loop: Header=BB22_4 Depth=1
	s_or_b32 exec_lo, exec_lo, s0
	s_and_saveexec_b32 s0, s2
	s_cbranch_execz .LBB22_3
	s_branch .LBB22_19
.LBB22_15:                              ;   in Loop: Header=BB22_4 Depth=1
	v_add_co_u32 v26, s3, v5, s10
	v_add_co_ci_u32_e64 v27, null, s11, v6, s3
	global_load_ushort v26, v[26:27], off
	s_waitcnt vmcnt(0)
	v_cvt_f32_f16_e32 v26, v26
	s_or_b32 exec_lo, exec_lo, s23
	s_and_saveexec_b32 s3, vcc_lo
	s_cbranch_execz .LBB22_12
.LBB22_16:                              ;   in Loop: Header=BB22_4 Depth=1
	v_add_f32_e32 v24, s20, v24
	v_add_co_u32 v27, vcc_lo, v3, s10
	v_add_co_ci_u32_e64 v28, null, s11, v4, vcc_lo
	v_cvt_f16_f32_e32 v24, v24
	global_store_short v[27:28], v24, off
	s_or_b32 exec_lo, exec_lo, s3
	s_and_saveexec_b32 s3, s0
	s_cbranch_execz .LBB22_13
.LBB22_17:                              ;   in Loop: Header=BB22_4 Depth=1
	v_add_f32_e32 v24, s20, v25
	v_cvt_f16_f32_e32 v27, v24
	v_add_co_u32 v24, vcc_lo, v21, s10
	v_add_co_ci_u32_e64 v25, null, s11, v22, vcc_lo
	global_store_short v[24:25], v27, off
	s_or_b32 exec_lo, exec_lo, s3
	s_and_saveexec_b32 s0, s1
	s_cbranch_execz .LBB22_14
.LBB22_18:                              ;   in Loop: Header=BB22_4 Depth=1
	v_add_f32_e32 v23, s20, v23
	v_cvt_f16_f32_e32 v25, v23
	v_add_co_u32 v23, vcc_lo, v14, s10
	v_add_co_ci_u32_e64 v24, null, s11, v15, vcc_lo
	global_store_short v[23:24], v25, off
	s_or_b32 exec_lo, exec_lo, s0
	s_and_saveexec_b32 s0, s2
	s_cbranch_execz .LBB22_3
.LBB22_19:                              ;   in Loop: Header=BB22_4 Depth=1
	v_add_f32_e32 v23, s20, v26
	v_cvt_f16_f32_e32 v25, v23
	v_add_co_u32 v23, vcc_lo, v7, s10
	v_add_co_ci_u32_e64 v24, null, s11, v8, vcc_lo
	global_store_short v[23:24], v25, off
	s_branch .LBB22_3
.LBB22_20:
	s_mov_b32 s0, 0
.LBB22_21:
	s_andn2_b32 vcc_lo, exec_lo, s0
	s_cbranch_vccnz .LBB22_25
; %bb.22:
	v_cmp_gt_i64_e64 s0, 0x10000, s[12:13]
	v_mov_b32_e32 v2, 0
	v_lshlrev_b32_e32 v1, 2, v0
	s_mov_b32 s1, 0
	s_and_b32 s0, s0, exec_lo
	s_cselect_b32 s3, s13, 0
	s_cselect_b32 s2, s12, 0x10000
	s_mov_b32 s0, exec_lo
	v_cmpx_gt_i64_e64 s[2:3], v[1:2]
	s_cbranch_execz .LBB22_25
; %bb.23:
	s_load_dword s0, s[4:5], 0xd54
	v_lshlrev_b32_e32 v3, 3, v0
	v_mov_b32_e32 v1, v2
	s_mov_b32 s5, s20
	v_add_co_u32 v2, s4, s10, v3
	v_add_co_ci_u32_e64 v3, null, s11, 0, s4
	s_waitcnt lgkmcnt(0)
	s_and_b32 s4, s0, 0xffff
	s_lshl_b32 s10, s4, 3
	s_inst_prefetch 0x1
	.p2align	6
.LBB22_24:                              ; =>This Inner Loop Header: Depth=1
	v_add_co_u32 v4, vcc_lo, s6, v2
	v_add_co_ci_u32_e64 v5, null, s7, v3, vcc_lo
	v_add_co_u32 v0, vcc_lo, v0, s4
	v_add_co_ci_u32_e64 v1, null, 0, v1, vcc_lo
	global_load_dwordx2 v[4:5], v[4:5], off
	v_add_co_u32 v6, vcc_lo, s8, v2
	v_lshlrev_b64 v[8:9], 2, v[0:1]
	v_add_co_ci_u32_e64 v7, null, s9, v3, vcc_lo
	v_add_co_u32 v2, vcc_lo, v2, s10
	v_add_co_ci_u32_e64 v3, null, 0, v3, vcc_lo
	v_cmp_le_i64_e64 s0, s[2:3], v[8:9]
	s_or_b32 s1, s0, s1
	s_waitcnt vmcnt(0)
	v_cvt_f32_f16_e32 v10, v4
	v_cvt_f32_f16_sdwa v11, v5 dst_sel:DWORD dst_unused:UNUSED_PAD src0_sel:WORD_1
	v_cvt_f32_f16_e32 v5, v5
	v_cvt_f32_f16_sdwa v4, v4 dst_sel:DWORD dst_unused:UNUSED_PAD src0_sel:WORD_1
	v_add_f32_e32 v10, s20, v10
	v_add_f32_e32 v11, s20, v11
	;; [unrolled: 1-line block ×4, first 2 shown]
	v_cvt_f16_f32_e32 v10, v10
	v_cvt_f16_f32_e32 v11, v11
	;; [unrolled: 1-line block ×4, first 2 shown]
	v_pack_b32_f16 v5, v5, v11
	v_pack_b32_f16 v4, v10, v4
	global_store_dwordx2 v[6:7], v[4:5], off
	s_andn2_b32 exec_lo, exec_lo, s1
	s_cbranch_execnz .LBB22_24
.LBB22_25:
	s_inst_prefetch 0x2
	s_endpgm
	.section	.rodata,"a",@progbits
	.p2align	6, 0x0
	.amdhsa_kernel _ZN2at6native12_GLOBAL__N_125multi_tensor_apply_kernelINS1_28TensorListScalarListMetadataIfLi2EEENS1_25BinaryOpScalarListFunctorIN3c104HalfELi2ELi1ELi1EEEJSt4plusIfEEEEvT_T0_DpT1_
		.amdhsa_group_segment_fixed_size 0
		.amdhsa_private_segment_fixed_size 0
		.amdhsa_kernarg_size 3656
		.amdhsa_user_sgpr_count 6
		.amdhsa_user_sgpr_private_segment_buffer 1
		.amdhsa_user_sgpr_dispatch_ptr 0
		.amdhsa_user_sgpr_queue_ptr 0
		.amdhsa_user_sgpr_kernarg_segment_ptr 1
		.amdhsa_user_sgpr_dispatch_id 0
		.amdhsa_user_sgpr_flat_scratch_init 0
		.amdhsa_user_sgpr_private_segment_size 0
		.amdhsa_wavefront_size32 1
		.amdhsa_uses_dynamic_stack 0
		.amdhsa_system_sgpr_private_segment_wavefront_offset 0
		.amdhsa_system_sgpr_workgroup_id_x 1
		.amdhsa_system_sgpr_workgroup_id_y 0
		.amdhsa_system_sgpr_workgroup_id_z 0
		.amdhsa_system_sgpr_workgroup_info 0
		.amdhsa_system_vgpr_workitem_id 0
		.amdhsa_next_free_vgpr 29
		.amdhsa_next_free_sgpr 24
		.amdhsa_reserve_vcc 1
		.amdhsa_reserve_flat_scratch 0
		.amdhsa_float_round_mode_32 0
		.amdhsa_float_round_mode_16_64 0
		.amdhsa_float_denorm_mode_32 3
		.amdhsa_float_denorm_mode_16_64 3
		.amdhsa_dx10_clamp 1
		.amdhsa_ieee_mode 1
		.amdhsa_fp16_overflow 0
		.amdhsa_workgroup_processor_mode 1
		.amdhsa_memory_ordered 1
		.amdhsa_forward_progress 1
		.amdhsa_shared_vgpr_count 0
		.amdhsa_exception_fp_ieee_invalid_op 0
		.amdhsa_exception_fp_denorm_src 0
		.amdhsa_exception_fp_ieee_div_zero 0
		.amdhsa_exception_fp_ieee_overflow 0
		.amdhsa_exception_fp_ieee_underflow 0
		.amdhsa_exception_fp_ieee_inexact 0
		.amdhsa_exception_int_div_zero 0
	.end_amdhsa_kernel
	.section	.text._ZN2at6native12_GLOBAL__N_125multi_tensor_apply_kernelINS1_28TensorListScalarListMetadataIfLi2EEENS1_25BinaryOpScalarListFunctorIN3c104HalfELi2ELi1ELi1EEEJSt4plusIfEEEEvT_T0_DpT1_,"axG",@progbits,_ZN2at6native12_GLOBAL__N_125multi_tensor_apply_kernelINS1_28TensorListScalarListMetadataIfLi2EEENS1_25BinaryOpScalarListFunctorIN3c104HalfELi2ELi1ELi1EEEJSt4plusIfEEEEvT_T0_DpT1_,comdat
.Lfunc_end22:
	.size	_ZN2at6native12_GLOBAL__N_125multi_tensor_apply_kernelINS1_28TensorListScalarListMetadataIfLi2EEENS1_25BinaryOpScalarListFunctorIN3c104HalfELi2ELi1ELi1EEEJSt4plusIfEEEEvT_T0_DpT1_, .Lfunc_end22-_ZN2at6native12_GLOBAL__N_125multi_tensor_apply_kernelINS1_28TensorListScalarListMetadataIfLi2EEENS1_25BinaryOpScalarListFunctorIN3c104HalfELi2ELi1ELi1EEEJSt4plusIfEEEEvT_T0_DpT1_
                                        ; -- End function
	.set _ZN2at6native12_GLOBAL__N_125multi_tensor_apply_kernelINS1_28TensorListScalarListMetadataIfLi2EEENS1_25BinaryOpScalarListFunctorIN3c104HalfELi2ELi1ELi1EEEJSt4plusIfEEEEvT_T0_DpT1_.num_vgpr, 29
	.set _ZN2at6native12_GLOBAL__N_125multi_tensor_apply_kernelINS1_28TensorListScalarListMetadataIfLi2EEENS1_25BinaryOpScalarListFunctorIN3c104HalfELi2ELi1ELi1EEEJSt4plusIfEEEEvT_T0_DpT1_.num_agpr, 0
	.set _ZN2at6native12_GLOBAL__N_125multi_tensor_apply_kernelINS1_28TensorListScalarListMetadataIfLi2EEENS1_25BinaryOpScalarListFunctorIN3c104HalfELi2ELi1ELi1EEEJSt4plusIfEEEEvT_T0_DpT1_.numbered_sgpr, 24
	.set _ZN2at6native12_GLOBAL__N_125multi_tensor_apply_kernelINS1_28TensorListScalarListMetadataIfLi2EEENS1_25BinaryOpScalarListFunctorIN3c104HalfELi2ELi1ELi1EEEJSt4plusIfEEEEvT_T0_DpT1_.num_named_barrier, 0
	.set _ZN2at6native12_GLOBAL__N_125multi_tensor_apply_kernelINS1_28TensorListScalarListMetadataIfLi2EEENS1_25BinaryOpScalarListFunctorIN3c104HalfELi2ELi1ELi1EEEJSt4plusIfEEEEvT_T0_DpT1_.private_seg_size, 0
	.set _ZN2at6native12_GLOBAL__N_125multi_tensor_apply_kernelINS1_28TensorListScalarListMetadataIfLi2EEENS1_25BinaryOpScalarListFunctorIN3c104HalfELi2ELi1ELi1EEEJSt4plusIfEEEEvT_T0_DpT1_.uses_vcc, 1
	.set _ZN2at6native12_GLOBAL__N_125multi_tensor_apply_kernelINS1_28TensorListScalarListMetadataIfLi2EEENS1_25BinaryOpScalarListFunctorIN3c104HalfELi2ELi1ELi1EEEJSt4plusIfEEEEvT_T0_DpT1_.uses_flat_scratch, 0
	.set _ZN2at6native12_GLOBAL__N_125multi_tensor_apply_kernelINS1_28TensorListScalarListMetadataIfLi2EEENS1_25BinaryOpScalarListFunctorIN3c104HalfELi2ELi1ELi1EEEJSt4plusIfEEEEvT_T0_DpT1_.has_dyn_sized_stack, 0
	.set _ZN2at6native12_GLOBAL__N_125multi_tensor_apply_kernelINS1_28TensorListScalarListMetadataIfLi2EEENS1_25BinaryOpScalarListFunctorIN3c104HalfELi2ELi1ELi1EEEJSt4plusIfEEEEvT_T0_DpT1_.has_recursion, 0
	.set _ZN2at6native12_GLOBAL__N_125multi_tensor_apply_kernelINS1_28TensorListScalarListMetadataIfLi2EEENS1_25BinaryOpScalarListFunctorIN3c104HalfELi2ELi1ELi1EEEJSt4plusIfEEEEvT_T0_DpT1_.has_indirect_call, 0
	.section	.AMDGPU.csdata,"",@progbits
; Kernel info:
; codeLenInByte = 1536
; TotalNumSgprs: 26
; NumVgprs: 29
; ScratchSize: 0
; MemoryBound: 0
; FloatMode: 240
; IeeeMode: 1
; LDSByteSize: 0 bytes/workgroup (compile time only)
; SGPRBlocks: 0
; VGPRBlocks: 3
; NumSGPRsForWavesPerEU: 26
; NumVGPRsForWavesPerEU: 29
; Occupancy: 16
; WaveLimiterHint : 0
; COMPUTE_PGM_RSRC2:SCRATCH_EN: 0
; COMPUTE_PGM_RSRC2:USER_SGPR: 6
; COMPUTE_PGM_RSRC2:TRAP_HANDLER: 0
; COMPUTE_PGM_RSRC2:TGID_X_EN: 1
; COMPUTE_PGM_RSRC2:TGID_Y_EN: 0
; COMPUTE_PGM_RSRC2:TGID_Z_EN: 0
; COMPUTE_PGM_RSRC2:TIDIG_COMP_CNT: 0
	.section	.text._ZN2at6native12_GLOBAL__N_125multi_tensor_apply_kernelINS1_28TensorListScalarListMetadataIfLi2EEENS1_25BinaryOpScalarListFunctorIN3c108BFloat16ELi2ELi1ELi1EEEJSt4plusIfEEEEvT_T0_DpT1_,"axG",@progbits,_ZN2at6native12_GLOBAL__N_125multi_tensor_apply_kernelINS1_28TensorListScalarListMetadataIfLi2EEENS1_25BinaryOpScalarListFunctorIN3c108BFloat16ELi2ELi1ELi1EEEJSt4plusIfEEEEvT_T0_DpT1_,comdat
	.globl	_ZN2at6native12_GLOBAL__N_125multi_tensor_apply_kernelINS1_28TensorListScalarListMetadataIfLi2EEENS1_25BinaryOpScalarListFunctorIN3c108BFloat16ELi2ELi1ELi1EEEJSt4plusIfEEEEvT_T0_DpT1_ ; -- Begin function _ZN2at6native12_GLOBAL__N_125multi_tensor_apply_kernelINS1_28TensorListScalarListMetadataIfLi2EEENS1_25BinaryOpScalarListFunctorIN3c108BFloat16ELi2ELi1ELi1EEEJSt4plusIfEEEEvT_T0_DpT1_
	.p2align	8
	.type	_ZN2at6native12_GLOBAL__N_125multi_tensor_apply_kernelINS1_28TensorListScalarListMetadataIfLi2EEENS1_25BinaryOpScalarListFunctorIN3c108BFloat16ELi2ELi1ELi1EEEJSt4plusIfEEEEvT_T0_DpT1_,@function
_ZN2at6native12_GLOBAL__N_125multi_tensor_apply_kernelINS1_28TensorListScalarListMetadataIfLi2EEENS1_25BinaryOpScalarListFunctorIN3c108BFloat16ELi2ELi1ELi1EEEJSt4plusIfEEEEvT_T0_DpT1_: ; @_ZN2at6native12_GLOBAL__N_125multi_tensor_apply_kernelINS1_28TensorListScalarListMetadataIfLi2EEENS1_25BinaryOpScalarListFunctorIN3c108BFloat16ELi2ELi1ELi1EEEJSt4plusIfEEEEvT_T0_DpT1_
; %bb.0:
	v_mov_b32_e32 v1, s6
	s_add_u32 s0, s4, s6
	s_mul_hi_u32 s1, s6, 3
	s_mul_i32 s6, s6, 3
	s_addc_u32 s2, s5, 0
	global_load_ubyte v1, v1, s[4:5] offset:1792
	s_add_u32 s0, s0, s6
	s_addc_u32 s1, s2, s1
	s_mov_b32 s15, 0
	s_load_dword s0, s[0:1], 0x840
	s_mov_b32 s17, s15
	s_waitcnt vmcnt(0)
	v_readfirstlane_b32 s1, v1
	v_lshlrev_b32_e32 v1, 2, v1
	s_lshl_b32 s10, s1, 3
	v_sub_co_u32 v1, s1, 0, v1
	v_sub_co_ci_u32_e64 v2, null, 0, 0, s1
	s_waitcnt lgkmcnt(0)
	s_ashr_i32 s1, s0, 31
	s_clause 0x2
	s_load_dwordx2 s[2:3], s[4:5], s10 offset:0x400
	s_load_dwordx2 s[6:7], s[4:5], s10 offset:0x0
	;; [unrolled: 1-line block ×3, first 2 shown]
	s_add_u32 s10, s4, s10
	s_addc_u32 s11, s5, 0
	v_add_co_u32 v1, vcc_lo, s10, v1
	v_add_co_ci_u32_e64 v2, null, s11, v2, vcc_lo
	v_readfirstlane_b32 s10, v1
	v_readfirstlane_b32 s11, v2
	s_load_dword s20, s[10:11], 0x600
	s_lshl_b64 s[10:11], s[0:1], 17
	s_lshl_b64 s[0:1], s[0:1], 16
	s_waitcnt lgkmcnt(0)
	s_add_u32 s12, s6, s10
	s_and_b32 s16, s8, 7
	s_and_b32 s14, s12, 7
	s_sub_u32 s12, s2, s0
	s_subb_u32 s13, s3, s1
	s_and_b32 s0, s2, 3
	s_mov_b32 s1, s15
	s_or_b64 s[0:1], s[16:17], s[0:1]
	s_or_b64 s[0:1], s[0:1], s[14:15]
	s_cmp_eq_u64 s[0:1], 0
	s_mov_b32 s0, -1
	s_cbranch_scc1 .LBB23_21
; %bb.1:
	v_cmp_lt_i64_e64 s0, s[12:13], 1
	s_and_b32 vcc_lo, exec_lo, s0
	s_cbranch_vccnz .LBB23_20
; %bb.2:
	s_load_dword s0, s[4:5], 0xd54
	v_cmp_gt_i64_e64 s1, 0x10000, s[12:13]
	v_lshlrev_b32_e32 v9, 1, v0
	v_cmp_gt_u64_e64 s2, 0x10000, s[12:13]
	v_mov_b32_e32 v10, 0
	v_mov_b32_e32 v23, 0x7fc0
	s_mov_b64 s[18:19], 0
	s_and_b32 s1, s1, exec_lo
	v_add_co_u32 v1, s3, s6, v9
	s_cselect_b32 s15, s13, 0
	s_cselect_b32 s14, s12, 0x10000
	v_add_co_ci_u32_e64 v2, null, s7, 0, s3
	v_add_co_u32 v3, s3, s8, v9
	v_add_co_ci_u32_e64 v4, null, s9, 0, s3
	s_waitcnt lgkmcnt(0)
	s_and_b32 s0, s0, 0xffff
	s_and_b32 s1, s2, exec_lo
	s_cselect_b32 s17, s13, 0
	s_cselect_b32 s16, s12, 0x10000
	s_mul_i32 s2, s0, 3
	s_lshl_b32 s21, s0, 2
	v_mad_u64_u32 v[7:8], null, s0, 6, v[9:10]
	v_add_co_u32 v14, s3, s21, v9
	v_add_co_u32 v9, s2, s2, v0
	v_add_co_ci_u32_e64 v10, null, 0, 0, s2
	v_add_co_u32 v13, s2, v0, s0
	s_lshl_b32 s1, s0, 1
	v_add_co_u32 v5, vcc_lo, s6, v7
	v_lshlrev_b32_e32 v21, 1, v13
	v_add_co_ci_u32_e64 v15, null, 0, 0, s3
	v_add_co_ci_u32_e64 v6, null, s7, v8, vcc_lo
	v_add_co_u32 v7, vcc_lo, s8, v7
	v_add_co_u32 v17, s1, s1, v0
	v_add_co_ci_u32_e64 v8, null, s9, v8, vcc_lo
	v_add_co_u32 v11, vcc_lo, s6, v14
	v_add_co_ci_u32_e64 v18, null, 0, 0, s1
	v_add_co_u32 v19, s1, s6, v21
	v_add_co_ci_u32_e64 v12, null, s7, v15, vcc_lo
	v_add_co_u32 v14, vcc_lo, s8, v14
	v_add_co_ci_u32_e64 v20, null, s7, 0, s1
	v_add_co_u32 v21, s1, s8, v21
	v_add_co_ci_u32_e64 v15, null, s9, v15, vcc_lo
	v_add_co_ci_u32_e64 v16, null, 0, 0, s2
	v_add_co_ci_u32_e64 v22, null, s9, 0, s1
	s_lshl_b32 s22, s0, 3
	s_branch .LBB23_4
.LBB23_3:                               ;   in Loop: Header=BB23_4 Depth=1
	s_or_b32 exec_lo, exec_lo, s0
	v_add_co_u32 v1, vcc_lo, v1, s22
	v_add_co_ci_u32_e64 v2, null, 0, v2, vcc_lo
	v_add_co_u32 v3, vcc_lo, v3, s22
	v_add_co_ci_u32_e64 v4, null, 0, v4, vcc_lo
	;; [unrolled: 2-line block ×4, first 2 shown]
	v_add_co_u32 v11, vcc_lo, v11, s22
	s_add_u32 s18, s18, s21
	v_add_co_ci_u32_e64 v12, null, 0, v12, vcc_lo
	v_add_co_u32 v14, vcc_lo, v14, s22
	s_addc_u32 s19, s19, 0
	v_add_co_ci_u32_e64 v15, null, 0, v15, vcc_lo
	v_add_co_u32 v19, vcc_lo, v19, s22
	v_cmp_lt_i64_e64 s0, s[18:19], s[14:15]
	v_add_co_ci_u32_e64 v20, null, 0, v20, vcc_lo
	v_add_co_u32 v21, vcc_lo, v21, s22
	v_add_co_ci_u32_e64 v22, null, 0, v22, vcc_lo
	s_and_b32 vcc_lo, exec_lo, s0
	s_cbranch_vccz .LBB23_20
.LBB23_4:                               ; =>This Inner Loop Header: Depth=1
	v_add_co_u32 v24, s0, v0, s18
	v_add_co_ci_u32_e64 v25, null, 0, s19, s0
	v_cmp_gt_u64_e32 vcc_lo, s[16:17], v[24:25]
	v_mov_b32_e32 v25, 0
	s_and_saveexec_b32 s1, vcc_lo
	s_cbranch_execz .LBB23_6
; %bb.5:                                ;   in Loop: Header=BB23_4 Depth=1
	v_add_co_u32 v24, s0, v1, s10
	v_add_co_ci_u32_e64 v25, null, s11, v2, s0
	global_load_ushort v24, v[24:25], off
	s_waitcnt vmcnt(0)
	v_lshlrev_b32_e32 v25, 16, v24
.LBB23_6:                               ;   in Loop: Header=BB23_4 Depth=1
	s_or_b32 exec_lo, exec_lo, s1
	v_add_co_u32 v26, s0, v13, s18
	v_add_co_ci_u32_e64 v27, null, s19, v16, s0
	v_mov_b32_e32 v24, 0
	v_cmp_gt_u64_e64 s0, s[16:17], v[26:27]
	v_mov_b32_e32 v26, 0
	s_and_saveexec_b32 s2, s0
	s_cbranch_execz .LBB23_8
; %bb.7:                                ;   in Loop: Header=BB23_4 Depth=1
	v_add_co_u32 v26, s1, v19, s10
	v_add_co_ci_u32_e64 v27, null, s11, v20, s1
	global_load_ushort v26, v[26:27], off
	s_waitcnt vmcnt(0)
	v_lshlrev_b32_e32 v26, 16, v26
.LBB23_8:                               ;   in Loop: Header=BB23_4 Depth=1
	s_or_b32 exec_lo, exec_lo, s2
	v_add_co_u32 v27, s1, v17, s18
	v_add_co_ci_u32_e64 v28, null, s19, v18, s1
	v_cmp_gt_u64_e64 s1, s[16:17], v[27:28]
	s_and_saveexec_b32 s3, s1
	s_cbranch_execz .LBB23_10
; %bb.9:                                ;   in Loop: Header=BB23_4 Depth=1
	v_add_co_u32 v27, s2, v11, s10
	v_add_co_ci_u32_e64 v28, null, s11, v12, s2
	global_load_ushort v24, v[27:28], off
	s_waitcnt vmcnt(0)
	v_lshlrev_b32_e32 v24, 16, v24
.LBB23_10:                              ;   in Loop: Header=BB23_4 Depth=1
	s_or_b32 exec_lo, exec_lo, s3
	v_add_co_u32 v27, s2, v9, s18
	v_add_co_ci_u32_e64 v28, null, s19, v10, s2
	v_cmp_gt_u64_e64 s2, s[16:17], v[27:28]
	v_mov_b32_e32 v27, 0
	s_and_saveexec_b32 s23, s2
	s_cbranch_execnz .LBB23_15
; %bb.11:                               ;   in Loop: Header=BB23_4 Depth=1
	s_or_b32 exec_lo, exec_lo, s23
	s_and_saveexec_b32 s23, vcc_lo
	s_cbranch_execnz .LBB23_16
.LBB23_12:                              ;   in Loop: Header=BB23_4 Depth=1
	s_or_b32 exec_lo, exec_lo, s23
	s_and_saveexec_b32 s3, s0
	s_cbranch_execnz .LBB23_17
.LBB23_13:                              ;   in Loop: Header=BB23_4 Depth=1
	s_or_b32 exec_lo, exec_lo, s3
	s_and_saveexec_b32 s0, s1
	s_cbranch_execnz .LBB23_18
.LBB23_14:                              ;   in Loop: Header=BB23_4 Depth=1
	s_or_b32 exec_lo, exec_lo, s0
	s_and_saveexec_b32 s0, s2
	s_cbranch_execz .LBB23_3
	s_branch .LBB23_19
.LBB23_15:                              ;   in Loop: Header=BB23_4 Depth=1
	v_add_co_u32 v27, s3, v5, s10
	v_add_co_ci_u32_e64 v28, null, s11, v6, s3
	global_load_ushort v27, v[27:28], off
	s_waitcnt vmcnt(0)
	v_lshlrev_b32_e32 v27, 16, v27
	s_or_b32 exec_lo, exec_lo, s23
	s_and_saveexec_b32 s23, vcc_lo
	s_cbranch_execz .LBB23_12
.LBB23_16:                              ;   in Loop: Header=BB23_4 Depth=1
	v_add_f32_e32 v25, s20, v25
	v_bfe_u32 v28, v25, 16, 1
	v_cmp_o_f32_e32 vcc_lo, v25, v25
	v_add3_u32 v25, v25, v28, 0x7fff
	v_add_co_u32 v28, s3, v3, s10
	v_add_co_ci_u32_e64 v29, null, s11, v4, s3
	v_cndmask_b32_sdwa v25, v23, v25, vcc_lo dst_sel:DWORD dst_unused:UNUSED_PAD src0_sel:DWORD src1_sel:WORD_1
	global_store_short v[28:29], v25, off
	s_or_b32 exec_lo, exec_lo, s23
	s_and_saveexec_b32 s3, s0
	s_cbranch_execz .LBB23_13
.LBB23_17:                              ;   in Loop: Header=BB23_4 Depth=1
	v_add_f32_e32 v25, s20, v26
	v_bfe_u32 v26, v25, 16, 1
	v_cmp_o_f32_e32 vcc_lo, v25, v25
	v_add3_u32 v25, v25, v26, 0x7fff
	v_cndmask_b32_sdwa v28, v23, v25, vcc_lo dst_sel:DWORD dst_unused:UNUSED_PAD src0_sel:DWORD src1_sel:WORD_1
	v_add_co_u32 v25, vcc_lo, v21, s10
	v_add_co_ci_u32_e64 v26, null, s11, v22, vcc_lo
	global_store_short v[25:26], v28, off
	s_or_b32 exec_lo, exec_lo, s3
	s_and_saveexec_b32 s0, s1
	s_cbranch_execz .LBB23_14
.LBB23_18:                              ;   in Loop: Header=BB23_4 Depth=1
	v_add_f32_e32 v24, s20, v24
	v_bfe_u32 v25, v24, 16, 1
	v_cmp_o_f32_e32 vcc_lo, v24, v24
	v_add3_u32 v24, v24, v25, 0x7fff
	v_cndmask_b32_sdwa v26, v23, v24, vcc_lo dst_sel:DWORD dst_unused:UNUSED_PAD src0_sel:DWORD src1_sel:WORD_1
	v_add_co_u32 v24, vcc_lo, v14, s10
	v_add_co_ci_u32_e64 v25, null, s11, v15, vcc_lo
	global_store_short v[24:25], v26, off
	s_or_b32 exec_lo, exec_lo, s0
	s_and_saveexec_b32 s0, s2
	s_cbranch_execz .LBB23_3
.LBB23_19:                              ;   in Loop: Header=BB23_4 Depth=1
	v_add_f32_e32 v24, s20, v27
	v_bfe_u32 v25, v24, 16, 1
	v_cmp_o_f32_e32 vcc_lo, v24, v24
	v_add3_u32 v24, v24, v25, 0x7fff
	v_cndmask_b32_sdwa v26, v23, v24, vcc_lo dst_sel:DWORD dst_unused:UNUSED_PAD src0_sel:DWORD src1_sel:WORD_1
	v_add_co_u32 v24, vcc_lo, v7, s10
	v_add_co_ci_u32_e64 v25, null, s11, v8, vcc_lo
	global_store_short v[24:25], v26, off
	s_branch .LBB23_3
.LBB23_20:
	s_mov_b32 s0, 0
.LBB23_21:
	s_andn2_b32 vcc_lo, exec_lo, s0
	s_cbranch_vccnz .LBB23_25
; %bb.22:
	v_cmp_gt_i64_e64 s0, 0x10000, s[12:13]
	v_mov_b32_e32 v2, 0
	v_lshlrev_b32_e32 v1, 2, v0
	s_and_b32 s0, s0, exec_lo
	s_cselect_b32 s3, s13, 0
	s_cselect_b32 s2, s12, 0x10000
	s_mov_b32 s12, 0
	s_mov_b32 s0, exec_lo
	v_cmpx_gt_i64_e64 s[2:3], v[1:2]
	s_cbranch_execz .LBB23_25
; %bb.23:
	s_load_dword s0, s[4:5], 0xd54
	v_lshlrev_b32_e32 v3, 3, v0
	v_mov_b32_e32 v1, v2
	v_add_co_u32 v2, s1, s10, v3
	v_add_co_ci_u32_e64 v3, null, s11, 0, s1
	s_waitcnt lgkmcnt(0)
	s_and_b32 s4, s0, 0xffff
	s_lshl_b32 s5, s4, 3
.LBB23_24:                              ; =>This Inner Loop Header: Depth=1
	v_add_co_u32 v4, vcc_lo, s6, v2
	v_add_co_ci_u32_e64 v5, null, s7, v3, vcc_lo
	v_add_co_u32 v0, vcc_lo, v0, s4
	v_add_co_ci_u32_e64 v1, null, 0, v1, vcc_lo
	global_load_dwordx2 v[4:5], v[4:5], off
	v_add_co_u32 v6, vcc_lo, s8, v2
	v_add_co_ci_u32_e64 v7, null, s9, v3, vcc_lo
	v_lshlrev_b64 v[8:9], 2, v[0:1]
	s_waitcnt vmcnt(0)
	v_lshlrev_b32_e32 v10, 16, v4
	v_and_b32_e32 v11, 0xffff0000, v4
	v_alignbit_b32 v4, v5, v4, 16
	v_and_b32_e32 v5, 0xffff0000, v5
	v_add_f32_e32 v10, s20, v10
	v_add_f32_e32 v11, s20, v11
	v_and_b32_e32 v4, 0xffff0000, v4
	v_add_f32_e32 v5, s20, v5
	v_bfe_u32 v12, v10, 16, 1
	v_bfe_u32 v13, v11, 16, 1
	v_add_f32_e32 v4, s20, v4
	v_bfe_u32 v14, v5, 16, 1
	v_cmp_o_f32_e32 vcc_lo, v5, v5
	v_add3_u32 v12, v10, v12, 0x7fff
	v_add3_u32 v13, v11, v13, 0x7fff
	v_bfe_u32 v15, v4, 16, 1
	v_add3_u32 v14, v5, v14, 0x7fff
	v_cmp_o_f32_e64 s0, v11, v11
	v_lshrrev_b32_e32 v12, 16, v12
	v_and_b32_e32 v13, 0xffff0000, v13
	v_add3_u32 v15, v4, v15, 0x7fff
	v_and_b32_e32 v14, 0xffff0000, v14
	v_cmp_o_f32_e64 s1, v10, v10
	v_cndmask_b32_e64 v10, 0x7fc00000, v13, s0
	v_lshrrev_b32_e32 v5, 16, v15
	v_cmp_le_i64_e64 s0, s[2:3], v[8:9]
	v_cndmask_b32_e64 v11, 0x7fc0, v12, s1
	v_cndmask_b32_e32 v12, 0x7fc00000, v14, vcc_lo
	v_cmp_o_f32_e32 vcc_lo, v4, v4
	v_or_b32_e32 v10, v11, v10
	s_or_b32 s12, s0, s12
	v_cndmask_b32_e32 v4, 0x7fc0, v5, vcc_lo
	v_add_co_u32 v2, vcc_lo, v2, s5
	v_add_co_ci_u32_e64 v3, null, 0, v3, vcc_lo
	v_or3_b32 v5, 0, v4, v12
	v_or3_b32 v4, v10, 0, 0
	global_store_dwordx2 v[6:7], v[4:5], off
	s_andn2_b32 exec_lo, exec_lo, s12
	s_cbranch_execnz .LBB23_24
.LBB23_25:
	s_endpgm
	.section	.rodata,"a",@progbits
	.p2align	6, 0x0
	.amdhsa_kernel _ZN2at6native12_GLOBAL__N_125multi_tensor_apply_kernelINS1_28TensorListScalarListMetadataIfLi2EEENS1_25BinaryOpScalarListFunctorIN3c108BFloat16ELi2ELi1ELi1EEEJSt4plusIfEEEEvT_T0_DpT1_
		.amdhsa_group_segment_fixed_size 0
		.amdhsa_private_segment_fixed_size 0
		.amdhsa_kernarg_size 3656
		.amdhsa_user_sgpr_count 6
		.amdhsa_user_sgpr_private_segment_buffer 1
		.amdhsa_user_sgpr_dispatch_ptr 0
		.amdhsa_user_sgpr_queue_ptr 0
		.amdhsa_user_sgpr_kernarg_segment_ptr 1
		.amdhsa_user_sgpr_dispatch_id 0
		.amdhsa_user_sgpr_flat_scratch_init 0
		.amdhsa_user_sgpr_private_segment_size 0
		.amdhsa_wavefront_size32 1
		.amdhsa_uses_dynamic_stack 0
		.amdhsa_system_sgpr_private_segment_wavefront_offset 0
		.amdhsa_system_sgpr_workgroup_id_x 1
		.amdhsa_system_sgpr_workgroup_id_y 0
		.amdhsa_system_sgpr_workgroup_id_z 0
		.amdhsa_system_sgpr_workgroup_info 0
		.amdhsa_system_vgpr_workitem_id 0
		.amdhsa_next_free_vgpr 30
		.amdhsa_next_free_sgpr 24
		.amdhsa_reserve_vcc 1
		.amdhsa_reserve_flat_scratch 0
		.amdhsa_float_round_mode_32 0
		.amdhsa_float_round_mode_16_64 0
		.amdhsa_float_denorm_mode_32 3
		.amdhsa_float_denorm_mode_16_64 3
		.amdhsa_dx10_clamp 1
		.amdhsa_ieee_mode 1
		.amdhsa_fp16_overflow 0
		.amdhsa_workgroup_processor_mode 1
		.amdhsa_memory_ordered 1
		.amdhsa_forward_progress 1
		.amdhsa_shared_vgpr_count 0
		.amdhsa_exception_fp_ieee_invalid_op 0
		.amdhsa_exception_fp_denorm_src 0
		.amdhsa_exception_fp_ieee_div_zero 0
		.amdhsa_exception_fp_ieee_overflow 0
		.amdhsa_exception_fp_ieee_underflow 0
		.amdhsa_exception_fp_ieee_inexact 0
		.amdhsa_exception_int_div_zero 0
	.end_amdhsa_kernel
	.section	.text._ZN2at6native12_GLOBAL__N_125multi_tensor_apply_kernelINS1_28TensorListScalarListMetadataIfLi2EEENS1_25BinaryOpScalarListFunctorIN3c108BFloat16ELi2ELi1ELi1EEEJSt4plusIfEEEEvT_T0_DpT1_,"axG",@progbits,_ZN2at6native12_GLOBAL__N_125multi_tensor_apply_kernelINS1_28TensorListScalarListMetadataIfLi2EEENS1_25BinaryOpScalarListFunctorIN3c108BFloat16ELi2ELi1ELi1EEEJSt4plusIfEEEEvT_T0_DpT1_,comdat
.Lfunc_end23:
	.size	_ZN2at6native12_GLOBAL__N_125multi_tensor_apply_kernelINS1_28TensorListScalarListMetadataIfLi2EEENS1_25BinaryOpScalarListFunctorIN3c108BFloat16ELi2ELi1ELi1EEEJSt4plusIfEEEEvT_T0_DpT1_, .Lfunc_end23-_ZN2at6native12_GLOBAL__N_125multi_tensor_apply_kernelINS1_28TensorListScalarListMetadataIfLi2EEENS1_25BinaryOpScalarListFunctorIN3c108BFloat16ELi2ELi1ELi1EEEJSt4plusIfEEEEvT_T0_DpT1_
                                        ; -- End function
	.set _ZN2at6native12_GLOBAL__N_125multi_tensor_apply_kernelINS1_28TensorListScalarListMetadataIfLi2EEENS1_25BinaryOpScalarListFunctorIN3c108BFloat16ELi2ELi1ELi1EEEJSt4plusIfEEEEvT_T0_DpT1_.num_vgpr, 30
	.set _ZN2at6native12_GLOBAL__N_125multi_tensor_apply_kernelINS1_28TensorListScalarListMetadataIfLi2EEENS1_25BinaryOpScalarListFunctorIN3c108BFloat16ELi2ELi1ELi1EEEJSt4plusIfEEEEvT_T0_DpT1_.num_agpr, 0
	.set _ZN2at6native12_GLOBAL__N_125multi_tensor_apply_kernelINS1_28TensorListScalarListMetadataIfLi2EEENS1_25BinaryOpScalarListFunctorIN3c108BFloat16ELi2ELi1ELi1EEEJSt4plusIfEEEEvT_T0_DpT1_.numbered_sgpr, 24
	.set _ZN2at6native12_GLOBAL__N_125multi_tensor_apply_kernelINS1_28TensorListScalarListMetadataIfLi2EEENS1_25BinaryOpScalarListFunctorIN3c108BFloat16ELi2ELi1ELi1EEEJSt4plusIfEEEEvT_T0_DpT1_.num_named_barrier, 0
	.set _ZN2at6native12_GLOBAL__N_125multi_tensor_apply_kernelINS1_28TensorListScalarListMetadataIfLi2EEENS1_25BinaryOpScalarListFunctorIN3c108BFloat16ELi2ELi1ELi1EEEJSt4plusIfEEEEvT_T0_DpT1_.private_seg_size, 0
	.set _ZN2at6native12_GLOBAL__N_125multi_tensor_apply_kernelINS1_28TensorListScalarListMetadataIfLi2EEENS1_25BinaryOpScalarListFunctorIN3c108BFloat16ELi2ELi1ELi1EEEJSt4plusIfEEEEvT_T0_DpT1_.uses_vcc, 1
	.set _ZN2at6native12_GLOBAL__N_125multi_tensor_apply_kernelINS1_28TensorListScalarListMetadataIfLi2EEENS1_25BinaryOpScalarListFunctorIN3c108BFloat16ELi2ELi1ELi1EEEJSt4plusIfEEEEvT_T0_DpT1_.uses_flat_scratch, 0
	.set _ZN2at6native12_GLOBAL__N_125multi_tensor_apply_kernelINS1_28TensorListScalarListMetadataIfLi2EEENS1_25BinaryOpScalarListFunctorIN3c108BFloat16ELi2ELi1ELi1EEEJSt4plusIfEEEEvT_T0_DpT1_.has_dyn_sized_stack, 0
	.set _ZN2at6native12_GLOBAL__N_125multi_tensor_apply_kernelINS1_28TensorListScalarListMetadataIfLi2EEENS1_25BinaryOpScalarListFunctorIN3c108BFloat16ELi2ELi1ELi1EEEJSt4plusIfEEEEvT_T0_DpT1_.has_recursion, 0
	.set _ZN2at6native12_GLOBAL__N_125multi_tensor_apply_kernelINS1_28TensorListScalarListMetadataIfLi2EEENS1_25BinaryOpScalarListFunctorIN3c108BFloat16ELi2ELi1ELi1EEEJSt4plusIfEEEEvT_T0_DpT1_.has_indirect_call, 0
	.section	.AMDGPU.csdata,"",@progbits
; Kernel info:
; codeLenInByte = 1808
; TotalNumSgprs: 26
; NumVgprs: 30
; ScratchSize: 0
; MemoryBound: 0
; FloatMode: 240
; IeeeMode: 1
; LDSByteSize: 0 bytes/workgroup (compile time only)
; SGPRBlocks: 0
; VGPRBlocks: 3
; NumSGPRsForWavesPerEU: 26
; NumVGPRsForWavesPerEU: 30
; Occupancy: 16
; WaveLimiterHint : 0
; COMPUTE_PGM_RSRC2:SCRATCH_EN: 0
; COMPUTE_PGM_RSRC2:USER_SGPR: 6
; COMPUTE_PGM_RSRC2:TRAP_HANDLER: 0
; COMPUTE_PGM_RSRC2:TGID_X_EN: 1
; COMPUTE_PGM_RSRC2:TGID_Y_EN: 0
; COMPUTE_PGM_RSRC2:TGID_Z_EN: 0
; COMPUTE_PGM_RSRC2:TIDIG_COMP_CNT: 0
	.section	.text._ZN2at6native12_GLOBAL__N_125multi_tensor_apply_kernelINS1_28TensorListScalarListMetadataIhLi1EEENS1_25BinaryOpScalarListFunctorIhLi1ELi1ELi0EEEJSt10multipliesIhEEEEvT_T0_DpT1_,"axG",@progbits,_ZN2at6native12_GLOBAL__N_125multi_tensor_apply_kernelINS1_28TensorListScalarListMetadataIhLi1EEENS1_25BinaryOpScalarListFunctorIhLi1ELi1ELi0EEEJSt10multipliesIhEEEEvT_T0_DpT1_,comdat
	.globl	_ZN2at6native12_GLOBAL__N_125multi_tensor_apply_kernelINS1_28TensorListScalarListMetadataIhLi1EEENS1_25BinaryOpScalarListFunctorIhLi1ELi1ELi0EEEJSt10multipliesIhEEEEvT_T0_DpT1_ ; -- Begin function _ZN2at6native12_GLOBAL__N_125multi_tensor_apply_kernelINS1_28TensorListScalarListMetadataIhLi1EEENS1_25BinaryOpScalarListFunctorIhLi1ELi1ELi0EEEJSt10multipliesIhEEEEvT_T0_DpT1_
	.p2align	8
	.type	_ZN2at6native12_GLOBAL__N_125multi_tensor_apply_kernelINS1_28TensorListScalarListMetadataIhLi1EEENS1_25BinaryOpScalarListFunctorIhLi1ELi1ELi0EEEJSt10multipliesIhEEEEvT_T0_DpT1_,@function
_ZN2at6native12_GLOBAL__N_125multi_tensor_apply_kernelINS1_28TensorListScalarListMetadataIhLi1EEENS1_25BinaryOpScalarListFunctorIhLi1ELi1ELi0EEEJSt10multipliesIhEEEEvT_T0_DpT1_: ; @_ZN2at6native12_GLOBAL__N_125multi_tensor_apply_kernelINS1_28TensorListScalarListMetadataIhLi1EEENS1_25BinaryOpScalarListFunctorIhLi1ELi1ELi0EEEJSt10multipliesIhEEEEvT_T0_DpT1_
; %bb.0:
	v_mov_b32_e32 v1, s6
	s_mul_i32 s2, s6, 3
	s_mul_hi_u32 s3, s6, 3
	global_load_ubyte v3, v1, s[4:5] offset:1632
	s_waitcnt vmcnt(0)
	v_add_co_u32 v1, s0, s4, v3
	v_add_co_ci_u32_e64 v2, null, s5, 0, s0
	s_add_u32 s0, s4, s6
	s_addc_u32 s1, s5, 0
	s_add_u32 s0, s0, s2
	global_load_ubyte v4, v[1:2], off offset:1536
	v_readfirstlane_b32 s2, v3
	s_addc_u32 s1, s1, s3
	s_load_dword s0, s[0:1], 0x7a0
	s_lshl_b32 s1, s2, 3
	s_clause 0x1
	s_load_dwordx2 s[2:3], s[4:5], s1 offset:0x300
	s_load_dwordx2 s[6:7], s[4:5], s1 offset:0x0
	s_waitcnt lgkmcnt(0)
	s_ashr_i32 s1, s0, 31
	s_lshl_b64 s[8:9], s[0:1], 16
	s_sub_u32 s10, s2, s8
	s_subb_u32 s11, s3, s9
	s_or_b32 s0, s2, s6
	s_and_b32 s0, s0, 3
	s_cmp_eq_u32 s0, 0
	s_cbranch_scc1 .LBB24_21
; %bb.1:
	v_cmp_lt_i64_e64 s0, s[10:11], 1
	s_and_b32 vcc_lo, exec_lo, s0
	s_cbranch_vccnz .LBB24_20
; %bb.2:
	s_load_dword s0, s[4:5], 0xcb4
	v_cmp_gt_i64_e64 s1, 0x10000, s[10:11]
	v_add_co_u32 v12, s2, s8, v0
	v_add_co_ci_u32_e64 v13, null, s9, 0, s2
	v_cmp_gt_u64_e64 s2, 0x10000, s[10:11]
	s_and_b32 s1, s1, exec_lo
	s_cselect_b32 s13, s11, 0
	s_cselect_b32 s12, s10, 0x10000
	v_add_co_u32 v1, vcc_lo, s6, v12
	v_add_co_ci_u32_e64 v2, null, s7, v13, vcc_lo
	s_waitcnt lgkmcnt(0)
	s_and_b32 s0, s0, 0xffff
	s_and_b32 s1, s2, exec_lo
	s_mul_i32 s2, s0, 3
	s_cselect_b32 s15, s11, 0
	s_cselect_b32 s14, s10, 0x10000
	s_lshl_b32 s1, s0, 1
	s_lshl_b32 s18, s0, 2
	s_add_u32 s3, s8, s2
	s_addc_u32 s16, s9, 0
	s_add_u32 s3, s6, s3
	v_add_co_u32 v6, s2, s2, v0
	s_addc_u32 s16, s7, s16
	v_add_co_u32 v3, s3, s3, v0
	v_add_co_ci_u32_e64 v7, null, 0, 0, s2
	s_add_u32 s2, s8, s1
	v_add_co_ci_u32_e64 v5, null, s16, 0, s3
	s_addc_u32 s3, s9, 0
	s_add_u32 s2, s6, s2
	v_add_co_u32 v10, s1, s1, v0
	s_addc_u32 s3, s7, s3
	v_add_co_u32 v8, s2, s2, v0
	v_add_co_ci_u32_e64 v11, null, 0, 0, s1
	s_add_u32 s1, s6, s0
	v_add_co_ci_u32_e64 v9, null, s3, 0, s2
	s_addc_u32 s2, s7, 0
	v_add_co_u32 v12, vcc_lo, s1, v12
	v_add_co_u32 v14, s0, v0, s0
	v_add_co_ci_u32_e64 v13, null, s2, v13, vcc_lo
	v_add_co_ci_u32_e64 v15, null, 0, 0, s0
	s_mov_b64 s[16:17], 0
	s_branch .LBB24_4
.LBB24_3:                               ;   in Loop: Header=BB24_4 Depth=1
	s_or_b32 exec_lo, exec_lo, s0
	s_add_u32 s16, s16, s18
	s_addc_u32 s17, s17, 0
	v_cmp_lt_i64_e64 s0, s[16:17], s[12:13]
	s_and_b32 vcc_lo, exec_lo, s0
	s_cbranch_vccz .LBB24_20
.LBB24_4:                               ; =>This Inner Loop Header: Depth=1
	s_waitcnt vmcnt(0)
	v_add_co_u32 v16, s0, v0, s16
	v_add_co_ci_u32_e64 v17, null, 0, s17, s0
	v_cmp_gt_u64_e32 vcc_lo, s[14:15], v[16:17]
	v_mov_b32_e32 v17, 0
	s_and_saveexec_b32 s1, vcc_lo
	s_cbranch_execz .LBB24_6
; %bb.5:                                ;   in Loop: Header=BB24_4 Depth=1
	v_add_co_u32 v16, s0, v1, s16
	v_add_co_ci_u32_e64 v17, null, s17, v2, s0
	global_load_ubyte v17, v[16:17], off
.LBB24_6:                               ;   in Loop: Header=BB24_4 Depth=1
	s_or_b32 exec_lo, exec_lo, s1
	v_add_co_u32 v18, s0, v14, s16
	v_add_co_ci_u32_e64 v19, null, s17, v15, s0
	v_mov_b32_e32 v16, 0
	v_cmp_gt_u64_e64 s0, s[14:15], v[18:19]
	v_mov_b32_e32 v18, 0
	s_and_saveexec_b32 s2, s0
	s_cbranch_execz .LBB24_8
; %bb.7:                                ;   in Loop: Header=BB24_4 Depth=1
	v_add_co_u32 v18, s1, v12, s16
	v_add_co_ci_u32_e64 v19, null, s17, v13, s1
	global_load_ubyte v18, v[18:19], off
.LBB24_8:                               ;   in Loop: Header=BB24_4 Depth=1
	s_or_b32 exec_lo, exec_lo, s2
	v_add_co_u32 v19, s1, v10, s16
	v_add_co_ci_u32_e64 v20, null, s17, v11, s1
	v_cmp_gt_u64_e64 s1, s[14:15], v[19:20]
	s_and_saveexec_b32 s3, s1
	s_cbranch_execz .LBB24_10
; %bb.9:                                ;   in Loop: Header=BB24_4 Depth=1
	v_add_co_u32 v19, s2, v8, s16
	v_add_co_ci_u32_e64 v20, null, s17, v9, s2
	global_load_ubyte v16, v[19:20], off
.LBB24_10:                              ;   in Loop: Header=BB24_4 Depth=1
	s_or_b32 exec_lo, exec_lo, s3
	v_add_co_u32 v19, s2, v6, s16
	v_add_co_ci_u32_e64 v20, null, s17, v7, s2
	v_cmp_gt_u64_e64 s2, s[14:15], v[19:20]
	v_mov_b32_e32 v19, 0
	s_and_saveexec_b32 s19, s2
	s_cbranch_execnz .LBB24_15
; %bb.11:                               ;   in Loop: Header=BB24_4 Depth=1
	s_or_b32 exec_lo, exec_lo, s19
	s_and_saveexec_b32 s3, vcc_lo
	s_cbranch_execnz .LBB24_16
.LBB24_12:                              ;   in Loop: Header=BB24_4 Depth=1
	s_or_b32 exec_lo, exec_lo, s3
	s_and_saveexec_b32 s3, s0
	s_cbranch_execnz .LBB24_17
.LBB24_13:                              ;   in Loop: Header=BB24_4 Depth=1
	s_or_b32 exec_lo, exec_lo, s3
	s_and_saveexec_b32 s0, s1
	s_cbranch_execnz .LBB24_18
.LBB24_14:                              ;   in Loop: Header=BB24_4 Depth=1
	s_or_b32 exec_lo, exec_lo, s0
	s_and_saveexec_b32 s0, s2
	s_cbranch_execz .LBB24_3
	s_branch .LBB24_19
.LBB24_15:                              ;   in Loop: Header=BB24_4 Depth=1
	v_add_co_u32 v19, s3, v3, s16
	v_add_co_ci_u32_e64 v20, null, s17, v5, s3
	global_load_ubyte v19, v[19:20], off
	s_or_b32 exec_lo, exec_lo, s19
	s_and_saveexec_b32 s3, vcc_lo
	s_cbranch_execz .LBB24_12
.LBB24_16:                              ;   in Loop: Header=BB24_4 Depth=1
	v_add_co_u32 v20, vcc_lo, v1, s16
	s_waitcnt vmcnt(0)
	v_mul_lo_u16 v17, v17, v4
	v_add_co_ci_u32_e64 v21, null, s17, v2, vcc_lo
	global_store_byte v[20:21], v17, off
	s_or_b32 exec_lo, exec_lo, s3
	s_and_saveexec_b32 s3, s0
	s_cbranch_execz .LBB24_13
.LBB24_17:                              ;   in Loop: Header=BB24_4 Depth=1
	s_waitcnt vmcnt(0)
	v_add_co_u32 v17, vcc_lo, v12, s16
	v_mul_lo_u16 v20, v18, v4
	v_add_co_ci_u32_e64 v18, null, s17, v13, vcc_lo
	global_store_byte v[17:18], v20, off
	s_or_b32 exec_lo, exec_lo, s3
	s_and_saveexec_b32 s0, s1
	s_cbranch_execz .LBB24_14
.LBB24_18:                              ;   in Loop: Header=BB24_4 Depth=1
	s_waitcnt vmcnt(0)
	v_mul_lo_u16 v18, v16, v4
	v_add_co_u32 v16, vcc_lo, v8, s16
	v_add_co_ci_u32_e64 v17, null, s17, v9, vcc_lo
	global_store_byte v[16:17], v18, off
	s_or_b32 exec_lo, exec_lo, s0
	s_and_saveexec_b32 s0, s2
	s_cbranch_execz .LBB24_3
.LBB24_19:                              ;   in Loop: Header=BB24_4 Depth=1
	s_waitcnt vmcnt(0)
	v_add_co_u32 v16, vcc_lo, v3, s16
	v_mul_lo_u16 v18, v19, v4
	v_add_co_ci_u32_e64 v17, null, s17, v5, vcc_lo
	global_store_byte v[16:17], v18, off
	s_branch .LBB24_3
.LBB24_20:
	s_cbranch_execz .LBB24_22
	s_branch .LBB24_25
.LBB24_21:
.LBB24_22:
	v_cmp_gt_i64_e64 s0, 0x10000, s[10:11]
	v_mov_b32_e32 v3, 0
	v_lshlrev_b32_e32 v2, 2, v0
	s_mov_b32 s1, 0
	s_and_b32 s0, s0, exec_lo
	s_cselect_b32 s3, s11, 0
	s_cselect_b32 s2, s10, 0x10000
	s_mov_b32 s0, exec_lo
	v_cmpx_gt_i64_e64 s[2:3], v[2:3]
	s_cbranch_execz .LBB24_25
; %bb.23:
	s_load_dword s0, s[4:5], 0xcb4
	v_mov_b32_e32 v1, v3
	s_waitcnt lgkmcnt(0)
	s_and_b32 s4, s0, 0xffff
	s_add_u32 s0, s6, s8
	s_addc_u32 s5, s7, s9
	v_add_co_u32 v2, s0, s0, v2
	v_add_co_ci_u32_e64 v3, null, s5, 0, s0
	s_lshl_b32 s5, s4, 2
	s_inst_prefetch 0x1
	.p2align	6
.LBB24_24:                              ; =>This Inner Loop Header: Depth=1
	global_load_dword v5, v[2:3], off
	v_add_co_u32 v0, vcc_lo, v0, s4
	v_add_co_ci_u32_e64 v1, null, 0, v1, vcc_lo
	s_waitcnt vmcnt(0)
	v_lshrrev_b32_e32 v6, 8, v5
	v_lshrrev_b32_e32 v7, 24, v5
	;; [unrolled: 1-line block ×3, first 2 shown]
	v_mul_lo_u16 v5, v4, v5
	v_mul_lo_u16 v6, v4, v6
	;; [unrolled: 1-line block ×4, first 2 shown]
	v_lshlrev_b16 v6, 8, v6
	v_lshlrev_b16 v7, 8, v7
	v_or_b32_sdwa v9, v5, v6 dst_sel:DWORD dst_unused:UNUSED_PAD src0_sel:BYTE_0 src1_sel:DWORD
	v_or_b32_sdwa v7, v8, v7 dst_sel:WORD_1 dst_unused:UNUSED_PAD src0_sel:BYTE_0 src1_sel:DWORD
	v_lshlrev_b64 v[5:6], 2, v[0:1]
	v_or_b32_sdwa v7, v9, v7 dst_sel:DWORD dst_unused:UNUSED_PAD src0_sel:WORD_0 src1_sel:DWORD
	v_cmp_le_i64_e32 vcc_lo, s[2:3], v[5:6]
	global_store_dword v[2:3], v7, off
	v_add_co_u32 v2, s0, v2, s5
	v_add_co_ci_u32_e64 v3, null, 0, v3, s0
	s_or_b32 s1, vcc_lo, s1
	s_andn2_b32 exec_lo, exec_lo, s1
	s_cbranch_execnz .LBB24_24
.LBB24_25:
	s_inst_prefetch 0x2
	s_endpgm
	.section	.rodata,"a",@progbits
	.p2align	6, 0x0
	.amdhsa_kernel _ZN2at6native12_GLOBAL__N_125multi_tensor_apply_kernelINS1_28TensorListScalarListMetadataIhLi1EEENS1_25BinaryOpScalarListFunctorIhLi1ELi1ELi0EEEJSt10multipliesIhEEEEvT_T0_DpT1_
		.amdhsa_group_segment_fixed_size 0
		.amdhsa_private_segment_fixed_size 0
		.amdhsa_kernarg_size 3496
		.amdhsa_user_sgpr_count 6
		.amdhsa_user_sgpr_private_segment_buffer 1
		.amdhsa_user_sgpr_dispatch_ptr 0
		.amdhsa_user_sgpr_queue_ptr 0
		.amdhsa_user_sgpr_kernarg_segment_ptr 1
		.amdhsa_user_sgpr_dispatch_id 0
		.amdhsa_user_sgpr_flat_scratch_init 0
		.amdhsa_user_sgpr_private_segment_size 0
		.amdhsa_wavefront_size32 1
		.amdhsa_uses_dynamic_stack 0
		.amdhsa_system_sgpr_private_segment_wavefront_offset 0
		.amdhsa_system_sgpr_workgroup_id_x 1
		.amdhsa_system_sgpr_workgroup_id_y 0
		.amdhsa_system_sgpr_workgroup_id_z 0
		.amdhsa_system_sgpr_workgroup_info 0
		.amdhsa_system_vgpr_workitem_id 0
		.amdhsa_next_free_vgpr 22
		.amdhsa_next_free_sgpr 20
		.amdhsa_reserve_vcc 1
		.amdhsa_reserve_flat_scratch 0
		.amdhsa_float_round_mode_32 0
		.amdhsa_float_round_mode_16_64 0
		.amdhsa_float_denorm_mode_32 3
		.amdhsa_float_denorm_mode_16_64 3
		.amdhsa_dx10_clamp 1
		.amdhsa_ieee_mode 1
		.amdhsa_fp16_overflow 0
		.amdhsa_workgroup_processor_mode 1
		.amdhsa_memory_ordered 1
		.amdhsa_forward_progress 1
		.amdhsa_shared_vgpr_count 0
		.amdhsa_exception_fp_ieee_invalid_op 0
		.amdhsa_exception_fp_denorm_src 0
		.amdhsa_exception_fp_ieee_div_zero 0
		.amdhsa_exception_fp_ieee_overflow 0
		.amdhsa_exception_fp_ieee_underflow 0
		.amdhsa_exception_fp_ieee_inexact 0
		.amdhsa_exception_int_div_zero 0
	.end_amdhsa_kernel
	.section	.text._ZN2at6native12_GLOBAL__N_125multi_tensor_apply_kernelINS1_28TensorListScalarListMetadataIhLi1EEENS1_25BinaryOpScalarListFunctorIhLi1ELi1ELi0EEEJSt10multipliesIhEEEEvT_T0_DpT1_,"axG",@progbits,_ZN2at6native12_GLOBAL__N_125multi_tensor_apply_kernelINS1_28TensorListScalarListMetadataIhLi1EEENS1_25BinaryOpScalarListFunctorIhLi1ELi1ELi0EEEJSt10multipliesIhEEEEvT_T0_DpT1_,comdat
.Lfunc_end24:
	.size	_ZN2at6native12_GLOBAL__N_125multi_tensor_apply_kernelINS1_28TensorListScalarListMetadataIhLi1EEENS1_25BinaryOpScalarListFunctorIhLi1ELi1ELi0EEEJSt10multipliesIhEEEEvT_T0_DpT1_, .Lfunc_end24-_ZN2at6native12_GLOBAL__N_125multi_tensor_apply_kernelINS1_28TensorListScalarListMetadataIhLi1EEENS1_25BinaryOpScalarListFunctorIhLi1ELi1ELi0EEEJSt10multipliesIhEEEEvT_T0_DpT1_
                                        ; -- End function
	.set _ZN2at6native12_GLOBAL__N_125multi_tensor_apply_kernelINS1_28TensorListScalarListMetadataIhLi1EEENS1_25BinaryOpScalarListFunctorIhLi1ELi1ELi0EEEJSt10multipliesIhEEEEvT_T0_DpT1_.num_vgpr, 22
	.set _ZN2at6native12_GLOBAL__N_125multi_tensor_apply_kernelINS1_28TensorListScalarListMetadataIhLi1EEENS1_25BinaryOpScalarListFunctorIhLi1ELi1ELi0EEEJSt10multipliesIhEEEEvT_T0_DpT1_.num_agpr, 0
	.set _ZN2at6native12_GLOBAL__N_125multi_tensor_apply_kernelINS1_28TensorListScalarListMetadataIhLi1EEENS1_25BinaryOpScalarListFunctorIhLi1ELi1ELi0EEEJSt10multipliesIhEEEEvT_T0_DpT1_.numbered_sgpr, 20
	.set _ZN2at6native12_GLOBAL__N_125multi_tensor_apply_kernelINS1_28TensorListScalarListMetadataIhLi1EEENS1_25BinaryOpScalarListFunctorIhLi1ELi1ELi0EEEJSt10multipliesIhEEEEvT_T0_DpT1_.num_named_barrier, 0
	.set _ZN2at6native12_GLOBAL__N_125multi_tensor_apply_kernelINS1_28TensorListScalarListMetadataIhLi1EEENS1_25BinaryOpScalarListFunctorIhLi1ELi1ELi0EEEJSt10multipliesIhEEEEvT_T0_DpT1_.private_seg_size, 0
	.set _ZN2at6native12_GLOBAL__N_125multi_tensor_apply_kernelINS1_28TensorListScalarListMetadataIhLi1EEENS1_25BinaryOpScalarListFunctorIhLi1ELi1ELi0EEEJSt10multipliesIhEEEEvT_T0_DpT1_.uses_vcc, 1
	.set _ZN2at6native12_GLOBAL__N_125multi_tensor_apply_kernelINS1_28TensorListScalarListMetadataIhLi1EEENS1_25BinaryOpScalarListFunctorIhLi1ELi1ELi0EEEJSt10multipliesIhEEEEvT_T0_DpT1_.uses_flat_scratch, 0
	.set _ZN2at6native12_GLOBAL__N_125multi_tensor_apply_kernelINS1_28TensorListScalarListMetadataIhLi1EEENS1_25BinaryOpScalarListFunctorIhLi1ELi1ELi0EEEJSt10multipliesIhEEEEvT_T0_DpT1_.has_dyn_sized_stack, 0
	.set _ZN2at6native12_GLOBAL__N_125multi_tensor_apply_kernelINS1_28TensorListScalarListMetadataIhLi1EEENS1_25BinaryOpScalarListFunctorIhLi1ELi1ELi0EEEJSt10multipliesIhEEEEvT_T0_DpT1_.has_recursion, 0
	.set _ZN2at6native12_GLOBAL__N_125multi_tensor_apply_kernelINS1_28TensorListScalarListMetadataIhLi1EEENS1_25BinaryOpScalarListFunctorIhLi1ELi1ELi0EEEJSt10multipliesIhEEEEvT_T0_DpT1_.has_indirect_call, 0
	.section	.AMDGPU.csdata,"",@progbits
; Kernel info:
; codeLenInByte = 1256
; TotalNumSgprs: 22
; NumVgprs: 22
; ScratchSize: 0
; MemoryBound: 0
; FloatMode: 240
; IeeeMode: 1
; LDSByteSize: 0 bytes/workgroup (compile time only)
; SGPRBlocks: 0
; VGPRBlocks: 2
; NumSGPRsForWavesPerEU: 22
; NumVGPRsForWavesPerEU: 22
; Occupancy: 16
; WaveLimiterHint : 0
; COMPUTE_PGM_RSRC2:SCRATCH_EN: 0
; COMPUTE_PGM_RSRC2:USER_SGPR: 6
; COMPUTE_PGM_RSRC2:TRAP_HANDLER: 0
; COMPUTE_PGM_RSRC2:TGID_X_EN: 1
; COMPUTE_PGM_RSRC2:TGID_Y_EN: 0
; COMPUTE_PGM_RSRC2:TGID_Z_EN: 0
; COMPUTE_PGM_RSRC2:TIDIG_COMP_CNT: 0
	.section	.text._ZN2at6native12_GLOBAL__N_125multi_tensor_apply_kernelINS1_28TensorListScalarListMetadataIaLi1EEENS1_25BinaryOpScalarListFunctorIaLi1ELi1ELi0EEEJSt10multipliesIaEEEEvT_T0_DpT1_,"axG",@progbits,_ZN2at6native12_GLOBAL__N_125multi_tensor_apply_kernelINS1_28TensorListScalarListMetadataIaLi1EEENS1_25BinaryOpScalarListFunctorIaLi1ELi1ELi0EEEJSt10multipliesIaEEEEvT_T0_DpT1_,comdat
	.globl	_ZN2at6native12_GLOBAL__N_125multi_tensor_apply_kernelINS1_28TensorListScalarListMetadataIaLi1EEENS1_25BinaryOpScalarListFunctorIaLi1ELi1ELi0EEEJSt10multipliesIaEEEEvT_T0_DpT1_ ; -- Begin function _ZN2at6native12_GLOBAL__N_125multi_tensor_apply_kernelINS1_28TensorListScalarListMetadataIaLi1EEENS1_25BinaryOpScalarListFunctorIaLi1ELi1ELi0EEEJSt10multipliesIaEEEEvT_T0_DpT1_
	.p2align	8
	.type	_ZN2at6native12_GLOBAL__N_125multi_tensor_apply_kernelINS1_28TensorListScalarListMetadataIaLi1EEENS1_25BinaryOpScalarListFunctorIaLi1ELi1ELi0EEEJSt10multipliesIaEEEEvT_T0_DpT1_,@function
_ZN2at6native12_GLOBAL__N_125multi_tensor_apply_kernelINS1_28TensorListScalarListMetadataIaLi1EEENS1_25BinaryOpScalarListFunctorIaLi1ELi1ELi0EEEJSt10multipliesIaEEEEvT_T0_DpT1_: ; @_ZN2at6native12_GLOBAL__N_125multi_tensor_apply_kernelINS1_28TensorListScalarListMetadataIaLi1EEENS1_25BinaryOpScalarListFunctorIaLi1ELi1ELi0EEEJSt10multipliesIaEEEEvT_T0_DpT1_
; %bb.0:
	v_mov_b32_e32 v1, s6
	s_mul_i32 s2, s6, 3
	s_mul_hi_u32 s3, s6, 3
	global_load_ubyte v3, v1, s[4:5] offset:1632
	s_waitcnt vmcnt(0)
	v_add_co_u32 v1, s0, s4, v3
	v_add_co_ci_u32_e64 v2, null, s5, 0, s0
	s_add_u32 s0, s4, s6
	s_addc_u32 s1, s5, 0
	s_add_u32 s0, s0, s2
	global_load_ubyte v4, v[1:2], off offset:1536
	v_readfirstlane_b32 s2, v3
	s_addc_u32 s1, s1, s3
	s_load_dword s0, s[0:1], 0x7a0
	s_lshl_b32 s1, s2, 3
	s_clause 0x1
	s_load_dwordx2 s[2:3], s[4:5], s1 offset:0x300
	s_load_dwordx2 s[6:7], s[4:5], s1 offset:0x0
	s_waitcnt lgkmcnt(0)
	s_ashr_i32 s1, s0, 31
	s_lshl_b64 s[8:9], s[0:1], 16
	s_sub_u32 s10, s2, s8
	s_subb_u32 s11, s3, s9
	s_or_b32 s0, s2, s6
	s_and_b32 s0, s0, 3
	s_cmp_eq_u32 s0, 0
	s_cbranch_scc1 .LBB25_21
; %bb.1:
	v_cmp_lt_i64_e64 s0, s[10:11], 1
	s_and_b32 vcc_lo, exec_lo, s0
	s_cbranch_vccnz .LBB25_20
; %bb.2:
	s_load_dword s0, s[4:5], 0xcb4
	v_cmp_gt_i64_e64 s1, 0x10000, s[10:11]
	v_add_co_u32 v12, s2, s8, v0
	v_add_co_ci_u32_e64 v13, null, s9, 0, s2
	v_cmp_gt_u64_e64 s2, 0x10000, s[10:11]
	s_and_b32 s1, s1, exec_lo
	s_cselect_b32 s13, s11, 0
	s_cselect_b32 s12, s10, 0x10000
	v_add_co_u32 v1, vcc_lo, s6, v12
	v_add_co_ci_u32_e64 v2, null, s7, v13, vcc_lo
	s_waitcnt lgkmcnt(0)
	s_and_b32 s0, s0, 0xffff
	s_and_b32 s1, s2, exec_lo
	s_mul_i32 s2, s0, 3
	s_cselect_b32 s15, s11, 0
	s_cselect_b32 s14, s10, 0x10000
	s_lshl_b32 s1, s0, 1
	s_lshl_b32 s18, s0, 2
	s_add_u32 s3, s8, s2
	s_addc_u32 s16, s9, 0
	s_add_u32 s3, s6, s3
	v_add_co_u32 v6, s2, s2, v0
	s_addc_u32 s16, s7, s16
	v_add_co_u32 v3, s3, s3, v0
	v_add_co_ci_u32_e64 v7, null, 0, 0, s2
	s_add_u32 s2, s8, s1
	v_add_co_ci_u32_e64 v5, null, s16, 0, s3
	s_addc_u32 s3, s9, 0
	s_add_u32 s2, s6, s2
	v_add_co_u32 v10, s1, s1, v0
	s_addc_u32 s3, s7, s3
	v_add_co_u32 v8, s2, s2, v0
	v_add_co_ci_u32_e64 v11, null, 0, 0, s1
	s_add_u32 s1, s6, s0
	v_add_co_ci_u32_e64 v9, null, s3, 0, s2
	s_addc_u32 s2, s7, 0
	v_add_co_u32 v12, vcc_lo, s1, v12
	v_add_co_u32 v14, s0, v0, s0
	v_add_co_ci_u32_e64 v13, null, s2, v13, vcc_lo
	v_add_co_ci_u32_e64 v15, null, 0, 0, s0
	s_mov_b64 s[16:17], 0
	s_branch .LBB25_4
.LBB25_3:                               ;   in Loop: Header=BB25_4 Depth=1
	s_or_b32 exec_lo, exec_lo, s0
	s_add_u32 s16, s16, s18
	s_addc_u32 s17, s17, 0
	v_cmp_lt_i64_e64 s0, s[16:17], s[12:13]
	s_and_b32 vcc_lo, exec_lo, s0
	s_cbranch_vccz .LBB25_20
.LBB25_4:                               ; =>This Inner Loop Header: Depth=1
	s_waitcnt vmcnt(0)
	v_add_co_u32 v16, s0, v0, s16
	v_add_co_ci_u32_e64 v17, null, 0, s17, s0
	v_cmp_gt_u64_e32 vcc_lo, s[14:15], v[16:17]
	v_mov_b32_e32 v17, 0
	s_and_saveexec_b32 s1, vcc_lo
	s_cbranch_execz .LBB25_6
; %bb.5:                                ;   in Loop: Header=BB25_4 Depth=1
	v_add_co_u32 v16, s0, v1, s16
	v_add_co_ci_u32_e64 v17, null, s17, v2, s0
	global_load_ubyte v17, v[16:17], off
.LBB25_6:                               ;   in Loop: Header=BB25_4 Depth=1
	s_or_b32 exec_lo, exec_lo, s1
	v_add_co_u32 v18, s0, v14, s16
	v_add_co_ci_u32_e64 v19, null, s17, v15, s0
	v_mov_b32_e32 v16, 0
	v_cmp_gt_u64_e64 s0, s[14:15], v[18:19]
	v_mov_b32_e32 v18, 0
	s_and_saveexec_b32 s2, s0
	s_cbranch_execz .LBB25_8
; %bb.7:                                ;   in Loop: Header=BB25_4 Depth=1
	v_add_co_u32 v18, s1, v12, s16
	v_add_co_ci_u32_e64 v19, null, s17, v13, s1
	global_load_ubyte v18, v[18:19], off
.LBB25_8:                               ;   in Loop: Header=BB25_4 Depth=1
	s_or_b32 exec_lo, exec_lo, s2
	v_add_co_u32 v19, s1, v10, s16
	v_add_co_ci_u32_e64 v20, null, s17, v11, s1
	v_cmp_gt_u64_e64 s1, s[14:15], v[19:20]
	s_and_saveexec_b32 s3, s1
	s_cbranch_execz .LBB25_10
; %bb.9:                                ;   in Loop: Header=BB25_4 Depth=1
	v_add_co_u32 v19, s2, v8, s16
	v_add_co_ci_u32_e64 v20, null, s17, v9, s2
	global_load_ubyte v16, v[19:20], off
.LBB25_10:                              ;   in Loop: Header=BB25_4 Depth=1
	s_or_b32 exec_lo, exec_lo, s3
	v_add_co_u32 v19, s2, v6, s16
	v_add_co_ci_u32_e64 v20, null, s17, v7, s2
	v_cmp_gt_u64_e64 s2, s[14:15], v[19:20]
	v_mov_b32_e32 v19, 0
	s_and_saveexec_b32 s19, s2
	s_cbranch_execnz .LBB25_15
; %bb.11:                               ;   in Loop: Header=BB25_4 Depth=1
	s_or_b32 exec_lo, exec_lo, s19
	s_and_saveexec_b32 s3, vcc_lo
	s_cbranch_execnz .LBB25_16
.LBB25_12:                              ;   in Loop: Header=BB25_4 Depth=1
	s_or_b32 exec_lo, exec_lo, s3
	s_and_saveexec_b32 s3, s0
	s_cbranch_execnz .LBB25_17
.LBB25_13:                              ;   in Loop: Header=BB25_4 Depth=1
	s_or_b32 exec_lo, exec_lo, s3
	s_and_saveexec_b32 s0, s1
	s_cbranch_execnz .LBB25_18
.LBB25_14:                              ;   in Loop: Header=BB25_4 Depth=1
	s_or_b32 exec_lo, exec_lo, s0
	s_and_saveexec_b32 s0, s2
	s_cbranch_execz .LBB25_3
	s_branch .LBB25_19
.LBB25_15:                              ;   in Loop: Header=BB25_4 Depth=1
	v_add_co_u32 v19, s3, v3, s16
	v_add_co_ci_u32_e64 v20, null, s17, v5, s3
	global_load_ubyte v19, v[19:20], off
	s_or_b32 exec_lo, exec_lo, s19
	s_and_saveexec_b32 s3, vcc_lo
	s_cbranch_execz .LBB25_12
.LBB25_16:                              ;   in Loop: Header=BB25_4 Depth=1
	v_add_co_u32 v20, vcc_lo, v1, s16
	s_waitcnt vmcnt(0)
	v_mul_lo_u16 v17, v17, v4
	v_add_co_ci_u32_e64 v21, null, s17, v2, vcc_lo
	global_store_byte v[20:21], v17, off
	s_or_b32 exec_lo, exec_lo, s3
	s_and_saveexec_b32 s3, s0
	s_cbranch_execz .LBB25_13
.LBB25_17:                              ;   in Loop: Header=BB25_4 Depth=1
	s_waitcnt vmcnt(0)
	v_add_co_u32 v17, vcc_lo, v12, s16
	v_mul_lo_u16 v20, v18, v4
	v_add_co_ci_u32_e64 v18, null, s17, v13, vcc_lo
	global_store_byte v[17:18], v20, off
	s_or_b32 exec_lo, exec_lo, s3
	s_and_saveexec_b32 s0, s1
	s_cbranch_execz .LBB25_14
.LBB25_18:                              ;   in Loop: Header=BB25_4 Depth=1
	s_waitcnt vmcnt(0)
	v_mul_lo_u16 v18, v16, v4
	v_add_co_u32 v16, vcc_lo, v8, s16
	v_add_co_ci_u32_e64 v17, null, s17, v9, vcc_lo
	global_store_byte v[16:17], v18, off
	s_or_b32 exec_lo, exec_lo, s0
	s_and_saveexec_b32 s0, s2
	s_cbranch_execz .LBB25_3
.LBB25_19:                              ;   in Loop: Header=BB25_4 Depth=1
	s_waitcnt vmcnt(0)
	v_add_co_u32 v16, vcc_lo, v3, s16
	v_mul_lo_u16 v18, v19, v4
	v_add_co_ci_u32_e64 v17, null, s17, v5, vcc_lo
	global_store_byte v[16:17], v18, off
	s_branch .LBB25_3
.LBB25_20:
	s_cbranch_execz .LBB25_22
	s_branch .LBB25_25
.LBB25_21:
.LBB25_22:
	v_cmp_gt_i64_e64 s0, 0x10000, s[10:11]
	v_mov_b32_e32 v3, 0
	v_lshlrev_b32_e32 v2, 2, v0
	s_mov_b32 s1, 0
	s_and_b32 s0, s0, exec_lo
	s_cselect_b32 s3, s11, 0
	s_cselect_b32 s2, s10, 0x10000
	s_mov_b32 s0, exec_lo
	v_cmpx_gt_i64_e64 s[2:3], v[2:3]
	s_cbranch_execz .LBB25_25
; %bb.23:
	s_load_dword s0, s[4:5], 0xcb4
	v_mov_b32_e32 v1, v3
	s_waitcnt lgkmcnt(0)
	s_and_b32 s4, s0, 0xffff
	s_add_u32 s0, s6, s8
	s_addc_u32 s5, s7, s9
	v_add_co_u32 v2, s0, s0, v2
	v_add_co_ci_u32_e64 v3, null, s5, 0, s0
	s_lshl_b32 s5, s4, 2
	s_inst_prefetch 0x1
	.p2align	6
.LBB25_24:                              ; =>This Inner Loop Header: Depth=1
	global_load_dword v5, v[2:3], off
	v_add_co_u32 v0, vcc_lo, v0, s4
	v_add_co_ci_u32_e64 v1, null, 0, v1, vcc_lo
	s_waitcnt vmcnt(0)
	v_lshrrev_b32_e32 v6, 8, v5
	v_lshrrev_b32_e32 v7, 24, v5
	;; [unrolled: 1-line block ×3, first 2 shown]
	v_mul_lo_u16 v5, v4, v5
	v_mul_lo_u16 v6, v4, v6
	;; [unrolled: 1-line block ×4, first 2 shown]
	v_lshlrev_b16 v6, 8, v6
	v_lshlrev_b16 v7, 8, v7
	v_or_b32_sdwa v9, v5, v6 dst_sel:DWORD dst_unused:UNUSED_PAD src0_sel:BYTE_0 src1_sel:DWORD
	v_or_b32_sdwa v7, v8, v7 dst_sel:WORD_1 dst_unused:UNUSED_PAD src0_sel:BYTE_0 src1_sel:DWORD
	v_lshlrev_b64 v[5:6], 2, v[0:1]
	v_or_b32_sdwa v7, v9, v7 dst_sel:DWORD dst_unused:UNUSED_PAD src0_sel:WORD_0 src1_sel:DWORD
	v_cmp_le_i64_e32 vcc_lo, s[2:3], v[5:6]
	global_store_dword v[2:3], v7, off
	v_add_co_u32 v2, s0, v2, s5
	v_add_co_ci_u32_e64 v3, null, 0, v3, s0
	s_or_b32 s1, vcc_lo, s1
	s_andn2_b32 exec_lo, exec_lo, s1
	s_cbranch_execnz .LBB25_24
.LBB25_25:
	s_inst_prefetch 0x2
	s_endpgm
	.section	.rodata,"a",@progbits
	.p2align	6, 0x0
	.amdhsa_kernel _ZN2at6native12_GLOBAL__N_125multi_tensor_apply_kernelINS1_28TensorListScalarListMetadataIaLi1EEENS1_25BinaryOpScalarListFunctorIaLi1ELi1ELi0EEEJSt10multipliesIaEEEEvT_T0_DpT1_
		.amdhsa_group_segment_fixed_size 0
		.amdhsa_private_segment_fixed_size 0
		.amdhsa_kernarg_size 3496
		.amdhsa_user_sgpr_count 6
		.amdhsa_user_sgpr_private_segment_buffer 1
		.amdhsa_user_sgpr_dispatch_ptr 0
		.amdhsa_user_sgpr_queue_ptr 0
		.amdhsa_user_sgpr_kernarg_segment_ptr 1
		.amdhsa_user_sgpr_dispatch_id 0
		.amdhsa_user_sgpr_flat_scratch_init 0
		.amdhsa_user_sgpr_private_segment_size 0
		.amdhsa_wavefront_size32 1
		.amdhsa_uses_dynamic_stack 0
		.amdhsa_system_sgpr_private_segment_wavefront_offset 0
		.amdhsa_system_sgpr_workgroup_id_x 1
		.amdhsa_system_sgpr_workgroup_id_y 0
		.amdhsa_system_sgpr_workgroup_id_z 0
		.amdhsa_system_sgpr_workgroup_info 0
		.amdhsa_system_vgpr_workitem_id 0
		.amdhsa_next_free_vgpr 22
		.amdhsa_next_free_sgpr 20
		.amdhsa_reserve_vcc 1
		.amdhsa_reserve_flat_scratch 0
		.amdhsa_float_round_mode_32 0
		.amdhsa_float_round_mode_16_64 0
		.amdhsa_float_denorm_mode_32 3
		.amdhsa_float_denorm_mode_16_64 3
		.amdhsa_dx10_clamp 1
		.amdhsa_ieee_mode 1
		.amdhsa_fp16_overflow 0
		.amdhsa_workgroup_processor_mode 1
		.amdhsa_memory_ordered 1
		.amdhsa_forward_progress 1
		.amdhsa_shared_vgpr_count 0
		.amdhsa_exception_fp_ieee_invalid_op 0
		.amdhsa_exception_fp_denorm_src 0
		.amdhsa_exception_fp_ieee_div_zero 0
		.amdhsa_exception_fp_ieee_overflow 0
		.amdhsa_exception_fp_ieee_underflow 0
		.amdhsa_exception_fp_ieee_inexact 0
		.amdhsa_exception_int_div_zero 0
	.end_amdhsa_kernel
	.section	.text._ZN2at6native12_GLOBAL__N_125multi_tensor_apply_kernelINS1_28TensorListScalarListMetadataIaLi1EEENS1_25BinaryOpScalarListFunctorIaLi1ELi1ELi0EEEJSt10multipliesIaEEEEvT_T0_DpT1_,"axG",@progbits,_ZN2at6native12_GLOBAL__N_125multi_tensor_apply_kernelINS1_28TensorListScalarListMetadataIaLi1EEENS1_25BinaryOpScalarListFunctorIaLi1ELi1ELi0EEEJSt10multipliesIaEEEEvT_T0_DpT1_,comdat
.Lfunc_end25:
	.size	_ZN2at6native12_GLOBAL__N_125multi_tensor_apply_kernelINS1_28TensorListScalarListMetadataIaLi1EEENS1_25BinaryOpScalarListFunctorIaLi1ELi1ELi0EEEJSt10multipliesIaEEEEvT_T0_DpT1_, .Lfunc_end25-_ZN2at6native12_GLOBAL__N_125multi_tensor_apply_kernelINS1_28TensorListScalarListMetadataIaLi1EEENS1_25BinaryOpScalarListFunctorIaLi1ELi1ELi0EEEJSt10multipliesIaEEEEvT_T0_DpT1_
                                        ; -- End function
	.set _ZN2at6native12_GLOBAL__N_125multi_tensor_apply_kernelINS1_28TensorListScalarListMetadataIaLi1EEENS1_25BinaryOpScalarListFunctorIaLi1ELi1ELi0EEEJSt10multipliesIaEEEEvT_T0_DpT1_.num_vgpr, 22
	.set _ZN2at6native12_GLOBAL__N_125multi_tensor_apply_kernelINS1_28TensorListScalarListMetadataIaLi1EEENS1_25BinaryOpScalarListFunctorIaLi1ELi1ELi0EEEJSt10multipliesIaEEEEvT_T0_DpT1_.num_agpr, 0
	.set _ZN2at6native12_GLOBAL__N_125multi_tensor_apply_kernelINS1_28TensorListScalarListMetadataIaLi1EEENS1_25BinaryOpScalarListFunctorIaLi1ELi1ELi0EEEJSt10multipliesIaEEEEvT_T0_DpT1_.numbered_sgpr, 20
	.set _ZN2at6native12_GLOBAL__N_125multi_tensor_apply_kernelINS1_28TensorListScalarListMetadataIaLi1EEENS1_25BinaryOpScalarListFunctorIaLi1ELi1ELi0EEEJSt10multipliesIaEEEEvT_T0_DpT1_.num_named_barrier, 0
	.set _ZN2at6native12_GLOBAL__N_125multi_tensor_apply_kernelINS1_28TensorListScalarListMetadataIaLi1EEENS1_25BinaryOpScalarListFunctorIaLi1ELi1ELi0EEEJSt10multipliesIaEEEEvT_T0_DpT1_.private_seg_size, 0
	.set _ZN2at6native12_GLOBAL__N_125multi_tensor_apply_kernelINS1_28TensorListScalarListMetadataIaLi1EEENS1_25BinaryOpScalarListFunctorIaLi1ELi1ELi0EEEJSt10multipliesIaEEEEvT_T0_DpT1_.uses_vcc, 1
	.set _ZN2at6native12_GLOBAL__N_125multi_tensor_apply_kernelINS1_28TensorListScalarListMetadataIaLi1EEENS1_25BinaryOpScalarListFunctorIaLi1ELi1ELi0EEEJSt10multipliesIaEEEEvT_T0_DpT1_.uses_flat_scratch, 0
	.set _ZN2at6native12_GLOBAL__N_125multi_tensor_apply_kernelINS1_28TensorListScalarListMetadataIaLi1EEENS1_25BinaryOpScalarListFunctorIaLi1ELi1ELi0EEEJSt10multipliesIaEEEEvT_T0_DpT1_.has_dyn_sized_stack, 0
	.set _ZN2at6native12_GLOBAL__N_125multi_tensor_apply_kernelINS1_28TensorListScalarListMetadataIaLi1EEENS1_25BinaryOpScalarListFunctorIaLi1ELi1ELi0EEEJSt10multipliesIaEEEEvT_T0_DpT1_.has_recursion, 0
	.set _ZN2at6native12_GLOBAL__N_125multi_tensor_apply_kernelINS1_28TensorListScalarListMetadataIaLi1EEENS1_25BinaryOpScalarListFunctorIaLi1ELi1ELi0EEEJSt10multipliesIaEEEEvT_T0_DpT1_.has_indirect_call, 0
	.section	.AMDGPU.csdata,"",@progbits
; Kernel info:
; codeLenInByte = 1256
; TotalNumSgprs: 22
; NumVgprs: 22
; ScratchSize: 0
; MemoryBound: 0
; FloatMode: 240
; IeeeMode: 1
; LDSByteSize: 0 bytes/workgroup (compile time only)
; SGPRBlocks: 0
; VGPRBlocks: 2
; NumSGPRsForWavesPerEU: 22
; NumVGPRsForWavesPerEU: 22
; Occupancy: 16
; WaveLimiterHint : 0
; COMPUTE_PGM_RSRC2:SCRATCH_EN: 0
; COMPUTE_PGM_RSRC2:USER_SGPR: 6
; COMPUTE_PGM_RSRC2:TRAP_HANDLER: 0
; COMPUTE_PGM_RSRC2:TGID_X_EN: 1
; COMPUTE_PGM_RSRC2:TGID_Y_EN: 0
; COMPUTE_PGM_RSRC2:TGID_Z_EN: 0
; COMPUTE_PGM_RSRC2:TIDIG_COMP_CNT: 0
	.section	.text._ZN2at6native12_GLOBAL__N_125multi_tensor_apply_kernelINS1_28TensorListScalarListMetadataIiLi1EEENS1_25BinaryOpScalarListFunctorIiLi1ELi1ELi0EEEJSt10multipliesIiEEEEvT_T0_DpT1_,"axG",@progbits,_ZN2at6native12_GLOBAL__N_125multi_tensor_apply_kernelINS1_28TensorListScalarListMetadataIiLi1EEENS1_25BinaryOpScalarListFunctorIiLi1ELi1ELi0EEEJSt10multipliesIiEEEEvT_T0_DpT1_,comdat
	.globl	_ZN2at6native12_GLOBAL__N_125multi_tensor_apply_kernelINS1_28TensorListScalarListMetadataIiLi1EEENS1_25BinaryOpScalarListFunctorIiLi1ELi1ELi0EEEJSt10multipliesIiEEEEvT_T0_DpT1_ ; -- Begin function _ZN2at6native12_GLOBAL__N_125multi_tensor_apply_kernelINS1_28TensorListScalarListMetadataIiLi1EEENS1_25BinaryOpScalarListFunctorIiLi1ELi1ELi0EEEJSt10multipliesIiEEEEvT_T0_DpT1_
	.p2align	8
	.type	_ZN2at6native12_GLOBAL__N_125multi_tensor_apply_kernelINS1_28TensorListScalarListMetadataIiLi1EEENS1_25BinaryOpScalarListFunctorIiLi1ELi1ELi0EEEJSt10multipliesIiEEEEvT_T0_DpT1_,@function
_ZN2at6native12_GLOBAL__N_125multi_tensor_apply_kernelINS1_28TensorListScalarListMetadataIiLi1EEENS1_25BinaryOpScalarListFunctorIiLi1ELi1ELi0EEEJSt10multipliesIiEEEEvT_T0_DpT1_: ; @_ZN2at6native12_GLOBAL__N_125multi_tensor_apply_kernelINS1_28TensorListScalarListMetadataIiLi1EEENS1_25BinaryOpScalarListFunctorIiLi1ELi1ELi0EEEJSt10multipliesIiEEEEvT_T0_DpT1_
; %bb.0:
	v_mov_b32_e32 v1, s6
	s_add_u32 s0, s4, s6
	s_mul_i32 s1, s6, 3
	s_mul_hi_u32 s2, s6, 3
	s_addc_u32 s3, s5, 0
	global_load_ubyte v1, v1, s[4:5] offset:1920
	s_add_u32 s0, s0, s1
	s_addc_u32 s1, s3, s2
	s_mov_b32 s13, 0
	s_load_dword s0, s[0:1], 0x8c0
	s_waitcnt vmcnt(0)
	v_readfirstlane_b32 s1, v1
	v_lshlrev_b32_e32 v1, 2, v1
	s_lshl_b32 s8, s1, 3
	v_sub_co_u32 v1, s1, 0, v1
	v_sub_co_ci_u32_e64 v2, null, 0, 0, s1
	s_waitcnt lgkmcnt(0)
	s_ashr_i32 s1, s0, 31
	s_clause 0x1
	s_load_dwordx2 s[2:3], s[4:5], s8 offset:0x300
	s_load_dwordx2 s[6:7], s[4:5], s8 offset:0x0
	s_add_u32 s8, s4, s8
	s_addc_u32 s9, s5, 0
	v_add_co_u32 v1, vcc_lo, s8, v1
	v_add_co_ci_u32_e64 v2, null, s9, v2, vcc_lo
	v_readfirstlane_b32 s8, v1
	v_readfirstlane_b32 s9, v2
	s_load_dword s18, s[8:9], 0x600
	s_lshl_b64 s[8:9], s[0:1], 18
	s_lshl_b64 s[0:1], s[0:1], 16
	s_waitcnt lgkmcnt(0)
	s_and_b32 s12, s6, 15
	s_sub_u32 s10, s2, s0
	s_subb_u32 s11, s3, s1
	s_and_b32 s0, s2, 3
	s_mov_b32 s1, s13
	s_or_b64 s[0:1], s[12:13], s[0:1]
	s_cmp_eq_u64 s[0:1], 0
	s_cbranch_scc1 .LBB26_21
; %bb.1:
	v_cmp_lt_i64_e64 s0, s[10:11], 1
	s_and_b32 vcc_lo, exec_lo, s0
	s_cbranch_vccnz .LBB26_20
; %bb.2:
	s_load_dword s0, s[4:5], 0xdd4
	v_cmp_gt_i64_e64 s1, 0x10000, s[10:11]
	v_cmp_gt_u64_e64 s2, 0x10000, s[10:11]
	v_lshlrev_b32_e32 v1, 2, v0
	s_and_b32 s1, s1, exec_lo
	s_cselect_b32 s13, s11, 0
	s_cselect_b32 s12, s10, 0x10000
	s_waitcnt lgkmcnt(0)
	s_and_b32 s0, s0, 0xffff
	s_and_b32 s1, s2, exec_lo
	v_add_co_u32 v5, s3, v0, s0
	s_cselect_b32 s15, s11, 0
	s_cselect_b32 s14, s10, 0x10000
	s_lshl_b32 s1, s0, 1
	v_lshlrev_b32_e32 v3, 2, v5
	s_mul_i32 s2, s0, 3
	s_lshl_b32 s19, s0, 2
	s_add_u32 s16, s6, s8
	v_add_co_u32 v6, s2, s2, v0
	v_add_co_u32 v9, s1, s1, v0
	s_addc_u32 s17, s7, s9
	v_add_co_ci_u32_e64 v7, null, 0, 0, s2
	v_add_co_u32 v1, s2, s16, v1
	v_add_co_ci_u32_e64 v10, null, 0, 0, s1
	v_add_co_u32 v3, s1, s16, v3
	v_add_co_ci_u32_e64 v2, null, s17, 0, s2
	v_add_co_ci_u32_e64 v8, null, 0, 0, s3
	;; [unrolled: 1-line block ×3, first 2 shown]
	s_lshl_b32 s20, s0, 4
	s_mul_i32 s21, s0, 12
	s_lshl_b32 s22, s0, 3
	s_mov_b64 s[16:17], 0
	s_branch .LBB26_4
.LBB26_3:                               ;   in Loop: Header=BB26_4 Depth=1
	s_or_b32 exec_lo, exec_lo, s0
	s_add_u32 s16, s16, s19
	s_addc_u32 s17, s17, 0
	v_add_co_u32 v1, vcc_lo, v1, s20
	v_cmp_lt_i64_e64 s0, s[16:17], s[12:13]
	v_add_co_ci_u32_e64 v2, null, 0, v2, vcc_lo
	v_add_co_u32 v3, vcc_lo, v3, s20
	v_add_co_ci_u32_e64 v4, null, 0, v4, vcc_lo
	s_and_b32 vcc_lo, exec_lo, s0
	s_cbranch_vccz .LBB26_20
.LBB26_4:                               ; =>This Inner Loop Header: Depth=1
	s_waitcnt vmcnt(0)
	v_add_co_u32 v11, s0, v0, s16
	v_add_co_ci_u32_e64 v12, null, 0, s17, s0
	v_cmp_gt_u64_e32 vcc_lo, s[14:15], v[11:12]
	v_mov_b32_e32 v11, 0
	s_and_saveexec_b32 s0, vcc_lo
	s_cbranch_execz .LBB26_6
; %bb.5:                                ;   in Loop: Header=BB26_4 Depth=1
	global_load_dword v11, v[1:2], off
.LBB26_6:                               ;   in Loop: Header=BB26_4 Depth=1
	s_or_b32 exec_lo, exec_lo, s0
	v_add_co_u32 v12, s0, v5, s16
	v_add_co_ci_u32_e64 v13, null, s17, v8, s0
	v_cmp_gt_u64_e64 s0, s[14:15], v[12:13]
	v_mov_b32_e32 v12, 0
	v_mov_b32_e32 v13, 0
	s_and_saveexec_b32 s1, s0
	s_cbranch_execz .LBB26_8
; %bb.7:                                ;   in Loop: Header=BB26_4 Depth=1
	global_load_dword v13, v[3:4], off
.LBB26_8:                               ;   in Loop: Header=BB26_4 Depth=1
	s_or_b32 exec_lo, exec_lo, s1
	v_add_co_u32 v14, s1, v9, s16
	v_add_co_ci_u32_e64 v15, null, s17, v10, s1
	v_cmp_gt_u64_e64 s1, s[14:15], v[14:15]
	s_and_saveexec_b32 s3, s1
	s_cbranch_execz .LBB26_10
; %bb.9:                                ;   in Loop: Header=BB26_4 Depth=1
	v_add_co_u32 v14, s2, v1, s22
	v_add_co_ci_u32_e64 v15, null, 0, v2, s2
	global_load_dword v12, v[14:15], off
.LBB26_10:                              ;   in Loop: Header=BB26_4 Depth=1
	s_or_b32 exec_lo, exec_lo, s3
	v_add_co_u32 v14, s2, v6, s16
	v_add_co_ci_u32_e64 v15, null, s17, v7, s2
	v_cmp_gt_u64_e64 s2, s[14:15], v[14:15]
	v_mov_b32_e32 v14, 0
	s_and_saveexec_b32 s23, s2
	s_cbranch_execnz .LBB26_15
; %bb.11:                               ;   in Loop: Header=BB26_4 Depth=1
	s_or_b32 exec_lo, exec_lo, s23
	s_and_saveexec_b32 s3, vcc_lo
	s_cbranch_execnz .LBB26_16
.LBB26_12:                              ;   in Loop: Header=BB26_4 Depth=1
	s_or_b32 exec_lo, exec_lo, s3
	s_and_saveexec_b32 s3, s0
	s_cbranch_execnz .LBB26_17
.LBB26_13:                              ;   in Loop: Header=BB26_4 Depth=1
	s_or_b32 exec_lo, exec_lo, s3
	s_and_saveexec_b32 s0, s1
	s_cbranch_execnz .LBB26_18
.LBB26_14:                              ;   in Loop: Header=BB26_4 Depth=1
	s_or_b32 exec_lo, exec_lo, s0
	s_and_saveexec_b32 s0, s2
	s_cbranch_execz .LBB26_3
	s_branch .LBB26_19
.LBB26_15:                              ;   in Loop: Header=BB26_4 Depth=1
	v_add_co_u32 v14, s3, v1, s21
	v_add_co_ci_u32_e64 v15, null, 0, v2, s3
	global_load_dword v14, v[14:15], off
	s_or_b32 exec_lo, exec_lo, s23
	s_and_saveexec_b32 s3, vcc_lo
	s_cbranch_execz .LBB26_12
.LBB26_16:                              ;   in Loop: Header=BB26_4 Depth=1
	s_waitcnt vmcnt(0)
	v_mul_lo_u32 v11, v11, s18
	global_store_dword v[1:2], v11, off
	s_or_b32 exec_lo, exec_lo, s3
	s_and_saveexec_b32 s3, s0
	s_cbranch_execz .LBB26_13
.LBB26_17:                              ;   in Loop: Header=BB26_4 Depth=1
	s_waitcnt vmcnt(0)
	v_mul_lo_u32 v11, v13, s18
	global_store_dword v[3:4], v11, off
	s_or_b32 exec_lo, exec_lo, s3
	s_and_saveexec_b32 s0, s1
	s_cbranch_execz .LBB26_14
.LBB26_18:                              ;   in Loop: Header=BB26_4 Depth=1
	s_waitcnt vmcnt(0)
	v_mul_lo_u32 v13, v12, s18
	v_add_co_u32 v11, vcc_lo, v1, s22
	v_add_co_ci_u32_e64 v12, null, 0, v2, vcc_lo
	global_store_dword v[11:12], v13, off
	s_or_b32 exec_lo, exec_lo, s0
	s_and_saveexec_b32 s0, s2
	s_cbranch_execz .LBB26_3
.LBB26_19:                              ;   in Loop: Header=BB26_4 Depth=1
	s_waitcnt vmcnt(0)
	v_mul_lo_u32 v13, v14, s18
	v_add_co_u32 v11, vcc_lo, v1, s21
	v_add_co_ci_u32_e64 v12, null, 0, v2, vcc_lo
	global_store_dword v[11:12], v13, off
	s_branch .LBB26_3
.LBB26_20:
	s_cbranch_execz .LBB26_22
	s_branch .LBB26_25
.LBB26_21:
.LBB26_22:
	v_cmp_gt_i64_e64 s0, 0x10000, s[10:11]
	v_mov_b32_e32 v2, 0
	v_lshlrev_b32_e32 v1, 2, v0
	s_mov_b32 s1, 0
	s_and_b32 s0, s0, exec_lo
	s_cselect_b32 s3, s11, 0
	s_cselect_b32 s2, s10, 0x10000
	s_mov_b32 s0, exec_lo
	v_cmpx_gt_i64_e64 s[2:3], v[1:2]
	s_cbranch_execz .LBB26_25
; %bb.23:
	s_load_dword s0, s[4:5], 0xdd4
	v_lshlrev_b32_e32 v1, 4, v0
	s_waitcnt lgkmcnt(0)
	s_and_b32 s4, s0, 0xffff
	s_add_u32 s0, s6, s8
	s_addc_u32 s5, s7, s9
	v_add_co_u32 v3, s0, s0, v1
	v_add_co_ci_u32_e64 v4, null, s5, 0, s0
	v_mov_b32_e32 v1, v2
	v_add_co_u32 v2, vcc_lo, v3, 8
	v_add_co_ci_u32_e64 v3, null, 0, v4, vcc_lo
	s_lshl_b32 s5, s4, 4
	.p2align	6
.LBB26_24:                              ; =>This Inner Loop Header: Depth=1
	global_load_dwordx4 v[4:7], v[2:3], off offset:-8
	v_add_co_u32 v0, vcc_lo, v0, s4
	v_add_co_ci_u32_e64 v1, null, 0, v1, vcc_lo
	v_lshlrev_b64 v[8:9], 2, v[0:1]
	v_cmp_le_i64_e32 vcc_lo, s[2:3], v[8:9]
	s_or_b32 s1, vcc_lo, s1
	s_waitcnt vmcnt(0)
	v_mul_lo_u32 v4, v4, s18
	v_mul_lo_u32 v5, v5, s18
	;; [unrolled: 1-line block ×4, first 2 shown]
	global_store_dwordx4 v[2:3], v[4:7], off offset:-8
	v_add_co_u32 v2, s0, v2, s5
	v_add_co_ci_u32_e64 v3, null, 0, v3, s0
	s_andn2_b32 exec_lo, exec_lo, s1
	s_cbranch_execnz .LBB26_24
.LBB26_25:
	s_endpgm
	.section	.rodata,"a",@progbits
	.p2align	6, 0x0
	.amdhsa_kernel _ZN2at6native12_GLOBAL__N_125multi_tensor_apply_kernelINS1_28TensorListScalarListMetadataIiLi1EEENS1_25BinaryOpScalarListFunctorIiLi1ELi1ELi0EEEJSt10multipliesIiEEEEvT_T0_DpT1_
		.amdhsa_group_segment_fixed_size 0
		.amdhsa_private_segment_fixed_size 0
		.amdhsa_kernarg_size 3784
		.amdhsa_user_sgpr_count 6
		.amdhsa_user_sgpr_private_segment_buffer 1
		.amdhsa_user_sgpr_dispatch_ptr 0
		.amdhsa_user_sgpr_queue_ptr 0
		.amdhsa_user_sgpr_kernarg_segment_ptr 1
		.amdhsa_user_sgpr_dispatch_id 0
		.amdhsa_user_sgpr_flat_scratch_init 0
		.amdhsa_user_sgpr_private_segment_size 0
		.amdhsa_wavefront_size32 1
		.amdhsa_uses_dynamic_stack 0
		.amdhsa_system_sgpr_private_segment_wavefront_offset 0
		.amdhsa_system_sgpr_workgroup_id_x 1
		.amdhsa_system_sgpr_workgroup_id_y 0
		.amdhsa_system_sgpr_workgroup_id_z 0
		.amdhsa_system_sgpr_workgroup_info 0
		.amdhsa_system_vgpr_workitem_id 0
		.amdhsa_next_free_vgpr 16
		.amdhsa_next_free_sgpr 24
		.amdhsa_reserve_vcc 1
		.amdhsa_reserve_flat_scratch 0
		.amdhsa_float_round_mode_32 0
		.amdhsa_float_round_mode_16_64 0
		.amdhsa_float_denorm_mode_32 3
		.amdhsa_float_denorm_mode_16_64 3
		.amdhsa_dx10_clamp 1
		.amdhsa_ieee_mode 1
		.amdhsa_fp16_overflow 0
		.amdhsa_workgroup_processor_mode 1
		.amdhsa_memory_ordered 1
		.amdhsa_forward_progress 1
		.amdhsa_shared_vgpr_count 0
		.amdhsa_exception_fp_ieee_invalid_op 0
		.amdhsa_exception_fp_denorm_src 0
		.amdhsa_exception_fp_ieee_div_zero 0
		.amdhsa_exception_fp_ieee_overflow 0
		.amdhsa_exception_fp_ieee_underflow 0
		.amdhsa_exception_fp_ieee_inexact 0
		.amdhsa_exception_int_div_zero 0
	.end_amdhsa_kernel
	.section	.text._ZN2at6native12_GLOBAL__N_125multi_tensor_apply_kernelINS1_28TensorListScalarListMetadataIiLi1EEENS1_25BinaryOpScalarListFunctorIiLi1ELi1ELi0EEEJSt10multipliesIiEEEEvT_T0_DpT1_,"axG",@progbits,_ZN2at6native12_GLOBAL__N_125multi_tensor_apply_kernelINS1_28TensorListScalarListMetadataIiLi1EEENS1_25BinaryOpScalarListFunctorIiLi1ELi1ELi0EEEJSt10multipliesIiEEEEvT_T0_DpT1_,comdat
.Lfunc_end26:
	.size	_ZN2at6native12_GLOBAL__N_125multi_tensor_apply_kernelINS1_28TensorListScalarListMetadataIiLi1EEENS1_25BinaryOpScalarListFunctorIiLi1ELi1ELi0EEEJSt10multipliesIiEEEEvT_T0_DpT1_, .Lfunc_end26-_ZN2at6native12_GLOBAL__N_125multi_tensor_apply_kernelINS1_28TensorListScalarListMetadataIiLi1EEENS1_25BinaryOpScalarListFunctorIiLi1ELi1ELi0EEEJSt10multipliesIiEEEEvT_T0_DpT1_
                                        ; -- End function
	.set _ZN2at6native12_GLOBAL__N_125multi_tensor_apply_kernelINS1_28TensorListScalarListMetadataIiLi1EEENS1_25BinaryOpScalarListFunctorIiLi1ELi1ELi0EEEJSt10multipliesIiEEEEvT_T0_DpT1_.num_vgpr, 16
	.set _ZN2at6native12_GLOBAL__N_125multi_tensor_apply_kernelINS1_28TensorListScalarListMetadataIiLi1EEENS1_25BinaryOpScalarListFunctorIiLi1ELi1ELi0EEEJSt10multipliesIiEEEEvT_T0_DpT1_.num_agpr, 0
	.set _ZN2at6native12_GLOBAL__N_125multi_tensor_apply_kernelINS1_28TensorListScalarListMetadataIiLi1EEENS1_25BinaryOpScalarListFunctorIiLi1ELi1ELi0EEEJSt10multipliesIiEEEEvT_T0_DpT1_.numbered_sgpr, 24
	.set _ZN2at6native12_GLOBAL__N_125multi_tensor_apply_kernelINS1_28TensorListScalarListMetadataIiLi1EEENS1_25BinaryOpScalarListFunctorIiLi1ELi1ELi0EEEJSt10multipliesIiEEEEvT_T0_DpT1_.num_named_barrier, 0
	.set _ZN2at6native12_GLOBAL__N_125multi_tensor_apply_kernelINS1_28TensorListScalarListMetadataIiLi1EEENS1_25BinaryOpScalarListFunctorIiLi1ELi1ELi0EEEJSt10multipliesIiEEEEvT_T0_DpT1_.private_seg_size, 0
	.set _ZN2at6native12_GLOBAL__N_125multi_tensor_apply_kernelINS1_28TensorListScalarListMetadataIiLi1EEENS1_25BinaryOpScalarListFunctorIiLi1ELi1ELi0EEEJSt10multipliesIiEEEEvT_T0_DpT1_.uses_vcc, 1
	.set _ZN2at6native12_GLOBAL__N_125multi_tensor_apply_kernelINS1_28TensorListScalarListMetadataIiLi1EEENS1_25BinaryOpScalarListFunctorIiLi1ELi1ELi0EEEJSt10multipliesIiEEEEvT_T0_DpT1_.uses_flat_scratch, 0
	.set _ZN2at6native12_GLOBAL__N_125multi_tensor_apply_kernelINS1_28TensorListScalarListMetadataIiLi1EEENS1_25BinaryOpScalarListFunctorIiLi1ELi1ELi0EEEJSt10multipliesIiEEEEvT_T0_DpT1_.has_dyn_sized_stack, 0
	.set _ZN2at6native12_GLOBAL__N_125multi_tensor_apply_kernelINS1_28TensorListScalarListMetadataIiLi1EEENS1_25BinaryOpScalarListFunctorIiLi1ELi1ELi0EEEJSt10multipliesIiEEEEvT_T0_DpT1_.has_recursion, 0
	.set _ZN2at6native12_GLOBAL__N_125multi_tensor_apply_kernelINS1_28TensorListScalarListMetadataIiLi1EEENS1_25BinaryOpScalarListFunctorIiLi1ELi1ELi0EEEJSt10multipliesIiEEEEvT_T0_DpT1_.has_indirect_call, 0
	.section	.AMDGPU.csdata,"",@progbits
; Kernel info:
; codeLenInByte = 1200
; TotalNumSgprs: 26
; NumVgprs: 16
; ScratchSize: 0
; MemoryBound: 0
; FloatMode: 240
; IeeeMode: 1
; LDSByteSize: 0 bytes/workgroup (compile time only)
; SGPRBlocks: 0
; VGPRBlocks: 1
; NumSGPRsForWavesPerEU: 26
; NumVGPRsForWavesPerEU: 16
; Occupancy: 16
; WaveLimiterHint : 0
; COMPUTE_PGM_RSRC2:SCRATCH_EN: 0
; COMPUTE_PGM_RSRC2:USER_SGPR: 6
; COMPUTE_PGM_RSRC2:TRAP_HANDLER: 0
; COMPUTE_PGM_RSRC2:TGID_X_EN: 1
; COMPUTE_PGM_RSRC2:TGID_Y_EN: 0
; COMPUTE_PGM_RSRC2:TGID_Z_EN: 0
; COMPUTE_PGM_RSRC2:TIDIG_COMP_CNT: 0
	.section	.text._ZN2at6native12_GLOBAL__N_125multi_tensor_apply_kernelINS1_28TensorListScalarListMetadataIlLi1EEENS1_25BinaryOpScalarListFunctorIlLi1ELi1ELi0EEEJSt10multipliesIlEEEEvT_T0_DpT1_,"axG",@progbits,_ZN2at6native12_GLOBAL__N_125multi_tensor_apply_kernelINS1_28TensorListScalarListMetadataIlLi1EEENS1_25BinaryOpScalarListFunctorIlLi1ELi1ELi0EEEJSt10multipliesIlEEEEvT_T0_DpT1_,comdat
	.globl	_ZN2at6native12_GLOBAL__N_125multi_tensor_apply_kernelINS1_28TensorListScalarListMetadataIlLi1EEENS1_25BinaryOpScalarListFunctorIlLi1ELi1ELi0EEEJSt10multipliesIlEEEEvT_T0_DpT1_ ; -- Begin function _ZN2at6native12_GLOBAL__N_125multi_tensor_apply_kernelINS1_28TensorListScalarListMetadataIlLi1EEENS1_25BinaryOpScalarListFunctorIlLi1ELi1ELi0EEEJSt10multipliesIlEEEEvT_T0_DpT1_
	.p2align	8
	.type	_ZN2at6native12_GLOBAL__N_125multi_tensor_apply_kernelINS1_28TensorListScalarListMetadataIlLi1EEENS1_25BinaryOpScalarListFunctorIlLi1ELi1ELi0EEEJSt10multipliesIlEEEEvT_T0_DpT1_,@function
_ZN2at6native12_GLOBAL__N_125multi_tensor_apply_kernelINS1_28TensorListScalarListMetadataIlLi1EEENS1_25BinaryOpScalarListFunctorIlLi1ELi1ELi0EEEJSt10multipliesIlEEEEvT_T0_DpT1_: ; @_ZN2at6native12_GLOBAL__N_125multi_tensor_apply_kernelINS1_28TensorListScalarListMetadataIlLi1EEENS1_25BinaryOpScalarListFunctorIlLi1ELi1ELi0EEEJSt10multipliesIlEEEEvT_T0_DpT1_
; %bb.0:
	v_mov_b32_e32 v1, 0x800
	s_add_u32 s0, s4, s6
	s_addc_u32 s1, s5, 0
	s_mov_b32 s7, 0
	global_load_ubyte v1, v1, s[0:1] offset:256
	s_lshl_b64 s[0:1], s[6:7], 2
	s_add_u32 s0, s4, s0
	s_addc_u32 s1, s5, s1
	s_load_dword s0, s[0:1], 0xa40
	s_waitcnt vmcnt(0)
	v_readfirstlane_b32 s2, v1
	s_lshl_b32 s1, s2, 3
	s_clause 0x2
	s_load_dwordx2 s[8:9], s[4:5], s1 offset:0x600
	s_load_dwordx2 s[10:11], s[4:5], s1 offset:0x0
	;; [unrolled: 1-line block ×3, first 2 shown]
	s_waitcnt lgkmcnt(0)
	s_ashr_i32 s1, s0, 31
	s_lshl_b64 s[12:13], s[0:1], 19
	s_lshl_b64 s[0:1], s[0:1], 16
	s_and_b32 s6, s10, 31
	s_sub_u32 s14, s2, s0
	s_subb_u32 s15, s3, s1
	s_and_b32 s0, s2, 3
	s_mov_b32 s1, s7
	s_or_b64 s[0:1], s[6:7], s[0:1]
	s_cmp_eq_u64 s[0:1], 0
	s_cbranch_scc1 .LBB27_21
; %bb.1:
	v_cmp_lt_i64_e64 s0, s[14:15], 1
	s_and_b32 vcc_lo, exec_lo, s0
	s_cbranch_vccnz .LBB27_20
; %bb.2:
	s_load_dword s0, s[4:5], 0xf54
	v_cmp_gt_i64_e64 s1, 0x10000, s[14:15]
	v_cmp_gt_u64_e64 s2, 0x10000, s[14:15]
	v_lshlrev_b32_e32 v1, 3, v0
	s_and_b32 s1, s1, exec_lo
	s_cselect_b32 s7, s15, 0
	s_cselect_b32 s6, s14, 0x10000
	s_waitcnt lgkmcnt(0)
	s_and_b32 s0, s0, 0xffff
	s_and_b32 s1, s2, exec_lo
	v_add_co_u32 v13, s3, v0, s0
	s_cselect_b32 s17, s15, 0
	s_cselect_b32 s16, s14, 0x10000
	s_lshl_b32 s1, s0, 1
	v_lshlrev_b32_e32 v3, 3, v13
	s_mul_i32 s2, s0, 3
	s_lshl_b32 s20, s0, 2
	s_add_u32 s18, s10, s12
	v_add_co_u32 v14, s2, s2, v0
	v_add_co_u32 v17, s1, s1, v0
	s_addc_u32 s19, s11, s13
	v_add_co_ci_u32_e64 v15, null, 0, 0, s2
	v_add_co_u32 v1, s2, s18, v1
	v_add_co_ci_u32_e64 v18, null, 0, 0, s1
	v_add_co_u32 v3, s1, s18, v3
	v_add_co_ci_u32_e64 v2, null, s19, 0, s2
	v_add_co_ci_u32_e64 v16, null, 0, 0, s3
	;; [unrolled: 1-line block ×3, first 2 shown]
	s_lshl_b32 s21, s0, 5
	s_mul_i32 s22, s0, 24
	s_lshl_b32 s23, s0, 4
	s_mov_b64 s[18:19], 0
	s_branch .LBB27_4
.LBB27_3:                               ;   in Loop: Header=BB27_4 Depth=1
	s_or_b32 exec_lo, exec_lo, s0
	s_add_u32 s18, s18, s20
	s_addc_u32 s19, s19, 0
	v_add_co_u32 v1, vcc_lo, v1, s21
	v_cmp_lt_i64_e64 s0, s[18:19], s[6:7]
	v_add_co_ci_u32_e64 v2, null, 0, v2, vcc_lo
	v_add_co_u32 v3, vcc_lo, v3, s21
	v_add_co_ci_u32_e64 v4, null, 0, v4, vcc_lo
	s_and_b32 vcc_lo, exec_lo, s0
	s_cbranch_vccz .LBB27_20
.LBB27_4:                               ; =>This Inner Loop Header: Depth=1
	s_waitcnt vmcnt(0)
	v_add_co_u32 v7, s0, v0, s18
	v_add_co_ci_u32_e64 v8, null, 0, s19, s0
	v_mov_b32_e32 v5, 0
	v_mov_b32_e32 v9, 0
	;; [unrolled: 1-line block ×3, first 2 shown]
	v_cmp_gt_u64_e32 vcc_lo, s[16:17], v[7:8]
	v_mov_b32_e32 v10, 0
	s_and_saveexec_b32 s0, vcc_lo
	s_cbranch_execz .LBB27_6
; %bb.5:                                ;   in Loop: Header=BB27_4 Depth=1
	global_load_dwordx2 v[9:10], v[1:2], off
.LBB27_6:                               ;   in Loop: Header=BB27_4 Depth=1
	s_or_b32 exec_lo, exec_lo, s0
	v_add_co_u32 v7, s0, v13, s18
	v_add_co_ci_u32_e64 v8, null, s19, v16, s0
	v_cmp_gt_u64_e64 s0, s[16:17], v[7:8]
	s_and_saveexec_b32 s1, s0
	s_cbranch_execz .LBB27_8
; %bb.7:                                ;   in Loop: Header=BB27_4 Depth=1
	global_load_dwordx2 v[5:6], v[3:4], off
.LBB27_8:                               ;   in Loop: Header=BB27_4 Depth=1
	s_or_b32 exec_lo, exec_lo, s1
	v_add_co_u32 v11, s1, v17, s18
	v_add_co_ci_u32_e64 v12, null, s19, v18, s1
	v_mov_b32_e32 v7, 0
	v_mov_b32_e32 v8, 0
	v_cmp_gt_u64_e64 s1, s[16:17], v[11:12]
	v_mov_b32_e32 v11, 0
	v_mov_b32_e32 v12, 0
	s_and_saveexec_b32 s3, s1
	s_cbranch_execz .LBB27_10
; %bb.9:                                ;   in Loop: Header=BB27_4 Depth=1
	v_add_co_u32 v11, s2, v1, s23
	v_add_co_ci_u32_e64 v12, null, 0, v2, s2
	global_load_dwordx2 v[11:12], v[11:12], off
.LBB27_10:                              ;   in Loop: Header=BB27_4 Depth=1
	s_or_b32 exec_lo, exec_lo, s3
	v_add_co_u32 v19, s2, v14, s18
	v_add_co_ci_u32_e64 v20, null, s19, v15, s2
	v_cmp_gt_u64_e64 s2, s[16:17], v[19:20]
	s_and_saveexec_b32 s24, s2
	s_cbranch_execnz .LBB27_15
; %bb.11:                               ;   in Loop: Header=BB27_4 Depth=1
	s_or_b32 exec_lo, exec_lo, s24
	s_and_saveexec_b32 s3, vcc_lo
	s_cbranch_execnz .LBB27_16
.LBB27_12:                              ;   in Loop: Header=BB27_4 Depth=1
	s_or_b32 exec_lo, exec_lo, s3
	s_and_saveexec_b32 s3, s0
	s_cbranch_execnz .LBB27_17
.LBB27_13:                              ;   in Loop: Header=BB27_4 Depth=1
	s_or_b32 exec_lo, exec_lo, s3
	s_and_saveexec_b32 s0, s1
	s_cbranch_execnz .LBB27_18
.LBB27_14:                              ;   in Loop: Header=BB27_4 Depth=1
	s_or_b32 exec_lo, exec_lo, s0
	s_and_saveexec_b32 s0, s2
	s_cbranch_execz .LBB27_3
	s_branch .LBB27_19
.LBB27_15:                              ;   in Loop: Header=BB27_4 Depth=1
	v_add_co_u32 v7, s3, v1, s22
	v_add_co_ci_u32_e64 v8, null, 0, v2, s3
	global_load_dwordx2 v[7:8], v[7:8], off
	s_or_b32 exec_lo, exec_lo, s24
	s_and_saveexec_b32 s3, vcc_lo
	s_cbranch_execz .LBB27_12
.LBB27_16:                              ;   in Loop: Header=BB27_4 Depth=1
	s_waitcnt vmcnt(0)
	v_mul_lo_u32 v19, v10, s8
	v_mul_lo_u32 v20, v9, s9
	v_mad_u64_u32 v[9:10], null, v9, s8, 0
	v_add3_u32 v10, v10, v20, v19
	global_store_dwordx2 v[1:2], v[9:10], off
	s_or_b32 exec_lo, exec_lo, s3
	s_and_saveexec_b32 s3, s0
	s_cbranch_execz .LBB27_13
.LBB27_17:                              ;   in Loop: Header=BB27_4 Depth=1
	s_waitcnt vmcnt(0)
	v_mul_lo_u32 v9, v6, s8
	v_mul_lo_u32 v10, v5, s9
	v_mad_u64_u32 v[5:6], null, v5, s8, 0
	v_add3_u32 v6, v6, v10, v9
	global_store_dwordx2 v[3:4], v[5:6], off
	s_or_b32 exec_lo, exec_lo, s3
	s_and_saveexec_b32 s0, s1
	s_cbranch_execz .LBB27_14
.LBB27_18:                              ;   in Loop: Header=BB27_4 Depth=1
	s_waitcnt vmcnt(0)
	v_mul_lo_u32 v9, v12, s8
	v_mul_lo_u32 v10, v11, s9
	v_mad_u64_u32 v[5:6], null, v11, s8, 0
	v_add3_u32 v6, v6, v10, v9
	v_add_co_u32 v9, vcc_lo, v1, s23
	v_add_co_ci_u32_e64 v10, null, 0, v2, vcc_lo
	global_store_dwordx2 v[9:10], v[5:6], off
	s_or_b32 exec_lo, exec_lo, s0
	s_and_saveexec_b32 s0, s2
	s_cbranch_execz .LBB27_3
.LBB27_19:                              ;   in Loop: Header=BB27_4 Depth=1
	s_waitcnt vmcnt(0)
	v_mul_lo_u32 v8, v8, s8
	v_mul_lo_u32 v9, v7, s9
	v_mad_u64_u32 v[5:6], null, v7, s8, 0
	v_add_co_u32 v7, vcc_lo, v1, s22
	v_add3_u32 v6, v6, v9, v8
	v_add_co_ci_u32_e64 v8, null, 0, v2, vcc_lo
	global_store_dwordx2 v[7:8], v[5:6], off
	s_branch .LBB27_3
.LBB27_20:
	s_cbranch_execz .LBB27_22
	s_branch .LBB27_25
.LBB27_21:
.LBB27_22:
	v_cmp_gt_i64_e64 s0, 0x10000, s[14:15]
	v_mov_b32_e32 v2, 0
	v_lshlrev_b32_e32 v1, 2, v0
	s_mov_b32 s1, 0
	s_and_b32 s0, s0, exec_lo
	s_cselect_b32 s3, s15, 0
	s_cselect_b32 s2, s14, 0x10000
	s_mov_b32 s0, exec_lo
	v_cmpx_gt_i64_e64 s[2:3], v[1:2]
	s_cbranch_execz .LBB27_25
; %bb.23:
	s_load_dword s0, s[4:5], 0xf54
	v_lshlrev_b32_e32 v1, 5, v0
	s_waitcnt lgkmcnt(0)
	s_and_b32 s4, s0, 0xffff
	s_add_u32 s0, s10, s12
	s_addc_u32 s5, s11, s13
	v_add_co_u32 v3, s0, s0, v1
	v_add_co_ci_u32_e64 v4, null, s5, 0, s0
	v_mov_b32_e32 v1, v2
	v_add_co_u32 v2, vcc_lo, v3, 16
	v_add_co_ci_u32_e64 v3, null, 0, v4, vcc_lo
	s_lshl_b32 s5, s4, 5
.LBB27_24:                              ; =>This Inner Loop Header: Depth=1
	s_clause 0x1
	global_load_dwordx4 v[4:7], v[2:3], off offset:-16
	global_load_dwordx4 v[8:11], v[2:3], off
	v_add_co_u32 v0, vcc_lo, v0, s4
	v_add_co_ci_u32_e64 v1, null, 0, v1, vcc_lo
	s_waitcnt vmcnt(2)
	v_lshlrev_b64 v[12:13], 2, v[0:1]
	v_cmp_le_i64_e32 vcc_lo, s[2:3], v[12:13]
	s_or_b32 s1, vcc_lo, s1
	s_waitcnt vmcnt(1)
	v_mul_lo_u32 v14, v5, s8
	v_mul_lo_u32 v15, v4, s9
	v_mad_u64_u32 v[4:5], null, v4, s8, 0
	v_mul_lo_u32 v16, v7, s8
	v_mul_lo_u32 v17, v6, s9
	v_mad_u64_u32 v[6:7], null, v6, s8, 0
	s_waitcnt vmcnt(0)
	v_mul_lo_u32 v18, v9, s8
	v_mul_lo_u32 v19, v8, s9
	v_mad_u64_u32 v[8:9], null, v8, s8, 0
	v_mul_lo_u32 v20, v11, s8
	v_mul_lo_u32 v21, v10, s9
	v_mad_u64_u32 v[10:11], null, v10, s8, 0
	v_add3_u32 v5, v5, v15, v14
	v_add3_u32 v7, v7, v17, v16
	;; [unrolled: 1-line block ×4, first 2 shown]
	global_store_dwordx4 v[2:3], v[4:7], off offset:-16
	global_store_dwordx4 v[2:3], v[8:11], off
	v_add_co_u32 v2, s0, v2, s5
	v_add_co_ci_u32_e64 v3, null, 0, v3, s0
	s_andn2_b32 exec_lo, exec_lo, s1
	s_cbranch_execnz .LBB27_24
.LBB27_25:
	s_endpgm
	.section	.rodata,"a",@progbits
	.p2align	6, 0x0
	.amdhsa_kernel _ZN2at6native12_GLOBAL__N_125multi_tensor_apply_kernelINS1_28TensorListScalarListMetadataIlLi1EEENS1_25BinaryOpScalarListFunctorIlLi1ELi1ELi0EEEJSt10multipliesIlEEEEvT_T0_DpT1_
		.amdhsa_group_segment_fixed_size 0
		.amdhsa_private_segment_fixed_size 0
		.amdhsa_kernarg_size 4168
		.amdhsa_user_sgpr_count 6
		.amdhsa_user_sgpr_private_segment_buffer 1
		.amdhsa_user_sgpr_dispatch_ptr 0
		.amdhsa_user_sgpr_queue_ptr 0
		.amdhsa_user_sgpr_kernarg_segment_ptr 1
		.amdhsa_user_sgpr_dispatch_id 0
		.amdhsa_user_sgpr_flat_scratch_init 0
		.amdhsa_user_sgpr_private_segment_size 0
		.amdhsa_wavefront_size32 1
		.amdhsa_uses_dynamic_stack 0
		.amdhsa_system_sgpr_private_segment_wavefront_offset 0
		.amdhsa_system_sgpr_workgroup_id_x 1
		.amdhsa_system_sgpr_workgroup_id_y 0
		.amdhsa_system_sgpr_workgroup_id_z 0
		.amdhsa_system_sgpr_workgroup_info 0
		.amdhsa_system_vgpr_workitem_id 0
		.amdhsa_next_free_vgpr 22
		.amdhsa_next_free_sgpr 25
		.amdhsa_reserve_vcc 1
		.amdhsa_reserve_flat_scratch 0
		.amdhsa_float_round_mode_32 0
		.amdhsa_float_round_mode_16_64 0
		.amdhsa_float_denorm_mode_32 3
		.amdhsa_float_denorm_mode_16_64 3
		.amdhsa_dx10_clamp 1
		.amdhsa_ieee_mode 1
		.amdhsa_fp16_overflow 0
		.amdhsa_workgroup_processor_mode 1
		.amdhsa_memory_ordered 1
		.amdhsa_forward_progress 1
		.amdhsa_shared_vgpr_count 0
		.amdhsa_exception_fp_ieee_invalid_op 0
		.amdhsa_exception_fp_denorm_src 0
		.amdhsa_exception_fp_ieee_div_zero 0
		.amdhsa_exception_fp_ieee_overflow 0
		.amdhsa_exception_fp_ieee_underflow 0
		.amdhsa_exception_fp_ieee_inexact 0
		.amdhsa_exception_int_div_zero 0
	.end_amdhsa_kernel
	.section	.text._ZN2at6native12_GLOBAL__N_125multi_tensor_apply_kernelINS1_28TensorListScalarListMetadataIlLi1EEENS1_25BinaryOpScalarListFunctorIlLi1ELi1ELi0EEEJSt10multipliesIlEEEEvT_T0_DpT1_,"axG",@progbits,_ZN2at6native12_GLOBAL__N_125multi_tensor_apply_kernelINS1_28TensorListScalarListMetadataIlLi1EEENS1_25BinaryOpScalarListFunctorIlLi1ELi1ELi0EEEJSt10multipliesIlEEEEvT_T0_DpT1_,comdat
.Lfunc_end27:
	.size	_ZN2at6native12_GLOBAL__N_125multi_tensor_apply_kernelINS1_28TensorListScalarListMetadataIlLi1EEENS1_25BinaryOpScalarListFunctorIlLi1ELi1ELi0EEEJSt10multipliesIlEEEEvT_T0_DpT1_, .Lfunc_end27-_ZN2at6native12_GLOBAL__N_125multi_tensor_apply_kernelINS1_28TensorListScalarListMetadataIlLi1EEENS1_25BinaryOpScalarListFunctorIlLi1ELi1ELi0EEEJSt10multipliesIlEEEEvT_T0_DpT1_
                                        ; -- End function
	.set _ZN2at6native12_GLOBAL__N_125multi_tensor_apply_kernelINS1_28TensorListScalarListMetadataIlLi1EEENS1_25BinaryOpScalarListFunctorIlLi1ELi1ELi0EEEJSt10multipliesIlEEEEvT_T0_DpT1_.num_vgpr, 22
	.set _ZN2at6native12_GLOBAL__N_125multi_tensor_apply_kernelINS1_28TensorListScalarListMetadataIlLi1EEENS1_25BinaryOpScalarListFunctorIlLi1ELi1ELi0EEEJSt10multipliesIlEEEEvT_T0_DpT1_.num_agpr, 0
	.set _ZN2at6native12_GLOBAL__N_125multi_tensor_apply_kernelINS1_28TensorListScalarListMetadataIlLi1EEENS1_25BinaryOpScalarListFunctorIlLi1ELi1ELi0EEEJSt10multipliesIlEEEEvT_T0_DpT1_.numbered_sgpr, 25
	.set _ZN2at6native12_GLOBAL__N_125multi_tensor_apply_kernelINS1_28TensorListScalarListMetadataIlLi1EEENS1_25BinaryOpScalarListFunctorIlLi1ELi1ELi0EEEJSt10multipliesIlEEEEvT_T0_DpT1_.num_named_barrier, 0
	.set _ZN2at6native12_GLOBAL__N_125multi_tensor_apply_kernelINS1_28TensorListScalarListMetadataIlLi1EEENS1_25BinaryOpScalarListFunctorIlLi1ELi1ELi0EEEJSt10multipliesIlEEEEvT_T0_DpT1_.private_seg_size, 0
	.set _ZN2at6native12_GLOBAL__N_125multi_tensor_apply_kernelINS1_28TensorListScalarListMetadataIlLi1EEENS1_25BinaryOpScalarListFunctorIlLi1ELi1ELi0EEEJSt10multipliesIlEEEEvT_T0_DpT1_.uses_vcc, 1
	.set _ZN2at6native12_GLOBAL__N_125multi_tensor_apply_kernelINS1_28TensorListScalarListMetadataIlLi1EEENS1_25BinaryOpScalarListFunctorIlLi1ELi1ELi0EEEJSt10multipliesIlEEEEvT_T0_DpT1_.uses_flat_scratch, 0
	.set _ZN2at6native12_GLOBAL__N_125multi_tensor_apply_kernelINS1_28TensorListScalarListMetadataIlLi1EEENS1_25BinaryOpScalarListFunctorIlLi1ELi1ELi0EEEJSt10multipliesIlEEEEvT_T0_DpT1_.has_dyn_sized_stack, 0
	.set _ZN2at6native12_GLOBAL__N_125multi_tensor_apply_kernelINS1_28TensorListScalarListMetadataIlLi1EEENS1_25BinaryOpScalarListFunctorIlLi1ELi1ELi0EEEJSt10multipliesIlEEEEvT_T0_DpT1_.has_recursion, 0
	.set _ZN2at6native12_GLOBAL__N_125multi_tensor_apply_kernelINS1_28TensorListScalarListMetadataIlLi1EEENS1_25BinaryOpScalarListFunctorIlLi1ELi1ELi0EEEJSt10multipliesIlEEEEvT_T0_DpT1_.has_indirect_call, 0
	.section	.AMDGPU.csdata,"",@progbits
; Kernel info:
; codeLenInByte = 1336
; TotalNumSgprs: 27
; NumVgprs: 22
; ScratchSize: 0
; MemoryBound: 0
; FloatMode: 240
; IeeeMode: 1
; LDSByteSize: 0 bytes/workgroup (compile time only)
; SGPRBlocks: 0
; VGPRBlocks: 2
; NumSGPRsForWavesPerEU: 27
; NumVGPRsForWavesPerEU: 22
; Occupancy: 16
; WaveLimiterHint : 1
; COMPUTE_PGM_RSRC2:SCRATCH_EN: 0
; COMPUTE_PGM_RSRC2:USER_SGPR: 6
; COMPUTE_PGM_RSRC2:TRAP_HANDLER: 0
; COMPUTE_PGM_RSRC2:TGID_X_EN: 1
; COMPUTE_PGM_RSRC2:TGID_Y_EN: 0
; COMPUTE_PGM_RSRC2:TGID_Z_EN: 0
; COMPUTE_PGM_RSRC2:TIDIG_COMP_CNT: 0
	.section	.text._ZN2at6native12_GLOBAL__N_125multi_tensor_apply_kernelINS1_28TensorListScalarListMetadataIsLi1EEENS1_25BinaryOpScalarListFunctorIsLi1ELi1ELi0EEEJSt10multipliesIsEEEEvT_T0_DpT1_,"axG",@progbits,_ZN2at6native12_GLOBAL__N_125multi_tensor_apply_kernelINS1_28TensorListScalarListMetadataIsLi1EEENS1_25BinaryOpScalarListFunctorIsLi1ELi1ELi0EEEJSt10multipliesIsEEEEvT_T0_DpT1_,comdat
	.globl	_ZN2at6native12_GLOBAL__N_125multi_tensor_apply_kernelINS1_28TensorListScalarListMetadataIsLi1EEENS1_25BinaryOpScalarListFunctorIsLi1ELi1ELi0EEEJSt10multipliesIsEEEEvT_T0_DpT1_ ; -- Begin function _ZN2at6native12_GLOBAL__N_125multi_tensor_apply_kernelINS1_28TensorListScalarListMetadataIsLi1EEENS1_25BinaryOpScalarListFunctorIsLi1ELi1ELi0EEEJSt10multipliesIsEEEEvT_T0_DpT1_
	.p2align	8
	.type	_ZN2at6native12_GLOBAL__N_125multi_tensor_apply_kernelINS1_28TensorListScalarListMetadataIsLi1EEENS1_25BinaryOpScalarListFunctorIsLi1ELi1ELi0EEEJSt10multipliesIsEEEEvT_T0_DpT1_,@function
_ZN2at6native12_GLOBAL__N_125multi_tensor_apply_kernelINS1_28TensorListScalarListMetadataIsLi1EEENS1_25BinaryOpScalarListFunctorIsLi1ELi1ELi0EEEJSt10multipliesIsEEEEvT_T0_DpT1_: ; @_ZN2at6native12_GLOBAL__N_125multi_tensor_apply_kernelINS1_28TensorListScalarListMetadataIsLi1EEENS1_25BinaryOpScalarListFunctorIsLi1ELi1ELi0EEEJSt10multipliesIsEEEEvT_T0_DpT1_
; %bb.0:
	v_mov_b32_e32 v1, s6
	s_add_u32 s0, s4, s6
	s_mul_i32 s1, s6, 3
	s_mul_hi_u32 s2, s6, 3
	s_addc_u32 s3, s5, 0
	global_load_ubyte v1, v1, s[4:5] offset:1728
	s_add_u32 s0, s0, s1
	s_addc_u32 s1, s3, s2
	s_mov_b32 s13, 0
	s_load_dword s0, s[0:1], 0x800
	s_waitcnt vmcnt(0)
	v_readfirstlane_b32 s1, v1
	v_mul_lo_u32 v2, v1, -6
	v_mul_hi_i32 v3, v1, -6
	s_lshl_b32 s6, s1, 3
	s_waitcnt lgkmcnt(0)
	s_ashr_i32 s1, s0, 31
	s_add_u32 s7, s4, s6
	s_addc_u32 s8, s5, 0
	v_add_co_u32 v1, vcc_lo, s7, v2
	v_add_co_ci_u32_e64 v2, null, s8, v3, vcc_lo
	s_load_dwordx2 s[2:3], s[4:5], s6 offset:0x300
	s_lshl_b64 s[8:9], s[0:1], 17
	s_lshl_b64 s[0:1], s[0:1], 16
	global_load_ushort v5, v[1:2], off offset:1536
	s_load_dwordx2 s[6:7], s[4:5], s6 offset:0x0
	s_waitcnt lgkmcnt(0)
	s_and_b32 s12, s6, 7
	s_sub_u32 s10, s2, s0
	s_subb_u32 s11, s3, s1
	s_and_b32 s0, s2, 3
	s_mov_b32 s1, s13
	s_or_b64 s[0:1], s[12:13], s[0:1]
	s_cmp_eq_u64 s[0:1], 0
	s_cbranch_scc1 .LBB28_21
; %bb.1:
	v_cmp_lt_i64_e64 s0, s[10:11], 1
	s_and_b32 vcc_lo, exec_lo, s0
	s_cbranch_vccnz .LBB28_20
; %bb.2:
	s_load_dword s0, s[4:5], 0xd14
	v_cmp_gt_i64_e64 s1, 0x10000, s[10:11]
	v_cmp_gt_u64_e64 s2, 0x10000, s[10:11]
	v_lshlrev_b32_e32 v1, 1, v0
	s_and_b32 s1, s1, exec_lo
	s_cselect_b32 s13, s11, 0
	s_cselect_b32 s12, s10, 0x10000
	s_waitcnt lgkmcnt(0)
	s_and_b32 s0, s0, 0xffff
	s_and_b32 s1, s2, exec_lo
	v_add_co_u32 v6, s3, v0, s0
	s_cselect_b32 s15, s11, 0
	s_cselect_b32 s14, s10, 0x10000
	s_lshl_b32 s1, s0, 1
	v_lshlrev_b32_e32 v3, 1, v6
	s_mul_i32 s2, s0, 3
	s_lshl_b32 s18, s0, 2
	s_add_u32 s16, s6, s8
	v_add_co_u32 v7, s2, s2, v0
	v_add_co_u32 v10, s1, s1, v0
	s_addc_u32 s17, s7, s9
	v_add_co_ci_u32_e64 v8, null, 0, 0, s2
	v_add_co_u32 v1, s2, s16, v1
	v_add_co_ci_u32_e64 v11, null, 0, 0, s1
	v_add_co_u32 v3, s1, s16, v3
	v_add_co_ci_u32_e64 v2, null, s17, 0, s2
	v_add_co_ci_u32_e64 v9, null, 0, 0, s3
	;; [unrolled: 1-line block ×3, first 2 shown]
	s_lshl_b32 s19, s0, 3
	s_mul_i32 s20, s0, 6
	s_mov_b64 s[16:17], 0
	s_branch .LBB28_4
.LBB28_3:                               ;   in Loop: Header=BB28_4 Depth=1
	s_or_b32 exec_lo, exec_lo, s0
	s_add_u32 s16, s16, s18
	s_addc_u32 s17, s17, 0
	v_add_co_u32 v1, vcc_lo, v1, s19
	v_cmp_lt_i64_e64 s0, s[16:17], s[12:13]
	v_add_co_ci_u32_e64 v2, null, 0, v2, vcc_lo
	v_add_co_u32 v3, vcc_lo, v3, s19
	v_add_co_ci_u32_e64 v4, null, 0, v4, vcc_lo
	s_and_b32 vcc_lo, exec_lo, s0
	s_cbranch_vccz .LBB28_20
.LBB28_4:                               ; =>This Inner Loop Header: Depth=1
	s_waitcnt vmcnt(0)
	v_add_co_u32 v12, s0, v0, s16
	v_add_co_ci_u32_e64 v13, null, 0, s17, s0
	v_cmp_gt_u64_e32 vcc_lo, s[14:15], v[12:13]
	v_mov_b32_e32 v12, 0
	s_and_saveexec_b32 s0, vcc_lo
	s_cbranch_execz .LBB28_6
; %bb.5:                                ;   in Loop: Header=BB28_4 Depth=1
	global_load_ushort v12, v[1:2], off
.LBB28_6:                               ;   in Loop: Header=BB28_4 Depth=1
	s_or_b32 exec_lo, exec_lo, s0
	v_add_co_u32 v13, s0, v6, s16
	v_add_co_ci_u32_e64 v14, null, s17, v9, s0
	v_cmp_gt_u64_e64 s0, s[14:15], v[13:14]
	v_mov_b32_e32 v13, 0
	v_mov_b32_e32 v14, 0
	s_and_saveexec_b32 s1, s0
	s_cbranch_execz .LBB28_8
; %bb.7:                                ;   in Loop: Header=BB28_4 Depth=1
	global_load_ushort v14, v[3:4], off
.LBB28_8:                               ;   in Loop: Header=BB28_4 Depth=1
	s_or_b32 exec_lo, exec_lo, s1
	v_add_co_u32 v15, s1, v10, s16
	v_add_co_ci_u32_e64 v16, null, s17, v11, s1
	v_cmp_gt_u64_e64 s1, s[14:15], v[15:16]
	s_and_saveexec_b32 s3, s1
	s_cbranch_execz .LBB28_10
; %bb.9:                                ;   in Loop: Header=BB28_4 Depth=1
	v_add_co_u32 v15, s2, v1, s18
	v_add_co_ci_u32_e64 v16, null, 0, v2, s2
	global_load_ushort v13, v[15:16], off
.LBB28_10:                              ;   in Loop: Header=BB28_4 Depth=1
	s_or_b32 exec_lo, exec_lo, s3
	v_add_co_u32 v15, s2, v7, s16
	v_add_co_ci_u32_e64 v16, null, s17, v8, s2
	v_cmp_gt_u64_e64 s2, s[14:15], v[15:16]
	v_mov_b32_e32 v15, 0
	s_and_saveexec_b32 s21, s2
	s_cbranch_execnz .LBB28_15
; %bb.11:                               ;   in Loop: Header=BB28_4 Depth=1
	s_or_b32 exec_lo, exec_lo, s21
	s_and_saveexec_b32 s3, vcc_lo
	s_cbranch_execnz .LBB28_16
.LBB28_12:                              ;   in Loop: Header=BB28_4 Depth=1
	s_or_b32 exec_lo, exec_lo, s3
	s_and_saveexec_b32 s3, s0
	s_cbranch_execnz .LBB28_17
.LBB28_13:                              ;   in Loop: Header=BB28_4 Depth=1
	s_or_b32 exec_lo, exec_lo, s3
	s_and_saveexec_b32 s0, s1
	s_cbranch_execnz .LBB28_18
.LBB28_14:                              ;   in Loop: Header=BB28_4 Depth=1
	s_or_b32 exec_lo, exec_lo, s0
	s_and_saveexec_b32 s0, s2
	s_cbranch_execz .LBB28_3
	s_branch .LBB28_19
.LBB28_15:                              ;   in Loop: Header=BB28_4 Depth=1
	v_add_co_u32 v15, s3, v1, s20
	v_add_co_ci_u32_e64 v16, null, 0, v2, s3
	global_load_ushort v15, v[15:16], off
	s_or_b32 exec_lo, exec_lo, s21
	s_and_saveexec_b32 s3, vcc_lo
	s_cbranch_execz .LBB28_12
.LBB28_16:                              ;   in Loop: Header=BB28_4 Depth=1
	s_waitcnt vmcnt(0)
	v_mul_lo_u16 v12, v12, v5
	global_store_short v[1:2], v12, off
	s_or_b32 exec_lo, exec_lo, s3
	s_and_saveexec_b32 s3, s0
	s_cbranch_execz .LBB28_13
.LBB28_17:                              ;   in Loop: Header=BB28_4 Depth=1
	s_waitcnt vmcnt(0)
	v_mul_lo_u16 v12, v14, v5
	global_store_short v[3:4], v12, off
	s_or_b32 exec_lo, exec_lo, s3
	s_and_saveexec_b32 s0, s1
	s_cbranch_execz .LBB28_14
.LBB28_18:                              ;   in Loop: Header=BB28_4 Depth=1
	s_waitcnt vmcnt(0)
	v_add_co_u32 v12, vcc_lo, v1, s18
	v_mul_lo_u16 v14, v13, v5
	v_add_co_ci_u32_e64 v13, null, 0, v2, vcc_lo
	global_store_short v[12:13], v14, off
	s_or_b32 exec_lo, exec_lo, s0
	s_and_saveexec_b32 s0, s2
	s_cbranch_execz .LBB28_3
.LBB28_19:                              ;   in Loop: Header=BB28_4 Depth=1
	s_waitcnt vmcnt(0)
	v_add_co_u32 v12, vcc_lo, v1, s20
	v_mul_lo_u16 v14, v15, v5
	v_add_co_ci_u32_e64 v13, null, 0, v2, vcc_lo
	global_store_short v[12:13], v14, off
	s_branch .LBB28_3
.LBB28_20:
	s_cbranch_execz .LBB28_22
	s_branch .LBB28_25
.LBB28_21:
.LBB28_22:
	v_cmp_gt_i64_e64 s0, 0x10000, s[10:11]
	v_mov_b32_e32 v2, 0
	v_lshlrev_b32_e32 v1, 2, v0
	s_mov_b32 s1, 0
	s_and_b32 s0, s0, exec_lo
	s_cselect_b32 s3, s11, 0
	s_cselect_b32 s2, s10, 0x10000
	s_mov_b32 s0, exec_lo
	v_cmpx_gt_i64_e64 s[2:3], v[1:2]
	s_cbranch_execz .LBB28_25
; %bb.23:
	s_load_dword s0, s[4:5], 0xd14
	v_mov_b32_e32 v1, v2
	v_lshlrev_b32_e32 v2, 3, v0
	s_waitcnt lgkmcnt(0)
	s_and_b32 s4, s0, 0xffff
	s_add_u32 s0, s6, s8
	s_addc_u32 s5, s7, s9
	v_add_co_u32 v2, s0, s0, v2
	v_add_co_ci_u32_e64 v3, null, s5, 0, s0
	s_lshl_b32 s5, s4, 3
	s_inst_prefetch 0x1
	.p2align	6
.LBB28_24:                              ; =>This Inner Loop Header: Depth=1
	global_load_dwordx2 v[6:7], v[2:3], off
	v_add_co_u32 v0, vcc_lo, v0, s4
	v_add_co_ci_u32_e64 v1, null, 0, v1, vcc_lo
	s_waitcnt vmcnt(0)
	v_lshrrev_b32_e32 v4, 16, v6
	v_lshrrev_b32_e32 v8, 16, v7
	v_mul_lo_u16 v10, v5, v6
	v_mul_lo_u16 v9, v5, v7
	v_lshlrev_b64 v[6:7], 2, v[0:1]
	v_mul_lo_u16 v4, v5, v4
	v_mul_lo_u16 v8, v5, v8
	v_cmp_le_i64_e32 vcc_lo, s[2:3], v[6:7]
	v_perm_b32 v9, v8, v9, 0x5040100
	v_perm_b32 v8, v4, v10, 0x5040100
	s_or_b32 s1, vcc_lo, s1
	global_store_dwordx2 v[2:3], v[8:9], off
	v_add_co_u32 v2, s0, v2, s5
	v_add_co_ci_u32_e64 v3, null, 0, v3, s0
	s_andn2_b32 exec_lo, exec_lo, s1
	s_cbranch_execnz .LBB28_24
.LBB28_25:
	s_inst_prefetch 0x2
	s_endpgm
	.section	.rodata,"a",@progbits
	.p2align	6, 0x0
	.amdhsa_kernel _ZN2at6native12_GLOBAL__N_125multi_tensor_apply_kernelINS1_28TensorListScalarListMetadataIsLi1EEENS1_25BinaryOpScalarListFunctorIsLi1ELi1ELi0EEEJSt10multipliesIsEEEEvT_T0_DpT1_
		.amdhsa_group_segment_fixed_size 0
		.amdhsa_private_segment_fixed_size 0
		.amdhsa_kernarg_size 3592
		.amdhsa_user_sgpr_count 6
		.amdhsa_user_sgpr_private_segment_buffer 1
		.amdhsa_user_sgpr_dispatch_ptr 0
		.amdhsa_user_sgpr_queue_ptr 0
		.amdhsa_user_sgpr_kernarg_segment_ptr 1
		.amdhsa_user_sgpr_dispatch_id 0
		.amdhsa_user_sgpr_flat_scratch_init 0
		.amdhsa_user_sgpr_private_segment_size 0
		.amdhsa_wavefront_size32 1
		.amdhsa_uses_dynamic_stack 0
		.amdhsa_system_sgpr_private_segment_wavefront_offset 0
		.amdhsa_system_sgpr_workgroup_id_x 1
		.amdhsa_system_sgpr_workgroup_id_y 0
		.amdhsa_system_sgpr_workgroup_id_z 0
		.amdhsa_system_sgpr_workgroup_info 0
		.amdhsa_system_vgpr_workitem_id 0
		.amdhsa_next_free_vgpr 17
		.amdhsa_next_free_sgpr 22
		.amdhsa_reserve_vcc 1
		.amdhsa_reserve_flat_scratch 0
		.amdhsa_float_round_mode_32 0
		.amdhsa_float_round_mode_16_64 0
		.amdhsa_float_denorm_mode_32 3
		.amdhsa_float_denorm_mode_16_64 3
		.amdhsa_dx10_clamp 1
		.amdhsa_ieee_mode 1
		.amdhsa_fp16_overflow 0
		.amdhsa_workgroup_processor_mode 1
		.amdhsa_memory_ordered 1
		.amdhsa_forward_progress 1
		.amdhsa_shared_vgpr_count 0
		.amdhsa_exception_fp_ieee_invalid_op 0
		.amdhsa_exception_fp_denorm_src 0
		.amdhsa_exception_fp_ieee_div_zero 0
		.amdhsa_exception_fp_ieee_overflow 0
		.amdhsa_exception_fp_ieee_underflow 0
		.amdhsa_exception_fp_ieee_inexact 0
		.amdhsa_exception_int_div_zero 0
	.end_amdhsa_kernel
	.section	.text._ZN2at6native12_GLOBAL__N_125multi_tensor_apply_kernelINS1_28TensorListScalarListMetadataIsLi1EEENS1_25BinaryOpScalarListFunctorIsLi1ELi1ELi0EEEJSt10multipliesIsEEEEvT_T0_DpT1_,"axG",@progbits,_ZN2at6native12_GLOBAL__N_125multi_tensor_apply_kernelINS1_28TensorListScalarListMetadataIsLi1EEENS1_25BinaryOpScalarListFunctorIsLi1ELi1ELi0EEEJSt10multipliesIsEEEEvT_T0_DpT1_,comdat
.Lfunc_end28:
	.size	_ZN2at6native12_GLOBAL__N_125multi_tensor_apply_kernelINS1_28TensorListScalarListMetadataIsLi1EEENS1_25BinaryOpScalarListFunctorIsLi1ELi1ELi0EEEJSt10multipliesIsEEEEvT_T0_DpT1_, .Lfunc_end28-_ZN2at6native12_GLOBAL__N_125multi_tensor_apply_kernelINS1_28TensorListScalarListMetadataIsLi1EEENS1_25BinaryOpScalarListFunctorIsLi1ELi1ELi0EEEJSt10multipliesIsEEEEvT_T0_DpT1_
                                        ; -- End function
	.set _ZN2at6native12_GLOBAL__N_125multi_tensor_apply_kernelINS1_28TensorListScalarListMetadataIsLi1EEENS1_25BinaryOpScalarListFunctorIsLi1ELi1ELi0EEEJSt10multipliesIsEEEEvT_T0_DpT1_.num_vgpr, 17
	.set _ZN2at6native12_GLOBAL__N_125multi_tensor_apply_kernelINS1_28TensorListScalarListMetadataIsLi1EEENS1_25BinaryOpScalarListFunctorIsLi1ELi1ELi0EEEJSt10multipliesIsEEEEvT_T0_DpT1_.num_agpr, 0
	.set _ZN2at6native12_GLOBAL__N_125multi_tensor_apply_kernelINS1_28TensorListScalarListMetadataIsLi1EEENS1_25BinaryOpScalarListFunctorIsLi1ELi1ELi0EEEJSt10multipliesIsEEEEvT_T0_DpT1_.numbered_sgpr, 22
	.set _ZN2at6native12_GLOBAL__N_125multi_tensor_apply_kernelINS1_28TensorListScalarListMetadataIsLi1EEENS1_25BinaryOpScalarListFunctorIsLi1ELi1ELi0EEEJSt10multipliesIsEEEEvT_T0_DpT1_.num_named_barrier, 0
	.set _ZN2at6native12_GLOBAL__N_125multi_tensor_apply_kernelINS1_28TensorListScalarListMetadataIsLi1EEENS1_25BinaryOpScalarListFunctorIsLi1ELi1ELi0EEEJSt10multipliesIsEEEEvT_T0_DpT1_.private_seg_size, 0
	.set _ZN2at6native12_GLOBAL__N_125multi_tensor_apply_kernelINS1_28TensorListScalarListMetadataIsLi1EEENS1_25BinaryOpScalarListFunctorIsLi1ELi1ELi0EEEJSt10multipliesIsEEEEvT_T0_DpT1_.uses_vcc, 1
	.set _ZN2at6native12_GLOBAL__N_125multi_tensor_apply_kernelINS1_28TensorListScalarListMetadataIsLi1EEENS1_25BinaryOpScalarListFunctorIsLi1ELi1ELi0EEEJSt10multipliesIsEEEEvT_T0_DpT1_.uses_flat_scratch, 0
	.set _ZN2at6native12_GLOBAL__N_125multi_tensor_apply_kernelINS1_28TensorListScalarListMetadataIsLi1EEENS1_25BinaryOpScalarListFunctorIsLi1ELi1ELi0EEEJSt10multipliesIsEEEEvT_T0_DpT1_.has_dyn_sized_stack, 0
	.set _ZN2at6native12_GLOBAL__N_125multi_tensor_apply_kernelINS1_28TensorListScalarListMetadataIsLi1EEENS1_25BinaryOpScalarListFunctorIsLi1ELi1ELi0EEEJSt10multipliesIsEEEEvT_T0_DpT1_.has_recursion, 0
	.set _ZN2at6native12_GLOBAL__N_125multi_tensor_apply_kernelINS1_28TensorListScalarListMetadataIsLi1EEENS1_25BinaryOpScalarListFunctorIsLi1ELi1ELi0EEEJSt10multipliesIsEEEEvT_T0_DpT1_.has_indirect_call, 0
	.section	.AMDGPU.csdata,"",@progbits
; Kernel info:
; codeLenInByte = 1172
; TotalNumSgprs: 24
; NumVgprs: 17
; ScratchSize: 0
; MemoryBound: 0
; FloatMode: 240
; IeeeMode: 1
; LDSByteSize: 0 bytes/workgroup (compile time only)
; SGPRBlocks: 0
; VGPRBlocks: 2
; NumSGPRsForWavesPerEU: 24
; NumVGPRsForWavesPerEU: 17
; Occupancy: 16
; WaveLimiterHint : 0
; COMPUTE_PGM_RSRC2:SCRATCH_EN: 0
; COMPUTE_PGM_RSRC2:USER_SGPR: 6
; COMPUTE_PGM_RSRC2:TRAP_HANDLER: 0
; COMPUTE_PGM_RSRC2:TGID_X_EN: 1
; COMPUTE_PGM_RSRC2:TGID_Y_EN: 0
; COMPUTE_PGM_RSRC2:TGID_Z_EN: 0
; COMPUTE_PGM_RSRC2:TIDIG_COMP_CNT: 0
	.section	.text._ZN2at6native12_GLOBAL__N_125multi_tensor_apply_kernelINS1_28TensorListScalarListMetadataIdLi1EEENS1_25BinaryOpScalarListFunctorIdLi1ELi1ELi0EEEJSt10multipliesIdEEEEvT_T0_DpT1_,"axG",@progbits,_ZN2at6native12_GLOBAL__N_125multi_tensor_apply_kernelINS1_28TensorListScalarListMetadataIdLi1EEENS1_25BinaryOpScalarListFunctorIdLi1ELi1ELi0EEEJSt10multipliesIdEEEEvT_T0_DpT1_,comdat
	.globl	_ZN2at6native12_GLOBAL__N_125multi_tensor_apply_kernelINS1_28TensorListScalarListMetadataIdLi1EEENS1_25BinaryOpScalarListFunctorIdLi1ELi1ELi0EEEJSt10multipliesIdEEEEvT_T0_DpT1_ ; -- Begin function _ZN2at6native12_GLOBAL__N_125multi_tensor_apply_kernelINS1_28TensorListScalarListMetadataIdLi1EEENS1_25BinaryOpScalarListFunctorIdLi1ELi1ELi0EEEJSt10multipliesIdEEEEvT_T0_DpT1_
	.p2align	8
	.type	_ZN2at6native12_GLOBAL__N_125multi_tensor_apply_kernelINS1_28TensorListScalarListMetadataIdLi1EEENS1_25BinaryOpScalarListFunctorIdLi1ELi1ELi0EEEJSt10multipliesIdEEEEvT_T0_DpT1_,@function
_ZN2at6native12_GLOBAL__N_125multi_tensor_apply_kernelINS1_28TensorListScalarListMetadataIdLi1EEENS1_25BinaryOpScalarListFunctorIdLi1ELi1ELi0EEEJSt10multipliesIdEEEEvT_T0_DpT1_: ; @_ZN2at6native12_GLOBAL__N_125multi_tensor_apply_kernelINS1_28TensorListScalarListMetadataIdLi1EEENS1_25BinaryOpScalarListFunctorIdLi1ELi1ELi0EEEJSt10multipliesIdEEEEvT_T0_DpT1_
; %bb.0:
	v_mov_b32_e32 v1, 0x800
	s_add_u32 s0, s4, s6
	s_addc_u32 s1, s5, 0
	s_mov_b32 s7, 0
	global_load_ubyte v1, v1, s[0:1] offset:256
	s_lshl_b64 s[0:1], s[6:7], 2
	s_add_u32 s0, s4, s0
	s_addc_u32 s1, s5, s1
	s_load_dword s0, s[0:1], 0xa40
	s_waitcnt vmcnt(0)
	v_readfirstlane_b32 s2, v1
	s_lshl_b32 s1, s2, 3
	s_clause 0x2
	s_load_dwordx2 s[8:9], s[4:5], s1 offset:0x600
	s_load_dwordx2 s[10:11], s[4:5], s1 offset:0x0
	;; [unrolled: 1-line block ×3, first 2 shown]
	s_waitcnt lgkmcnt(0)
	s_ashr_i32 s1, s0, 31
	s_lshl_b64 s[12:13], s[0:1], 19
	s_lshl_b64 s[0:1], s[0:1], 16
	s_and_b32 s6, s10, 31
	s_sub_u32 s14, s2, s0
	s_subb_u32 s15, s3, s1
	s_and_b32 s0, s2, 3
	s_mov_b32 s1, s7
	s_or_b64 s[0:1], s[6:7], s[0:1]
	s_cmp_eq_u64 s[0:1], 0
	s_cbranch_scc1 .LBB29_21
; %bb.1:
	v_cmp_lt_i64_e64 s0, s[14:15], 1
	s_and_b32 vcc_lo, exec_lo, s0
	s_cbranch_vccnz .LBB29_20
; %bb.2:
	s_load_dword s0, s[4:5], 0xf54
	v_cmp_gt_i64_e64 s1, 0x10000, s[14:15]
	v_cmp_gt_u64_e64 s2, 0x10000, s[14:15]
	v_lshlrev_b32_e32 v1, 3, v0
	s_and_b32 s1, s1, exec_lo
	s_cselect_b32 s7, s15, 0
	s_cselect_b32 s6, s14, 0x10000
	s_waitcnt lgkmcnt(0)
	s_and_b32 s0, s0, 0xffff
	s_and_b32 s1, s2, exec_lo
	v_add_co_u32 v13, s3, v0, s0
	s_cselect_b32 s17, s15, 0
	s_cselect_b32 s16, s14, 0x10000
	s_lshl_b32 s1, s0, 1
	v_lshlrev_b32_e32 v3, 3, v13
	s_mul_i32 s2, s0, 3
	s_lshl_b32 s20, s0, 2
	s_add_u32 s18, s10, s12
	v_add_co_u32 v14, s2, s2, v0
	v_add_co_u32 v17, s1, s1, v0
	s_addc_u32 s19, s11, s13
	v_add_co_ci_u32_e64 v15, null, 0, 0, s2
	v_add_co_u32 v1, s2, s18, v1
	v_add_co_ci_u32_e64 v18, null, 0, 0, s1
	v_add_co_u32 v3, s1, s18, v3
	v_add_co_ci_u32_e64 v2, null, s19, 0, s2
	v_add_co_ci_u32_e64 v16, null, 0, 0, s3
	;; [unrolled: 1-line block ×3, first 2 shown]
	s_lshl_b32 s21, s0, 5
	s_mul_i32 s22, s0, 24
	s_lshl_b32 s23, s0, 4
	s_mov_b64 s[18:19], 0
	s_branch .LBB29_4
.LBB29_3:                               ;   in Loop: Header=BB29_4 Depth=1
	s_or_b32 exec_lo, exec_lo, s0
	s_add_u32 s18, s18, s20
	s_addc_u32 s19, s19, 0
	v_add_co_u32 v1, vcc_lo, v1, s21
	v_cmp_lt_i64_e64 s0, s[18:19], s[6:7]
	v_add_co_ci_u32_e64 v2, null, 0, v2, vcc_lo
	v_add_co_u32 v3, vcc_lo, v3, s21
	v_add_co_ci_u32_e64 v4, null, 0, v4, vcc_lo
	s_and_b32 vcc_lo, exec_lo, s0
	s_cbranch_vccz .LBB29_20
.LBB29_4:                               ; =>This Inner Loop Header: Depth=1
	s_waitcnt vmcnt(0)
	v_add_co_u32 v7, s0, v0, s18
	v_add_co_ci_u32_e64 v8, null, 0, s19, s0
	v_mov_b32_e32 v5, 0
	v_mov_b32_e32 v6, 0
	v_cmp_gt_u64_e32 vcc_lo, s[16:17], v[7:8]
	v_mov_b32_e32 v7, 0
	v_mov_b32_e32 v8, 0
	s_and_saveexec_b32 s0, vcc_lo
	s_cbranch_execz .LBB29_6
; %bb.5:                                ;   in Loop: Header=BB29_4 Depth=1
	global_load_dwordx2 v[7:8], v[1:2], off
.LBB29_6:                               ;   in Loop: Header=BB29_4 Depth=1
	s_or_b32 exec_lo, exec_lo, s0
	v_add_co_u32 v9, s0, v13, s18
	v_add_co_ci_u32_e64 v10, null, s19, v16, s0
	v_cmp_gt_u64_e64 s0, s[16:17], v[9:10]
	s_and_saveexec_b32 s1, s0
	s_cbranch_execz .LBB29_8
; %bb.7:                                ;   in Loop: Header=BB29_4 Depth=1
	global_load_dwordx2 v[5:6], v[3:4], off
.LBB29_8:                               ;   in Loop: Header=BB29_4 Depth=1
	s_or_b32 exec_lo, exec_lo, s1
	v_add_co_u32 v11, s1, v17, s18
	v_add_co_ci_u32_e64 v12, null, s19, v18, s1
	v_mov_b32_e32 v9, 0
	v_mov_b32_e32 v10, 0
	v_cmp_gt_u64_e64 s1, s[16:17], v[11:12]
	v_mov_b32_e32 v11, 0
	v_mov_b32_e32 v12, 0
	s_and_saveexec_b32 s3, s1
	s_cbranch_execz .LBB29_10
; %bb.9:                                ;   in Loop: Header=BB29_4 Depth=1
	v_add_co_u32 v11, s2, v1, s23
	v_add_co_ci_u32_e64 v12, null, 0, v2, s2
	global_load_dwordx2 v[11:12], v[11:12], off
.LBB29_10:                              ;   in Loop: Header=BB29_4 Depth=1
	s_or_b32 exec_lo, exec_lo, s3
	v_add_co_u32 v19, s2, v14, s18
	v_add_co_ci_u32_e64 v20, null, s19, v15, s2
	v_cmp_gt_u64_e64 s2, s[16:17], v[19:20]
	s_and_saveexec_b32 s24, s2
	s_cbranch_execnz .LBB29_15
; %bb.11:                               ;   in Loop: Header=BB29_4 Depth=1
	s_or_b32 exec_lo, exec_lo, s24
	s_and_saveexec_b32 s3, vcc_lo
	s_cbranch_execnz .LBB29_16
.LBB29_12:                              ;   in Loop: Header=BB29_4 Depth=1
	s_or_b32 exec_lo, exec_lo, s3
	s_and_saveexec_b32 s3, s0
	s_cbranch_execnz .LBB29_17
.LBB29_13:                              ;   in Loop: Header=BB29_4 Depth=1
	s_or_b32 exec_lo, exec_lo, s3
	s_and_saveexec_b32 s0, s1
	s_cbranch_execnz .LBB29_18
.LBB29_14:                              ;   in Loop: Header=BB29_4 Depth=1
	s_or_b32 exec_lo, exec_lo, s0
	s_and_saveexec_b32 s0, s2
	s_cbranch_execz .LBB29_3
	s_branch .LBB29_19
.LBB29_15:                              ;   in Loop: Header=BB29_4 Depth=1
	v_add_co_u32 v9, s3, v1, s22
	v_add_co_ci_u32_e64 v10, null, 0, v2, s3
	global_load_dwordx2 v[9:10], v[9:10], off
	s_or_b32 exec_lo, exec_lo, s24
	s_and_saveexec_b32 s3, vcc_lo
	s_cbranch_execz .LBB29_12
.LBB29_16:                              ;   in Loop: Header=BB29_4 Depth=1
	s_waitcnt vmcnt(0)
	v_mul_f64 v[7:8], s[8:9], v[7:8]
	global_store_dwordx2 v[1:2], v[7:8], off
	s_or_b32 exec_lo, exec_lo, s3
	s_and_saveexec_b32 s3, s0
	s_cbranch_execz .LBB29_13
.LBB29_17:                              ;   in Loop: Header=BB29_4 Depth=1
	s_waitcnt vmcnt(0)
	v_mul_f64 v[5:6], s[8:9], v[5:6]
	global_store_dwordx2 v[3:4], v[5:6], off
	s_or_b32 exec_lo, exec_lo, s3
	s_and_saveexec_b32 s0, s1
	s_cbranch_execz .LBB29_14
.LBB29_18:                              ;   in Loop: Header=BB29_4 Depth=1
	s_waitcnt vmcnt(0)
	v_mul_f64 v[5:6], s[8:9], v[11:12]
	v_add_co_u32 v7, vcc_lo, v1, s23
	v_add_co_ci_u32_e64 v8, null, 0, v2, vcc_lo
	global_store_dwordx2 v[7:8], v[5:6], off
	s_or_b32 exec_lo, exec_lo, s0
	s_and_saveexec_b32 s0, s2
	s_cbranch_execz .LBB29_3
.LBB29_19:                              ;   in Loop: Header=BB29_4 Depth=1
	s_waitcnt vmcnt(0)
	v_mul_f64 v[5:6], s[8:9], v[9:10]
	v_add_co_u32 v7, vcc_lo, v1, s22
	v_add_co_ci_u32_e64 v8, null, 0, v2, vcc_lo
	global_store_dwordx2 v[7:8], v[5:6], off
	s_branch .LBB29_3
.LBB29_20:
	s_cbranch_execz .LBB29_22
	s_branch .LBB29_25
.LBB29_21:
.LBB29_22:
	v_cmp_gt_i64_e64 s0, 0x10000, s[14:15]
	v_mov_b32_e32 v2, 0
	v_lshlrev_b32_e32 v1, 2, v0
	s_mov_b32 s1, 0
	s_and_b32 s0, s0, exec_lo
	s_cselect_b32 s3, s15, 0
	s_cselect_b32 s2, s14, 0x10000
	s_mov_b32 s0, exec_lo
	v_cmpx_gt_i64_e64 s[2:3], v[1:2]
	s_cbranch_execz .LBB29_25
; %bb.23:
	s_load_dword s0, s[4:5], 0xf54
	v_lshlrev_b32_e32 v1, 5, v0
	s_waitcnt lgkmcnt(0)
	s_and_b32 s4, s0, 0xffff
	s_add_u32 s0, s10, s12
	s_addc_u32 s5, s11, s13
	v_add_co_u32 v3, s0, s0, v1
	v_add_co_ci_u32_e64 v4, null, s5, 0, s0
	v_mov_b32_e32 v1, v2
	v_add_co_u32 v2, vcc_lo, v3, 16
	v_add_co_ci_u32_e64 v3, null, 0, v4, vcc_lo
	s_lshl_b32 s5, s4, 5
	.p2align	6
.LBB29_24:                              ; =>This Inner Loop Header: Depth=1
	s_clause 0x1
	global_load_dwordx4 v[4:7], v[2:3], off offset:-16
	global_load_dwordx4 v[8:11], v[2:3], off
	v_add_co_u32 v0, vcc_lo, v0, s4
	v_add_co_ci_u32_e64 v1, null, 0, v1, vcc_lo
	s_waitcnt vmcnt(2)
	v_lshlrev_b64 v[12:13], 2, v[0:1]
	v_cmp_le_i64_e32 vcc_lo, s[2:3], v[12:13]
	s_or_b32 s1, vcc_lo, s1
	s_waitcnt vmcnt(1)
	v_mul_f64 v[4:5], s[8:9], v[4:5]
	v_mul_f64 v[6:7], s[8:9], v[6:7]
	s_waitcnt vmcnt(0)
	v_mul_f64 v[8:9], s[8:9], v[8:9]
	v_mul_f64 v[10:11], s[8:9], v[10:11]
	global_store_dwordx4 v[2:3], v[4:7], off offset:-16
	global_store_dwordx4 v[2:3], v[8:11], off
	v_add_co_u32 v2, s0, v2, s5
	v_add_co_ci_u32_e64 v3, null, 0, v3, s0
	s_andn2_b32 exec_lo, exec_lo, s1
	s_cbranch_execnz .LBB29_24
.LBB29_25:
	s_endpgm
	.section	.rodata,"a",@progbits
	.p2align	6, 0x0
	.amdhsa_kernel _ZN2at6native12_GLOBAL__N_125multi_tensor_apply_kernelINS1_28TensorListScalarListMetadataIdLi1EEENS1_25BinaryOpScalarListFunctorIdLi1ELi1ELi0EEEJSt10multipliesIdEEEEvT_T0_DpT1_
		.amdhsa_group_segment_fixed_size 0
		.amdhsa_private_segment_fixed_size 0
		.amdhsa_kernarg_size 4168
		.amdhsa_user_sgpr_count 6
		.amdhsa_user_sgpr_private_segment_buffer 1
		.amdhsa_user_sgpr_dispatch_ptr 0
		.amdhsa_user_sgpr_queue_ptr 0
		.amdhsa_user_sgpr_kernarg_segment_ptr 1
		.amdhsa_user_sgpr_dispatch_id 0
		.amdhsa_user_sgpr_flat_scratch_init 0
		.amdhsa_user_sgpr_private_segment_size 0
		.amdhsa_wavefront_size32 1
		.amdhsa_uses_dynamic_stack 0
		.amdhsa_system_sgpr_private_segment_wavefront_offset 0
		.amdhsa_system_sgpr_workgroup_id_x 1
		.amdhsa_system_sgpr_workgroup_id_y 0
		.amdhsa_system_sgpr_workgroup_id_z 0
		.amdhsa_system_sgpr_workgroup_info 0
		.amdhsa_system_vgpr_workitem_id 0
		.amdhsa_next_free_vgpr 21
		.amdhsa_next_free_sgpr 25
		.amdhsa_reserve_vcc 1
		.amdhsa_reserve_flat_scratch 0
		.amdhsa_float_round_mode_32 0
		.amdhsa_float_round_mode_16_64 0
		.amdhsa_float_denorm_mode_32 3
		.amdhsa_float_denorm_mode_16_64 3
		.amdhsa_dx10_clamp 1
		.amdhsa_ieee_mode 1
		.amdhsa_fp16_overflow 0
		.amdhsa_workgroup_processor_mode 1
		.amdhsa_memory_ordered 1
		.amdhsa_forward_progress 1
		.amdhsa_shared_vgpr_count 0
		.amdhsa_exception_fp_ieee_invalid_op 0
		.amdhsa_exception_fp_denorm_src 0
		.amdhsa_exception_fp_ieee_div_zero 0
		.amdhsa_exception_fp_ieee_overflow 0
		.amdhsa_exception_fp_ieee_underflow 0
		.amdhsa_exception_fp_ieee_inexact 0
		.amdhsa_exception_int_div_zero 0
	.end_amdhsa_kernel
	.section	.text._ZN2at6native12_GLOBAL__N_125multi_tensor_apply_kernelINS1_28TensorListScalarListMetadataIdLi1EEENS1_25BinaryOpScalarListFunctorIdLi1ELi1ELi0EEEJSt10multipliesIdEEEEvT_T0_DpT1_,"axG",@progbits,_ZN2at6native12_GLOBAL__N_125multi_tensor_apply_kernelINS1_28TensorListScalarListMetadataIdLi1EEENS1_25BinaryOpScalarListFunctorIdLi1ELi1ELi0EEEJSt10multipliesIdEEEEvT_T0_DpT1_,comdat
.Lfunc_end29:
	.size	_ZN2at6native12_GLOBAL__N_125multi_tensor_apply_kernelINS1_28TensorListScalarListMetadataIdLi1EEENS1_25BinaryOpScalarListFunctorIdLi1ELi1ELi0EEEJSt10multipliesIdEEEEvT_T0_DpT1_, .Lfunc_end29-_ZN2at6native12_GLOBAL__N_125multi_tensor_apply_kernelINS1_28TensorListScalarListMetadataIdLi1EEENS1_25BinaryOpScalarListFunctorIdLi1ELi1ELi0EEEJSt10multipliesIdEEEEvT_T0_DpT1_
                                        ; -- End function
	.set _ZN2at6native12_GLOBAL__N_125multi_tensor_apply_kernelINS1_28TensorListScalarListMetadataIdLi1EEENS1_25BinaryOpScalarListFunctorIdLi1ELi1ELi0EEEJSt10multipliesIdEEEEvT_T0_DpT1_.num_vgpr, 21
	.set _ZN2at6native12_GLOBAL__N_125multi_tensor_apply_kernelINS1_28TensorListScalarListMetadataIdLi1EEENS1_25BinaryOpScalarListFunctorIdLi1ELi1ELi0EEEJSt10multipliesIdEEEEvT_T0_DpT1_.num_agpr, 0
	.set _ZN2at6native12_GLOBAL__N_125multi_tensor_apply_kernelINS1_28TensorListScalarListMetadataIdLi1EEENS1_25BinaryOpScalarListFunctorIdLi1ELi1ELi0EEEJSt10multipliesIdEEEEvT_T0_DpT1_.numbered_sgpr, 25
	.set _ZN2at6native12_GLOBAL__N_125multi_tensor_apply_kernelINS1_28TensorListScalarListMetadataIdLi1EEENS1_25BinaryOpScalarListFunctorIdLi1ELi1ELi0EEEJSt10multipliesIdEEEEvT_T0_DpT1_.num_named_barrier, 0
	.set _ZN2at6native12_GLOBAL__N_125multi_tensor_apply_kernelINS1_28TensorListScalarListMetadataIdLi1EEENS1_25BinaryOpScalarListFunctorIdLi1ELi1ELi0EEEJSt10multipliesIdEEEEvT_T0_DpT1_.private_seg_size, 0
	.set _ZN2at6native12_GLOBAL__N_125multi_tensor_apply_kernelINS1_28TensorListScalarListMetadataIdLi1EEENS1_25BinaryOpScalarListFunctorIdLi1ELi1ELi0EEEJSt10multipliesIdEEEEvT_T0_DpT1_.uses_vcc, 1
	.set _ZN2at6native12_GLOBAL__N_125multi_tensor_apply_kernelINS1_28TensorListScalarListMetadataIdLi1EEENS1_25BinaryOpScalarListFunctorIdLi1ELi1ELi0EEEJSt10multipliesIdEEEEvT_T0_DpT1_.uses_flat_scratch, 0
	.set _ZN2at6native12_GLOBAL__N_125multi_tensor_apply_kernelINS1_28TensorListScalarListMetadataIdLi1EEENS1_25BinaryOpScalarListFunctorIdLi1ELi1ELi0EEEJSt10multipliesIdEEEEvT_T0_DpT1_.has_dyn_sized_stack, 0
	.set _ZN2at6native12_GLOBAL__N_125multi_tensor_apply_kernelINS1_28TensorListScalarListMetadataIdLi1EEENS1_25BinaryOpScalarListFunctorIdLi1ELi1ELi0EEEJSt10multipliesIdEEEEvT_T0_DpT1_.has_recursion, 0
	.set _ZN2at6native12_GLOBAL__N_125multi_tensor_apply_kernelINS1_28TensorListScalarListMetadataIdLi1EEENS1_25BinaryOpScalarListFunctorIdLi1ELi1ELi0EEEJSt10multipliesIdEEEEvT_T0_DpT1_.has_indirect_call, 0
	.section	.AMDGPU.csdata,"",@progbits
; Kernel info:
; codeLenInByte = 1164
; TotalNumSgprs: 27
; NumVgprs: 21
; ScratchSize: 0
; MemoryBound: 0
; FloatMode: 240
; IeeeMode: 1
; LDSByteSize: 0 bytes/workgroup (compile time only)
; SGPRBlocks: 0
; VGPRBlocks: 2
; NumSGPRsForWavesPerEU: 27
; NumVGPRsForWavesPerEU: 21
; Occupancy: 16
; WaveLimiterHint : 1
; COMPUTE_PGM_RSRC2:SCRATCH_EN: 0
; COMPUTE_PGM_RSRC2:USER_SGPR: 6
; COMPUTE_PGM_RSRC2:TRAP_HANDLER: 0
; COMPUTE_PGM_RSRC2:TGID_X_EN: 1
; COMPUTE_PGM_RSRC2:TGID_Y_EN: 0
; COMPUTE_PGM_RSRC2:TGID_Z_EN: 0
; COMPUTE_PGM_RSRC2:TIDIG_COMP_CNT: 0
	.section	.text._ZN2at6native12_GLOBAL__N_125multi_tensor_apply_kernelINS1_28TensorListScalarListMetadataIfLi1EEENS1_25BinaryOpScalarListFunctorIfLi1ELi1ELi0EEEJSt10multipliesIfEEEEvT_T0_DpT1_,"axG",@progbits,_ZN2at6native12_GLOBAL__N_125multi_tensor_apply_kernelINS1_28TensorListScalarListMetadataIfLi1EEENS1_25BinaryOpScalarListFunctorIfLi1ELi1ELi0EEEJSt10multipliesIfEEEEvT_T0_DpT1_,comdat
	.globl	_ZN2at6native12_GLOBAL__N_125multi_tensor_apply_kernelINS1_28TensorListScalarListMetadataIfLi1EEENS1_25BinaryOpScalarListFunctorIfLi1ELi1ELi0EEEJSt10multipliesIfEEEEvT_T0_DpT1_ ; -- Begin function _ZN2at6native12_GLOBAL__N_125multi_tensor_apply_kernelINS1_28TensorListScalarListMetadataIfLi1EEENS1_25BinaryOpScalarListFunctorIfLi1ELi1ELi0EEEJSt10multipliesIfEEEEvT_T0_DpT1_
	.p2align	8
	.type	_ZN2at6native12_GLOBAL__N_125multi_tensor_apply_kernelINS1_28TensorListScalarListMetadataIfLi1EEENS1_25BinaryOpScalarListFunctorIfLi1ELi1ELi0EEEJSt10multipliesIfEEEEvT_T0_DpT1_,@function
_ZN2at6native12_GLOBAL__N_125multi_tensor_apply_kernelINS1_28TensorListScalarListMetadataIfLi1EEENS1_25BinaryOpScalarListFunctorIfLi1ELi1ELi0EEEJSt10multipliesIfEEEEvT_T0_DpT1_: ; @_ZN2at6native12_GLOBAL__N_125multi_tensor_apply_kernelINS1_28TensorListScalarListMetadataIfLi1EEENS1_25BinaryOpScalarListFunctorIfLi1ELi1ELi0EEEJSt10multipliesIfEEEEvT_T0_DpT1_
; %bb.0:
	v_mov_b32_e32 v1, s6
	s_add_u32 s0, s4, s6
	s_mul_i32 s1, s6, 3
	s_mul_hi_u32 s2, s6, 3
	s_addc_u32 s3, s5, 0
	global_load_ubyte v1, v1, s[4:5] offset:1920
	s_add_u32 s0, s0, s1
	s_addc_u32 s1, s3, s2
	s_mov_b32 s13, 0
	s_load_dword s0, s[0:1], 0x8c0
	s_waitcnt vmcnt(0)
	v_readfirstlane_b32 s1, v1
	v_lshlrev_b32_e32 v1, 2, v1
	s_lshl_b32 s8, s1, 3
	v_sub_co_u32 v1, s1, 0, v1
	v_sub_co_ci_u32_e64 v2, null, 0, 0, s1
	s_waitcnt lgkmcnt(0)
	s_ashr_i32 s1, s0, 31
	s_clause 0x1
	s_load_dwordx2 s[2:3], s[4:5], s8 offset:0x300
	s_load_dwordx2 s[6:7], s[4:5], s8 offset:0x0
	s_add_u32 s8, s4, s8
	s_addc_u32 s9, s5, 0
	v_add_co_u32 v1, vcc_lo, s8, v1
	v_add_co_ci_u32_e64 v2, null, s9, v2, vcc_lo
	v_readfirstlane_b32 s8, v1
	v_readfirstlane_b32 s9, v2
	s_load_dword s18, s[8:9], 0x600
	s_lshl_b64 s[8:9], s[0:1], 18
	s_lshl_b64 s[0:1], s[0:1], 16
	s_waitcnt lgkmcnt(0)
	s_and_b32 s12, s6, 15
	s_sub_u32 s10, s2, s0
	s_subb_u32 s11, s3, s1
	s_and_b32 s0, s2, 3
	s_mov_b32 s1, s13
	s_or_b64 s[0:1], s[12:13], s[0:1]
	s_cmp_eq_u64 s[0:1], 0
	s_cbranch_scc1 .LBB30_21
; %bb.1:
	v_cmp_lt_i64_e64 s0, s[10:11], 1
	s_and_b32 vcc_lo, exec_lo, s0
	s_cbranch_vccnz .LBB30_20
; %bb.2:
	s_load_dword s0, s[4:5], 0xdd4
	v_cmp_gt_i64_e64 s1, 0x10000, s[10:11]
	v_cmp_gt_u64_e64 s2, 0x10000, s[10:11]
	v_lshlrev_b32_e32 v1, 2, v0
	s_and_b32 s1, s1, exec_lo
	s_cselect_b32 s13, s11, 0
	s_cselect_b32 s12, s10, 0x10000
	s_waitcnt lgkmcnt(0)
	s_and_b32 s0, s0, 0xffff
	s_and_b32 s1, s2, exec_lo
	v_add_co_u32 v5, s3, v0, s0
	s_cselect_b32 s15, s11, 0
	s_cselect_b32 s14, s10, 0x10000
	s_lshl_b32 s1, s0, 1
	v_lshlrev_b32_e32 v3, 2, v5
	s_mul_i32 s2, s0, 3
	s_lshl_b32 s19, s0, 2
	s_add_u32 s16, s6, s8
	v_add_co_u32 v6, s2, s2, v0
	v_add_co_u32 v9, s1, s1, v0
	s_addc_u32 s17, s7, s9
	v_add_co_ci_u32_e64 v7, null, 0, 0, s2
	v_add_co_u32 v1, s2, s16, v1
	v_add_co_ci_u32_e64 v10, null, 0, 0, s1
	v_add_co_u32 v3, s1, s16, v3
	v_add_co_ci_u32_e64 v2, null, s17, 0, s2
	v_add_co_ci_u32_e64 v8, null, 0, 0, s3
	v_add_co_ci_u32_e64 v4, null, s17, 0, s1
	s_lshl_b32 s20, s0, 4
	s_mul_i32 s21, s0, 12
	s_lshl_b32 s22, s0, 3
	s_mov_b64 s[16:17], 0
	s_branch .LBB30_4
.LBB30_3:                               ;   in Loop: Header=BB30_4 Depth=1
	s_or_b32 exec_lo, exec_lo, s0
	s_add_u32 s16, s16, s19
	s_addc_u32 s17, s17, 0
	v_add_co_u32 v1, vcc_lo, v1, s20
	v_cmp_lt_i64_e64 s0, s[16:17], s[12:13]
	v_add_co_ci_u32_e64 v2, null, 0, v2, vcc_lo
	v_add_co_u32 v3, vcc_lo, v3, s20
	v_add_co_ci_u32_e64 v4, null, 0, v4, vcc_lo
	s_and_b32 vcc_lo, exec_lo, s0
	s_cbranch_vccz .LBB30_20
.LBB30_4:                               ; =>This Inner Loop Header: Depth=1
	s_waitcnt vmcnt(0)
	v_add_co_u32 v11, s0, v0, s16
	v_add_co_ci_u32_e64 v12, null, 0, s17, s0
	v_cmp_gt_u64_e32 vcc_lo, s[14:15], v[11:12]
	v_mov_b32_e32 v11, 0
	s_and_saveexec_b32 s0, vcc_lo
	s_cbranch_execz .LBB30_6
; %bb.5:                                ;   in Loop: Header=BB30_4 Depth=1
	global_load_dword v11, v[1:2], off
.LBB30_6:                               ;   in Loop: Header=BB30_4 Depth=1
	s_or_b32 exec_lo, exec_lo, s0
	v_add_co_u32 v12, s0, v5, s16
	v_add_co_ci_u32_e64 v13, null, s17, v8, s0
	v_cmp_gt_u64_e64 s0, s[14:15], v[12:13]
	v_mov_b32_e32 v12, 0
	v_mov_b32_e32 v13, 0
	s_and_saveexec_b32 s1, s0
	s_cbranch_execz .LBB30_8
; %bb.7:                                ;   in Loop: Header=BB30_4 Depth=1
	global_load_dword v13, v[3:4], off
.LBB30_8:                               ;   in Loop: Header=BB30_4 Depth=1
	s_or_b32 exec_lo, exec_lo, s1
	v_add_co_u32 v14, s1, v9, s16
	v_add_co_ci_u32_e64 v15, null, s17, v10, s1
	v_cmp_gt_u64_e64 s1, s[14:15], v[14:15]
	s_and_saveexec_b32 s3, s1
	s_cbranch_execz .LBB30_10
; %bb.9:                                ;   in Loop: Header=BB30_4 Depth=1
	v_add_co_u32 v14, s2, v1, s22
	v_add_co_ci_u32_e64 v15, null, 0, v2, s2
	global_load_dword v12, v[14:15], off
.LBB30_10:                              ;   in Loop: Header=BB30_4 Depth=1
	s_or_b32 exec_lo, exec_lo, s3
	v_add_co_u32 v14, s2, v6, s16
	v_add_co_ci_u32_e64 v15, null, s17, v7, s2
	v_cmp_gt_u64_e64 s2, s[14:15], v[14:15]
	v_mov_b32_e32 v14, 0
	s_and_saveexec_b32 s23, s2
	s_cbranch_execnz .LBB30_15
; %bb.11:                               ;   in Loop: Header=BB30_4 Depth=1
	s_or_b32 exec_lo, exec_lo, s23
	s_and_saveexec_b32 s3, vcc_lo
	s_cbranch_execnz .LBB30_16
.LBB30_12:                              ;   in Loop: Header=BB30_4 Depth=1
	s_or_b32 exec_lo, exec_lo, s3
	s_and_saveexec_b32 s3, s0
	s_cbranch_execnz .LBB30_17
.LBB30_13:                              ;   in Loop: Header=BB30_4 Depth=1
	s_or_b32 exec_lo, exec_lo, s3
	s_and_saveexec_b32 s0, s1
	s_cbranch_execnz .LBB30_18
.LBB30_14:                              ;   in Loop: Header=BB30_4 Depth=1
	s_or_b32 exec_lo, exec_lo, s0
	s_and_saveexec_b32 s0, s2
	s_cbranch_execz .LBB30_3
	s_branch .LBB30_19
.LBB30_15:                              ;   in Loop: Header=BB30_4 Depth=1
	v_add_co_u32 v14, s3, v1, s21
	v_add_co_ci_u32_e64 v15, null, 0, v2, s3
	global_load_dword v14, v[14:15], off
	s_or_b32 exec_lo, exec_lo, s23
	s_and_saveexec_b32 s3, vcc_lo
	s_cbranch_execz .LBB30_12
.LBB30_16:                              ;   in Loop: Header=BB30_4 Depth=1
	s_waitcnt vmcnt(0)
	v_mul_f32_e32 v11, s18, v11
	global_store_dword v[1:2], v11, off
	s_or_b32 exec_lo, exec_lo, s3
	s_and_saveexec_b32 s3, s0
	s_cbranch_execz .LBB30_13
.LBB30_17:                              ;   in Loop: Header=BB30_4 Depth=1
	s_waitcnt vmcnt(0)
	v_mul_f32_e32 v11, s18, v13
	global_store_dword v[3:4], v11, off
	s_or_b32 exec_lo, exec_lo, s3
	s_and_saveexec_b32 s0, s1
	s_cbranch_execz .LBB30_14
.LBB30_18:                              ;   in Loop: Header=BB30_4 Depth=1
	s_waitcnt vmcnt(0)
	v_add_co_u32 v11, vcc_lo, v1, s22
	v_mul_f32_e32 v13, s18, v12
	v_add_co_ci_u32_e64 v12, null, 0, v2, vcc_lo
	global_store_dword v[11:12], v13, off
	s_or_b32 exec_lo, exec_lo, s0
	s_and_saveexec_b32 s0, s2
	s_cbranch_execz .LBB30_3
.LBB30_19:                              ;   in Loop: Header=BB30_4 Depth=1
	s_waitcnt vmcnt(0)
	v_add_co_u32 v11, vcc_lo, v1, s21
	v_mul_f32_e32 v13, s18, v14
	v_add_co_ci_u32_e64 v12, null, 0, v2, vcc_lo
	global_store_dword v[11:12], v13, off
	s_branch .LBB30_3
.LBB30_20:
	s_cbranch_execz .LBB30_22
	s_branch .LBB30_25
.LBB30_21:
.LBB30_22:
	v_cmp_gt_i64_e64 s0, 0x10000, s[10:11]
	v_mov_b32_e32 v2, 0
	v_lshlrev_b32_e32 v1, 2, v0
	s_mov_b32 s1, 0
	s_and_b32 s0, s0, exec_lo
	s_cselect_b32 s3, s11, 0
	s_cselect_b32 s2, s10, 0x10000
	s_mov_b32 s0, exec_lo
	v_cmpx_gt_i64_e64 s[2:3], v[1:2]
	s_cbranch_execz .LBB30_25
; %bb.23:
	s_load_dword s0, s[4:5], 0xdd4
	v_lshlrev_b32_e32 v1, 4, v0
	s_waitcnt lgkmcnt(0)
	s_and_b32 s4, s0, 0xffff
	s_add_u32 s0, s6, s8
	s_addc_u32 s5, s7, s9
	v_add_co_u32 v3, s0, s0, v1
	v_add_co_ci_u32_e64 v4, null, s5, 0, s0
	v_mov_b32_e32 v1, v2
	v_add_co_u32 v2, vcc_lo, v3, 8
	v_add_co_ci_u32_e64 v3, null, 0, v4, vcc_lo
	s_lshl_b32 s5, s4, 4
	.p2align	6
.LBB30_24:                              ; =>This Inner Loop Header: Depth=1
	global_load_dwordx4 v[4:7], v[2:3], off offset:-8
	v_add_co_u32 v0, vcc_lo, v0, s4
	v_add_co_ci_u32_e64 v1, null, 0, v1, vcc_lo
	v_lshlrev_b64 v[8:9], 2, v[0:1]
	v_cmp_le_i64_e32 vcc_lo, s[2:3], v[8:9]
	s_or_b32 s1, vcc_lo, s1
	s_waitcnt vmcnt(0)
	v_mul_f32_e32 v4, s18, v4
	v_mul_f32_e32 v5, s18, v5
	;; [unrolled: 1-line block ×4, first 2 shown]
	global_store_dwordx4 v[2:3], v[4:7], off offset:-8
	v_add_co_u32 v2, s0, v2, s5
	v_add_co_ci_u32_e64 v3, null, 0, v3, s0
	s_andn2_b32 exec_lo, exec_lo, s1
	s_cbranch_execnz .LBB30_24
.LBB30_25:
	s_endpgm
	.section	.rodata,"a",@progbits
	.p2align	6, 0x0
	.amdhsa_kernel _ZN2at6native12_GLOBAL__N_125multi_tensor_apply_kernelINS1_28TensorListScalarListMetadataIfLi1EEENS1_25BinaryOpScalarListFunctorIfLi1ELi1ELi0EEEJSt10multipliesIfEEEEvT_T0_DpT1_
		.amdhsa_group_segment_fixed_size 0
		.amdhsa_private_segment_fixed_size 0
		.amdhsa_kernarg_size 3784
		.amdhsa_user_sgpr_count 6
		.amdhsa_user_sgpr_private_segment_buffer 1
		.amdhsa_user_sgpr_dispatch_ptr 0
		.amdhsa_user_sgpr_queue_ptr 0
		.amdhsa_user_sgpr_kernarg_segment_ptr 1
		.amdhsa_user_sgpr_dispatch_id 0
		.amdhsa_user_sgpr_flat_scratch_init 0
		.amdhsa_user_sgpr_private_segment_size 0
		.amdhsa_wavefront_size32 1
		.amdhsa_uses_dynamic_stack 0
		.amdhsa_system_sgpr_private_segment_wavefront_offset 0
		.amdhsa_system_sgpr_workgroup_id_x 1
		.amdhsa_system_sgpr_workgroup_id_y 0
		.amdhsa_system_sgpr_workgroup_id_z 0
		.amdhsa_system_sgpr_workgroup_info 0
		.amdhsa_system_vgpr_workitem_id 0
		.amdhsa_next_free_vgpr 16
		.amdhsa_next_free_sgpr 24
		.amdhsa_reserve_vcc 1
		.amdhsa_reserve_flat_scratch 0
		.amdhsa_float_round_mode_32 0
		.amdhsa_float_round_mode_16_64 0
		.amdhsa_float_denorm_mode_32 3
		.amdhsa_float_denorm_mode_16_64 3
		.amdhsa_dx10_clamp 1
		.amdhsa_ieee_mode 1
		.amdhsa_fp16_overflow 0
		.amdhsa_workgroup_processor_mode 1
		.amdhsa_memory_ordered 1
		.amdhsa_forward_progress 1
		.amdhsa_shared_vgpr_count 0
		.amdhsa_exception_fp_ieee_invalid_op 0
		.amdhsa_exception_fp_denorm_src 0
		.amdhsa_exception_fp_ieee_div_zero 0
		.amdhsa_exception_fp_ieee_overflow 0
		.amdhsa_exception_fp_ieee_underflow 0
		.amdhsa_exception_fp_ieee_inexact 0
		.amdhsa_exception_int_div_zero 0
	.end_amdhsa_kernel
	.section	.text._ZN2at6native12_GLOBAL__N_125multi_tensor_apply_kernelINS1_28TensorListScalarListMetadataIfLi1EEENS1_25BinaryOpScalarListFunctorIfLi1ELi1ELi0EEEJSt10multipliesIfEEEEvT_T0_DpT1_,"axG",@progbits,_ZN2at6native12_GLOBAL__N_125multi_tensor_apply_kernelINS1_28TensorListScalarListMetadataIfLi1EEENS1_25BinaryOpScalarListFunctorIfLi1ELi1ELi0EEEJSt10multipliesIfEEEEvT_T0_DpT1_,comdat
.Lfunc_end30:
	.size	_ZN2at6native12_GLOBAL__N_125multi_tensor_apply_kernelINS1_28TensorListScalarListMetadataIfLi1EEENS1_25BinaryOpScalarListFunctorIfLi1ELi1ELi0EEEJSt10multipliesIfEEEEvT_T0_DpT1_, .Lfunc_end30-_ZN2at6native12_GLOBAL__N_125multi_tensor_apply_kernelINS1_28TensorListScalarListMetadataIfLi1EEENS1_25BinaryOpScalarListFunctorIfLi1ELi1ELi0EEEJSt10multipliesIfEEEEvT_T0_DpT1_
                                        ; -- End function
	.set _ZN2at6native12_GLOBAL__N_125multi_tensor_apply_kernelINS1_28TensorListScalarListMetadataIfLi1EEENS1_25BinaryOpScalarListFunctorIfLi1ELi1ELi0EEEJSt10multipliesIfEEEEvT_T0_DpT1_.num_vgpr, 16
	.set _ZN2at6native12_GLOBAL__N_125multi_tensor_apply_kernelINS1_28TensorListScalarListMetadataIfLi1EEENS1_25BinaryOpScalarListFunctorIfLi1ELi1ELi0EEEJSt10multipliesIfEEEEvT_T0_DpT1_.num_agpr, 0
	.set _ZN2at6native12_GLOBAL__N_125multi_tensor_apply_kernelINS1_28TensorListScalarListMetadataIfLi1EEENS1_25BinaryOpScalarListFunctorIfLi1ELi1ELi0EEEJSt10multipliesIfEEEEvT_T0_DpT1_.numbered_sgpr, 24
	.set _ZN2at6native12_GLOBAL__N_125multi_tensor_apply_kernelINS1_28TensorListScalarListMetadataIfLi1EEENS1_25BinaryOpScalarListFunctorIfLi1ELi1ELi0EEEJSt10multipliesIfEEEEvT_T0_DpT1_.num_named_barrier, 0
	.set _ZN2at6native12_GLOBAL__N_125multi_tensor_apply_kernelINS1_28TensorListScalarListMetadataIfLi1EEENS1_25BinaryOpScalarListFunctorIfLi1ELi1ELi0EEEJSt10multipliesIfEEEEvT_T0_DpT1_.private_seg_size, 0
	.set _ZN2at6native12_GLOBAL__N_125multi_tensor_apply_kernelINS1_28TensorListScalarListMetadataIfLi1EEENS1_25BinaryOpScalarListFunctorIfLi1ELi1ELi0EEEJSt10multipliesIfEEEEvT_T0_DpT1_.uses_vcc, 1
	.set _ZN2at6native12_GLOBAL__N_125multi_tensor_apply_kernelINS1_28TensorListScalarListMetadataIfLi1EEENS1_25BinaryOpScalarListFunctorIfLi1ELi1ELi0EEEJSt10multipliesIfEEEEvT_T0_DpT1_.uses_flat_scratch, 0
	.set _ZN2at6native12_GLOBAL__N_125multi_tensor_apply_kernelINS1_28TensorListScalarListMetadataIfLi1EEENS1_25BinaryOpScalarListFunctorIfLi1ELi1ELi0EEEJSt10multipliesIfEEEEvT_T0_DpT1_.has_dyn_sized_stack, 0
	.set _ZN2at6native12_GLOBAL__N_125multi_tensor_apply_kernelINS1_28TensorListScalarListMetadataIfLi1EEENS1_25BinaryOpScalarListFunctorIfLi1ELi1ELi0EEEJSt10multipliesIfEEEEvT_T0_DpT1_.has_recursion, 0
	.set _ZN2at6native12_GLOBAL__N_125multi_tensor_apply_kernelINS1_28TensorListScalarListMetadataIfLi1EEENS1_25BinaryOpScalarListFunctorIfLi1ELi1ELi0EEEJSt10multipliesIfEEEEvT_T0_DpT1_.has_indirect_call, 0
	.section	.AMDGPU.csdata,"",@progbits
; Kernel info:
; codeLenInByte = 1184
; TotalNumSgprs: 26
; NumVgprs: 16
; ScratchSize: 0
; MemoryBound: 0
; FloatMode: 240
; IeeeMode: 1
; LDSByteSize: 0 bytes/workgroup (compile time only)
; SGPRBlocks: 0
; VGPRBlocks: 1
; NumSGPRsForWavesPerEU: 26
; NumVGPRsForWavesPerEU: 16
; Occupancy: 16
; WaveLimiterHint : 0
; COMPUTE_PGM_RSRC2:SCRATCH_EN: 0
; COMPUTE_PGM_RSRC2:USER_SGPR: 6
; COMPUTE_PGM_RSRC2:TRAP_HANDLER: 0
; COMPUTE_PGM_RSRC2:TGID_X_EN: 1
; COMPUTE_PGM_RSRC2:TGID_Y_EN: 0
; COMPUTE_PGM_RSRC2:TGID_Z_EN: 0
; COMPUTE_PGM_RSRC2:TIDIG_COMP_CNT: 0
	.section	.text._ZN2at6native12_GLOBAL__N_125multi_tensor_apply_kernelINS1_28TensorListScalarListMetadataIN3c107complexIdEELi1EEENS1_25BinaryOpScalarListFunctorIS6_Li1ELi1ELi0EEEJSt10multipliesIS6_EEEEvT_T0_DpT1_,"axG",@progbits,_ZN2at6native12_GLOBAL__N_125multi_tensor_apply_kernelINS1_28TensorListScalarListMetadataIN3c107complexIdEELi1EEENS1_25BinaryOpScalarListFunctorIS6_Li1ELi1ELi0EEEJSt10multipliesIS6_EEEEvT_T0_DpT1_,comdat
	.globl	_ZN2at6native12_GLOBAL__N_125multi_tensor_apply_kernelINS1_28TensorListScalarListMetadataIN3c107complexIdEELi1EEENS1_25BinaryOpScalarListFunctorIS6_Li1ELi1ELi0EEEJSt10multipliesIS6_EEEEvT_T0_DpT1_ ; -- Begin function _ZN2at6native12_GLOBAL__N_125multi_tensor_apply_kernelINS1_28TensorListScalarListMetadataIN3c107complexIdEELi1EEENS1_25BinaryOpScalarListFunctorIS6_Li1ELi1ELi0EEEJSt10multipliesIS6_EEEEvT_T0_DpT1_
	.p2align	8
	.type	_ZN2at6native12_GLOBAL__N_125multi_tensor_apply_kernelINS1_28TensorListScalarListMetadataIN3c107complexIdEELi1EEENS1_25BinaryOpScalarListFunctorIS6_Li1ELi1ELi0EEEJSt10multipliesIS6_EEEEvT_T0_DpT1_,@function
_ZN2at6native12_GLOBAL__N_125multi_tensor_apply_kernelINS1_28TensorListScalarListMetadataIN3c107complexIdEELi1EEENS1_25BinaryOpScalarListFunctorIS6_Li1ELi1ELi0EEEJSt10multipliesIS6_EEEEvT_T0_DpT1_: ; @_ZN2at6native12_GLOBAL__N_125multi_tensor_apply_kernelINS1_28TensorListScalarListMetadataIN3c107complexIdEELi1EEENS1_25BinaryOpScalarListFunctorIS6_Li1ELi1ELi0EEEJSt10multipliesIS6_EEEEvT_T0_DpT1_
; %bb.0:
	v_mov_b32_e32 v1, 0x800
	s_add_u32 s0, s4, s6
	s_addc_u32 s1, s5, 0
	s_mov_b32 s7, 0
	global_load_ubyte v1, v1, s[0:1] offset:256
	s_lshl_b64 s[0:1], s[6:7], 2
	s_add_u32 s0, s4, s0
	s_addc_u32 s1, s5, s1
	s_load_dword s0, s[0:1], 0xa40
	s_waitcnt vmcnt(0)
	v_readfirstlane_b32 s1, v1
	s_lshl_b32 s6, s1, 3
	s_waitcnt lgkmcnt(0)
	s_ashr_i32 s1, s0, 31
	s_clause 0x1
	s_load_dwordx2 s[12:13], s[4:5], s6 offset:0x0
	s_load_dwordx2 s[2:3], s[4:5], s6 offset:0x240
	s_add_u32 s8, s4, s6
	s_addc_u32 s9, s5, 0
	s_lshl_b64 s[14:15], s[0:1], 20
	s_load_dwordx4 s[8:11], s[8:9], s6 offset:0x480
	s_waitcnt lgkmcnt(0)
	s_add_u32 s22, s12, s14
	s_addc_u32 s23, s13, s15
	s_lshl_b64 s[0:1], s[0:1], 16
	s_and_b32 s6, s22, 63
	s_sub_u32 s16, s2, s0
	s_subb_u32 s17, s3, s1
	s_and_b32 s0, s2, 3
	s_mov_b32 s1, s7
	s_or_b64 s[0:1], s[6:7], s[0:1]
	s_cmp_eq_u64 s[0:1], 0
	s_cbranch_scc1 .LBB31_21
; %bb.1:
	v_cmp_lt_i64_e64 s0, s[16:17], 1
	s_and_b32 vcc_lo, exec_lo, s0
	s_cbranch_vccnz .LBB31_20
; %bb.2:
	s_load_dword s0, s[4:5], 0xf54
	v_cmp_gt_i64_e64 s1, 0x10000, s[16:17]
	v_cmp_gt_u64_e64 s2, 0x10000, s[16:17]
	v_mov_b32_e32 v18, 0
	v_lshlrev_b32_e32 v17, 4, v0
	s_mov_b64 s[20:21], 0
	s_and_b32 s1, s1, exec_lo
	s_cselect_b32 s7, s17, 0
	s_cselect_b32 s6, s16, 0x10000
	s_waitcnt lgkmcnt(0)
	s_and_b32 s0, s0, 0xffff
	s_and_b32 s1, s2, exec_lo
	s_mul_i32 s2, s0, 3
	v_add_co_u32 v20, s3, v0, s0
	v_mad_u64_u32 v[18:19], null, s0, 48, v[17:18]
	s_cselect_b32 s19, s17, 0
	s_cselect_b32 s18, s16, 0x10000
	v_add_co_ci_u32_e64 v21, null, 0, 0, s3
	s_lshl_b32 s3, s0, 5
	v_add_co_u32 v22, s2, s2, v0
	v_add_co_ci_u32_e64 v23, null, 0, 0, s2
	v_add_co_u32 v1, s2, s3, v17
	s_lshl_b32 s1, s0, 1
	v_add_co_ci_u32_e64 v24, null, 0, 0, s2
	v_add_co_u32 v27, s1, s1, v0
	v_lshlrev_b32_e32 v25, 4, v20
	v_or_b32_e32 v18, 8, v18
	v_or_b32_e32 v26, 8, v1
	v_add_co_ci_u32_e64 v28, null, 0, 0, s1
	s_lshl_b32 s24, s0, 2
	s_lshl_b32 s25, s0, 6
	s_branch .LBB31_4
.LBB31_3:                               ;   in Loop: Header=BB31_4 Depth=1
	s_or_b32 exec_lo, exec_lo, s0
	s_add_u32 s20, s20, s24
	s_addc_u32 s21, s21, 0
	s_add_u32 s22, s22, s25
	v_cmp_lt_i64_e64 s0, s[20:21], s[6:7]
	s_addc_u32 s23, s23, 0
	s_and_b32 vcc_lo, exec_lo, s0
	s_cbranch_vccz .LBB31_20
.LBB31_4:                               ; =>This Inner Loop Header: Depth=1
	s_waitcnt vmcnt(0)
	v_add_co_u32 v1, s0, v0, s20
	v_add_co_ci_u32_e64 v2, null, 0, s21, s0
	v_mov_b32_e32 v3, 0
	v_mov_b32_e32 v11, 0
	;; [unrolled: 1-line block ×3, first 2 shown]
	v_cmp_gt_u64_e32 vcc_lo, s[18:19], v[1:2]
	v_mov_b32_e32 v4, 0
	v_mov_b32_e32 v12, 0
	;; [unrolled: 1-line block ×3, first 2 shown]
	s_and_saveexec_b32 s0, vcc_lo
	s_cbranch_execz .LBB31_6
; %bb.5:                                ;   in Loop: Header=BB31_4 Depth=1
	v_add_co_u32 v1, s1, s22, v17
	v_add_co_ci_u32_e64 v2, null, s23, 0, s1
	global_load_dwordx4 v[9:12], v[1:2], off
.LBB31_6:                               ;   in Loop: Header=BB31_4 Depth=1
	s_or_b32 exec_lo, exec_lo, s0
	v_add_co_u32 v1, s0, v20, s20
	v_add_co_ci_u32_e64 v2, null, s21, v21, s0
	v_cmp_gt_u64_e64 s0, s[18:19], v[1:2]
	v_mov_b32_e32 v1, 0
	v_mov_b32_e32 v2, 0
	s_and_saveexec_b32 s1, s0
	s_cbranch_execz .LBB31_8
; %bb.7:                                ;   in Loop: Header=BB31_4 Depth=1
	v_add_co_u32 v1, s2, s22, v25
	v_add_co_ci_u32_e64 v2, null, s23, 0, s2
	global_load_dwordx4 v[1:4], v[1:2], off
.LBB31_8:                               ;   in Loop: Header=BB31_4 Depth=1
	s_or_b32 exec_lo, exec_lo, s1
	v_add_co_u32 v5, s1, v27, s20
	v_add_co_ci_u32_e64 v6, null, s21, v28, s1
	v_mov_b32_e32 v7, 0
	v_mov_b32_e32 v15, 0
	;; [unrolled: 1-line block ×3, first 2 shown]
	v_cmp_gt_u64_e64 s1, s[18:19], v[5:6]
	v_mov_b32_e32 v8, 0
	v_mov_b32_e32 v16, 0
	;; [unrolled: 1-line block ×3, first 2 shown]
	s_and_saveexec_b32 s3, s1
	s_cbranch_execz .LBB31_10
; %bb.9:                                ;   in Loop: Header=BB31_4 Depth=1
	v_add_co_u32 v5, s2, s22, v26
	v_add_co_ci_u32_e64 v6, null, s23, v24, s2
	global_load_dwordx4 v[13:16], v[5:6], off offset:-8
.LBB31_10:                              ;   in Loop: Header=BB31_4 Depth=1
	s_or_b32 exec_lo, exec_lo, s3
	v_add_co_u32 v5, s2, v22, s20
	v_add_co_ci_u32_e64 v6, null, s21, v23, s2
	v_cmp_gt_u64_e64 s2, s[18:19], v[5:6]
	v_mov_b32_e32 v5, 0
	v_mov_b32_e32 v6, 0
	s_and_saveexec_b32 s26, s2
	s_cbranch_execnz .LBB31_15
; %bb.11:                               ;   in Loop: Header=BB31_4 Depth=1
	s_or_b32 exec_lo, exec_lo, s26
	s_and_saveexec_b32 s3, vcc_lo
	s_cbranch_execnz .LBB31_16
.LBB31_12:                              ;   in Loop: Header=BB31_4 Depth=1
	s_or_b32 exec_lo, exec_lo, s3
	s_and_saveexec_b32 s3, s0
	s_cbranch_execnz .LBB31_17
.LBB31_13:                              ;   in Loop: Header=BB31_4 Depth=1
	s_or_b32 exec_lo, exec_lo, s3
	s_and_saveexec_b32 s0, s1
	s_cbranch_execnz .LBB31_18
.LBB31_14:                              ;   in Loop: Header=BB31_4 Depth=1
	s_or_b32 exec_lo, exec_lo, s0
	s_and_saveexec_b32 s0, s2
	s_cbranch_execz .LBB31_3
	s_branch .LBB31_19
.LBB31_15:                              ;   in Loop: Header=BB31_4 Depth=1
	v_add_co_u32 v5, s3, s22, v18
	v_add_co_ci_u32_e64 v6, null, s23, v19, s3
	global_load_dwordx4 v[5:8], v[5:6], off offset:-8
	s_or_b32 exec_lo, exec_lo, s26
	s_and_saveexec_b32 s3, vcc_lo
	s_cbranch_execz .LBB31_12
.LBB31_16:                              ;   in Loop: Header=BB31_4 Depth=1
	s_waitcnt vmcnt(0)
	v_mul_f64 v[29:30], s[10:11], v[9:10]
	v_mul_f64 v[31:32], s[10:11], v[11:12]
	v_fma_f64 v[11:12], s[8:9], v[11:12], v[29:30]
	v_fma_f64 v[9:10], s[8:9], v[9:10], -v[31:32]
	v_add_co_u32 v29, s26, s22, v17
	v_add_co_ci_u32_e64 v30, null, s23, 0, s26
	global_store_dwordx4 v[29:30], v[9:12], off
	s_or_b32 exec_lo, exec_lo, s3
	s_and_saveexec_b32 s3, s0
	s_cbranch_execz .LBB31_13
.LBB31_17:                              ;   in Loop: Header=BB31_4 Depth=1
	s_waitcnt vmcnt(0)
	v_mul_f64 v[9:10], s[10:11], v[3:4]
	v_mul_f64 v[11:12], s[10:11], v[1:2]
	v_fma_f64 v[1:2], s[8:9], v[1:2], -v[9:10]
	v_fma_f64 v[3:4], s[8:9], v[3:4], v[11:12]
	v_add_co_u32 v9, s0, s22, v25
	v_add_co_ci_u32_e64 v10, null, s23, 0, s0
	global_store_dwordx4 v[9:10], v[1:4], off
	s_or_b32 exec_lo, exec_lo, s3
	s_and_saveexec_b32 s0, s1
	s_cbranch_execz .LBB31_14
.LBB31_18:                              ;   in Loop: Header=BB31_4 Depth=1
	s_waitcnt vmcnt(0)
	v_mul_f64 v[1:2], s[10:11], v[15:16]
	v_mul_f64 v[3:4], s[10:11], v[13:14]
	v_add_co_u32 v9, vcc_lo, s22, v26
	v_add_co_ci_u32_e64 v10, null, s23, v24, vcc_lo
	v_fma_f64 v[1:2], s[8:9], v[13:14], -v[1:2]
	v_fma_f64 v[3:4], s[8:9], v[15:16], v[3:4]
	global_store_dwordx4 v[9:10], v[1:4], off offset:-8
	s_or_b32 exec_lo, exec_lo, s0
	s_and_saveexec_b32 s0, s2
	s_cbranch_execz .LBB31_3
.LBB31_19:                              ;   in Loop: Header=BB31_4 Depth=1
	s_waitcnt vmcnt(0)
	v_mul_f64 v[1:2], s[10:11], v[7:8]
	v_mul_f64 v[3:4], s[10:11], v[5:6]
	v_fma_f64 v[1:2], s[8:9], v[5:6], -v[1:2]
	v_fma_f64 v[3:4], s[8:9], v[7:8], v[3:4]
	v_add_co_u32 v5, vcc_lo, s22, v18
	v_add_co_ci_u32_e64 v6, null, s23, v19, vcc_lo
	global_store_dwordx4 v[5:6], v[1:4], off offset:-8
	s_branch .LBB31_3
.LBB31_20:
	s_cbranch_execz .LBB31_22
	s_branch .LBB31_25
.LBB31_21:
.LBB31_22:
	v_cmp_gt_i64_e64 s0, 0x10000, s[16:17]
	s_waitcnt vmcnt(0)
	v_mov_b32_e32 v2, 0
	v_lshlrev_b32_e32 v1, 2, v0
	s_mov_b32 s1, 0
	s_and_b32 s0, s0, exec_lo
	s_cselect_b32 s3, s17, 0
	s_cselect_b32 s2, s16, 0x10000
	s_mov_b32 s0, exec_lo
	v_cmpx_gt_i64_e64 s[2:3], v[1:2]
	s_cbranch_execz .LBB31_25
; %bb.23:
	s_load_dword s0, s[4:5], 0xf54
	v_mov_b32_e32 v1, v2
	v_lshlrev_b32_e32 v2, 6, v0
	s_waitcnt lgkmcnt(0)
	s_and_b32 s4, s0, 0xffff
	s_add_u32 s0, s12, s14
	s_addc_u32 s5, s13, s15
	v_add_co_u32 v2, s0, s0, v2
	v_add_co_ci_u32_e64 v3, null, s5, 0, s0
	s_lshl_b32 s5, s4, 6
.LBB31_24:                              ; =>This Inner Loop Header: Depth=1
	s_clause 0x3
	global_load_dwordx4 v[4:7], v[2:3], off
	global_load_dwordx4 v[8:11], v[2:3], off offset:16
	global_load_dwordx4 v[12:15], v[2:3], off offset:32
	;; [unrolled: 1-line block ×3, first 2 shown]
	v_add_co_u32 v0, vcc_lo, v0, s4
	v_add_co_ci_u32_e64 v1, null, 0, v1, vcc_lo
	s_waitcnt vmcnt(3)
	v_mul_f64 v[20:21], s[10:11], v[6:7]
	v_mul_f64 v[6:7], s[8:9], v[6:7]
	s_waitcnt vmcnt(2)
	v_mul_f64 v[22:23], s[10:11], v[10:11]
	v_mul_f64 v[10:11], s[8:9], v[10:11]
	s_waitcnt vmcnt(1)
	v_mul_f64 v[24:25], s[10:11], v[14:15]
	v_mul_f64 v[14:15], s[8:9], v[14:15]
	s_waitcnt vmcnt(0)
	v_mul_f64 v[26:27], s[10:11], v[18:19]
	v_mul_f64 v[28:29], s[8:9], v[18:19]
	v_fma_f64 v[18:19], s[8:9], v[4:5], -v[20:21]
	v_fma_f64 v[20:21], s[10:11], v[4:5], v[6:7]
	v_fma_f64 v[4:5], s[8:9], v[8:9], -v[22:23]
	v_fma_f64 v[6:7], s[10:11], v[8:9], v[10:11]
	;; [unrolled: 2-line block ×4, first 2 shown]
	v_lshlrev_b64 v[16:17], 2, v[0:1]
	global_store_dwordx4 v[2:3], v[18:21], off
	global_store_dwordx4 v[2:3], v[4:7], off offset:16
	global_store_dwordx4 v[2:3], v[8:11], off offset:32
	;; [unrolled: 1-line block ×3, first 2 shown]
	v_cmp_le_i64_e32 vcc_lo, s[2:3], v[16:17]
	v_add_co_u32 v2, s0, v2, s5
	v_add_co_ci_u32_e64 v3, null, 0, v3, s0
	s_or_b32 s1, vcc_lo, s1
	s_andn2_b32 exec_lo, exec_lo, s1
	s_cbranch_execnz .LBB31_24
.LBB31_25:
	s_endpgm
	.section	.rodata,"a",@progbits
	.p2align	6, 0x0
	.amdhsa_kernel _ZN2at6native12_GLOBAL__N_125multi_tensor_apply_kernelINS1_28TensorListScalarListMetadataIN3c107complexIdEELi1EEENS1_25BinaryOpScalarListFunctorIS6_Li1ELi1ELi0EEEJSt10multipliesIS6_EEEEvT_T0_DpT1_
		.amdhsa_group_segment_fixed_size 0
		.amdhsa_private_segment_fixed_size 0
		.amdhsa_kernarg_size 4168
		.amdhsa_user_sgpr_count 6
		.amdhsa_user_sgpr_private_segment_buffer 1
		.amdhsa_user_sgpr_dispatch_ptr 0
		.amdhsa_user_sgpr_queue_ptr 0
		.amdhsa_user_sgpr_kernarg_segment_ptr 1
		.amdhsa_user_sgpr_dispatch_id 0
		.amdhsa_user_sgpr_flat_scratch_init 0
		.amdhsa_user_sgpr_private_segment_size 0
		.amdhsa_wavefront_size32 1
		.amdhsa_uses_dynamic_stack 0
		.amdhsa_system_sgpr_private_segment_wavefront_offset 0
		.amdhsa_system_sgpr_workgroup_id_x 1
		.amdhsa_system_sgpr_workgroup_id_y 0
		.amdhsa_system_sgpr_workgroup_id_z 0
		.amdhsa_system_sgpr_workgroup_info 0
		.amdhsa_system_vgpr_workitem_id 0
		.amdhsa_next_free_vgpr 33
		.amdhsa_next_free_sgpr 27
		.amdhsa_reserve_vcc 1
		.amdhsa_reserve_flat_scratch 0
		.amdhsa_float_round_mode_32 0
		.amdhsa_float_round_mode_16_64 0
		.amdhsa_float_denorm_mode_32 3
		.amdhsa_float_denorm_mode_16_64 3
		.amdhsa_dx10_clamp 1
		.amdhsa_ieee_mode 1
		.amdhsa_fp16_overflow 0
		.amdhsa_workgroup_processor_mode 1
		.amdhsa_memory_ordered 1
		.amdhsa_forward_progress 1
		.amdhsa_shared_vgpr_count 0
		.amdhsa_exception_fp_ieee_invalid_op 0
		.amdhsa_exception_fp_denorm_src 0
		.amdhsa_exception_fp_ieee_div_zero 0
		.amdhsa_exception_fp_ieee_overflow 0
		.amdhsa_exception_fp_ieee_underflow 0
		.amdhsa_exception_fp_ieee_inexact 0
		.amdhsa_exception_int_div_zero 0
	.end_amdhsa_kernel
	.section	.text._ZN2at6native12_GLOBAL__N_125multi_tensor_apply_kernelINS1_28TensorListScalarListMetadataIN3c107complexIdEELi1EEENS1_25BinaryOpScalarListFunctorIS6_Li1ELi1ELi0EEEJSt10multipliesIS6_EEEEvT_T0_DpT1_,"axG",@progbits,_ZN2at6native12_GLOBAL__N_125multi_tensor_apply_kernelINS1_28TensorListScalarListMetadataIN3c107complexIdEELi1EEENS1_25BinaryOpScalarListFunctorIS6_Li1ELi1ELi0EEEJSt10multipliesIS6_EEEEvT_T0_DpT1_,comdat
.Lfunc_end31:
	.size	_ZN2at6native12_GLOBAL__N_125multi_tensor_apply_kernelINS1_28TensorListScalarListMetadataIN3c107complexIdEELi1EEENS1_25BinaryOpScalarListFunctorIS6_Li1ELi1ELi0EEEJSt10multipliesIS6_EEEEvT_T0_DpT1_, .Lfunc_end31-_ZN2at6native12_GLOBAL__N_125multi_tensor_apply_kernelINS1_28TensorListScalarListMetadataIN3c107complexIdEELi1EEENS1_25BinaryOpScalarListFunctorIS6_Li1ELi1ELi0EEEJSt10multipliesIS6_EEEEvT_T0_DpT1_
                                        ; -- End function
	.set _ZN2at6native12_GLOBAL__N_125multi_tensor_apply_kernelINS1_28TensorListScalarListMetadataIN3c107complexIdEELi1EEENS1_25BinaryOpScalarListFunctorIS6_Li1ELi1ELi0EEEJSt10multipliesIS6_EEEEvT_T0_DpT1_.num_vgpr, 33
	.set _ZN2at6native12_GLOBAL__N_125multi_tensor_apply_kernelINS1_28TensorListScalarListMetadataIN3c107complexIdEELi1EEENS1_25BinaryOpScalarListFunctorIS6_Li1ELi1ELi0EEEJSt10multipliesIS6_EEEEvT_T0_DpT1_.num_agpr, 0
	.set _ZN2at6native12_GLOBAL__N_125multi_tensor_apply_kernelINS1_28TensorListScalarListMetadataIN3c107complexIdEELi1EEENS1_25BinaryOpScalarListFunctorIS6_Li1ELi1ELi0EEEJSt10multipliesIS6_EEEEvT_T0_DpT1_.numbered_sgpr, 27
	.set _ZN2at6native12_GLOBAL__N_125multi_tensor_apply_kernelINS1_28TensorListScalarListMetadataIN3c107complexIdEELi1EEENS1_25BinaryOpScalarListFunctorIS6_Li1ELi1ELi0EEEJSt10multipliesIS6_EEEEvT_T0_DpT1_.num_named_barrier, 0
	.set _ZN2at6native12_GLOBAL__N_125multi_tensor_apply_kernelINS1_28TensorListScalarListMetadataIN3c107complexIdEELi1EEENS1_25BinaryOpScalarListFunctorIS6_Li1ELi1ELi0EEEJSt10multipliesIS6_EEEEvT_T0_DpT1_.private_seg_size, 0
	.set _ZN2at6native12_GLOBAL__N_125multi_tensor_apply_kernelINS1_28TensorListScalarListMetadataIN3c107complexIdEELi1EEENS1_25BinaryOpScalarListFunctorIS6_Li1ELi1ELi0EEEJSt10multipliesIS6_EEEEvT_T0_DpT1_.uses_vcc, 1
	.set _ZN2at6native12_GLOBAL__N_125multi_tensor_apply_kernelINS1_28TensorListScalarListMetadataIN3c107complexIdEELi1EEENS1_25BinaryOpScalarListFunctorIS6_Li1ELi1ELi0EEEJSt10multipliesIS6_EEEEvT_T0_DpT1_.uses_flat_scratch, 0
	.set _ZN2at6native12_GLOBAL__N_125multi_tensor_apply_kernelINS1_28TensorListScalarListMetadataIN3c107complexIdEELi1EEENS1_25BinaryOpScalarListFunctorIS6_Li1ELi1ELi0EEEJSt10multipliesIS6_EEEEvT_T0_DpT1_.has_dyn_sized_stack, 0
	.set _ZN2at6native12_GLOBAL__N_125multi_tensor_apply_kernelINS1_28TensorListScalarListMetadataIN3c107complexIdEELi1EEENS1_25BinaryOpScalarListFunctorIS6_Li1ELi1ELi0EEEJSt10multipliesIS6_EEEEvT_T0_DpT1_.has_recursion, 0
	.set _ZN2at6native12_GLOBAL__N_125multi_tensor_apply_kernelINS1_28TensorListScalarListMetadataIN3c107complexIdEELi1EEENS1_25BinaryOpScalarListFunctorIS6_Li1ELi1ELi0EEEJSt10multipliesIS6_EEEEvT_T0_DpT1_.has_indirect_call, 0
	.section	.AMDGPU.csdata,"",@progbits
; Kernel info:
; codeLenInByte = 1444
; TotalNumSgprs: 29
; NumVgprs: 33
; ScratchSize: 0
; MemoryBound: 1
; FloatMode: 240
; IeeeMode: 1
; LDSByteSize: 0 bytes/workgroup (compile time only)
; SGPRBlocks: 0
; VGPRBlocks: 4
; NumSGPRsForWavesPerEU: 29
; NumVGPRsForWavesPerEU: 33
; Occupancy: 16
; WaveLimiterHint : 0
; COMPUTE_PGM_RSRC2:SCRATCH_EN: 0
; COMPUTE_PGM_RSRC2:USER_SGPR: 6
; COMPUTE_PGM_RSRC2:TRAP_HANDLER: 0
; COMPUTE_PGM_RSRC2:TGID_X_EN: 1
; COMPUTE_PGM_RSRC2:TGID_Y_EN: 0
; COMPUTE_PGM_RSRC2:TGID_Z_EN: 0
; COMPUTE_PGM_RSRC2:TIDIG_COMP_CNT: 0
	.section	.text._ZN2at6native12_GLOBAL__N_125multi_tensor_apply_kernelINS1_28TensorListScalarListMetadataIN3c107complexIfEELi1EEENS1_25BinaryOpScalarListFunctorIS6_Li1ELi1ELi0EEEJSt10multipliesIS6_EEEEvT_T0_DpT1_,"axG",@progbits,_ZN2at6native12_GLOBAL__N_125multi_tensor_apply_kernelINS1_28TensorListScalarListMetadataIN3c107complexIfEELi1EEENS1_25BinaryOpScalarListFunctorIS6_Li1ELi1ELi0EEEJSt10multipliesIS6_EEEEvT_T0_DpT1_,comdat
	.globl	_ZN2at6native12_GLOBAL__N_125multi_tensor_apply_kernelINS1_28TensorListScalarListMetadataIN3c107complexIfEELi1EEENS1_25BinaryOpScalarListFunctorIS6_Li1ELi1ELi0EEEJSt10multipliesIS6_EEEEvT_T0_DpT1_ ; -- Begin function _ZN2at6native12_GLOBAL__N_125multi_tensor_apply_kernelINS1_28TensorListScalarListMetadataIN3c107complexIfEELi1EEENS1_25BinaryOpScalarListFunctorIS6_Li1ELi1ELi0EEEJSt10multipliesIS6_EEEEvT_T0_DpT1_
	.p2align	8
	.type	_ZN2at6native12_GLOBAL__N_125multi_tensor_apply_kernelINS1_28TensorListScalarListMetadataIN3c107complexIfEELi1EEENS1_25BinaryOpScalarListFunctorIS6_Li1ELi1ELi0EEEJSt10multipliesIS6_EEEEvT_T0_DpT1_,@function
_ZN2at6native12_GLOBAL__N_125multi_tensor_apply_kernelINS1_28TensorListScalarListMetadataIN3c107complexIfEELi1EEENS1_25BinaryOpScalarListFunctorIS6_Li1ELi1ELi0EEEJSt10multipliesIS6_EEEEvT_T0_DpT1_: ; @_ZN2at6native12_GLOBAL__N_125multi_tensor_apply_kernelINS1_28TensorListScalarListMetadataIN3c107complexIfEELi1EEENS1_25BinaryOpScalarListFunctorIS6_Li1ELi1ELi0EEEJSt10multipliesIS6_EEEEvT_T0_DpT1_
; %bb.0:
	s_add_u32 s6, s6, s9
	s_addc_u32 s7, s7, 0
	s_setreg_b32 hwreg(HW_REG_FLAT_SCR_LO), s6
	s_setreg_b32 hwreg(HW_REG_FLAT_SCR_HI), s7
	s_add_u32 s0, s0, s9
	v_mov_b32_e32 v1, 0x800
	s_addc_u32 s1, s1, 0
	s_add_u32 s6, s4, s8
	s_addc_u32 s7, s5, 0
	s_mov_b32 s9, 0
	global_load_ubyte v1, v1, s[6:7] offset:256
	s_lshl_b64 s[6:7], s[8:9], 2
	s_add_u32 s6, s4, s6
	s_addc_u32 s7, s5, s7
	s_load_dword s6, s[6:7], 0xa40
	s_waitcnt vmcnt(0)
	v_readfirstlane_b32 s8, v1
	s_lshl_b32 s7, s8, 3
	s_clause 0x2
	s_load_dwordx2 s[10:11], s[4:5], s7 offset:0x600
	s_load_dwordx2 s[12:13], s[4:5], s7 offset:0x0
	;; [unrolled: 1-line block ×3, first 2 shown]
	s_waitcnt lgkmcnt(0)
	s_ashr_i32 s7, s6, 31
	s_lshl_b64 s[14:15], s[6:7], 19
	s_add_u32 s24, s12, s14
	s_addc_u32 s25, s13, s15
	s_lshl_b64 s[6:7], s[6:7], 16
	s_and_b32 s8, s24, 31
	s_sub_u32 s16, s18, s6
	s_subb_u32 s17, s19, s7
	s_and_b32 s6, s18, 3
	s_mov_b32 s7, s9
	s_or_b64 s[6:7], s[8:9], s[6:7]
	s_cmp_eq_u64 s[6:7], 0
	s_cbranch_scc1 .LBB32_19
; %bb.1:
	v_cmp_lt_i64_e64 s6, s[16:17], 1
	s_and_b32 vcc_lo, exec_lo, s6
	s_cbranch_vccnz .LBB32_18
; %bb.2:
	s_load_dword s6, s[4:5], 0xf54
	v_cmp_gt_i64_e64 s7, 0x10000, s[16:17]
	s_mov_b64 s[8:9], src_private_base
	v_cmp_gt_u64_e64 s8, 0x10000, s[16:17]
	v_mov_b32_e32 v15, 0
	s_mov_b64 s[22:23], 0
	s_and_b32 s7, s7, exec_lo
	s_cselect_b32 s19, s17, 0
	s_cselect_b32 s18, s16, 0x10000
	s_waitcnt lgkmcnt(0)
	s_and_b32 s26, s6, 0xffff
	s_and_b32 s6, s8, exec_lo
	s_cselect_b32 s21, s17, 0
	s_cselect_b32 s20, s16, 0x10000
	s_lshl_b32 s27, s26, 1
	s_mul_i32 s28, s26, 3
	s_lshl_b32 s29, s26, 2
	s_branch .LBB32_4
.LBB32_3:                               ;   in Loop: Header=BB32_4 Depth=1
	s_or_b32 exec_lo, exec_lo, s6
	s_add_u32 s22, s22, s29
	s_addc_u32 s23, s23, 0
	v_cmp_lt_i64_e64 s6, s[22:23], s[18:19]
	s_and_b32 vcc_lo, exec_lo, s6
	s_cbranch_vccz .LBB32_18
.LBB32_4:                               ; =>This Inner Loop Header: Depth=1
	v_add_co_u32 v13, s6, s22, v0
	v_add_co_ci_u32_e64 v14, null, s23, 0, s6
	v_mov_b32_e32 v4, 0
	v_mov_b32_e32 v3, 0
	v_cmp_gt_u64_e32 vcc_lo, s[20:21], v[13:14]
	v_lshlrev_b64 v[1:2], 3, v[13:14]
	s_and_saveexec_b32 s7, vcc_lo
	s_cbranch_execz .LBB32_6
; %bb.5:                                ;   in Loop: Header=BB32_4 Depth=1
	v_add_co_u32 v3, s6, s24, v1
	v_add_co_ci_u32_e64 v4, null, s25, v2, s6
	global_load_dwordx2 v[3:4], v[3:4], off
.LBB32_6:                               ;   in Loop: Header=BB32_4 Depth=1
	s_or_b32 exec_lo, exec_lo, s7
	v_add_co_u32 v5, s6, v13, s26
	v_add_co_ci_u32_e64 v6, null, 0, v14, s6
	v_mov_b32_e32 v8, 0
	v_mov_b32_e32 v7, 0
	v_cmp_gt_u64_e64 s6, s[20:21], v[5:6]
	v_lshlrev_b64 v[5:6], 3, v[5:6]
	s_and_saveexec_b32 s8, s6
	s_cbranch_execz .LBB32_8
; %bb.7:                                ;   in Loop: Header=BB32_4 Depth=1
	v_add_co_u32 v7, s7, s24, v5
	v_add_co_ci_u32_e64 v8, null, s25, v6, s7
	global_load_dwordx2 v[7:8], v[7:8], off
.LBB32_8:                               ;   in Loop: Header=BB32_4 Depth=1
	s_or_b32 exec_lo, exec_lo, s8
	v_add_co_u32 v9, s7, v13, s27
	v_add_co_ci_u32_e64 v10, null, 0, v14, s7
	v_mov_b32_e32 v11, 0
	v_mov_b32_e32 v12, 0
	v_cmp_gt_u64_e64 s7, s[20:21], v[9:10]
	v_lshlrev_b64 v[9:10], 3, v[9:10]
	s_and_saveexec_b32 s30, s7
	s_cbranch_execz .LBB32_10
; %bb.9:                                ;   in Loop: Header=BB32_4 Depth=1
	v_add_co_u32 v11, s8, s24, v9
	v_add_co_ci_u32_e64 v12, null, s25, v10, s8
	global_load_dwordx2 v[11:12], v[11:12], off
.LBB32_10:                              ;   in Loop: Header=BB32_4 Depth=1
	s_or_b32 exec_lo, exec_lo, s30
	v_add_co_u32 v16, s8, v13, s28
	v_add_co_ci_u32_e64 v17, null, 0, v14, s8
	buffer_store_dword v15, off, s[0:3], 0
	buffer_store_dword v15, off, s[0:3], 0 offset:4
	v_lshlrev_b64 v[13:14], 3, v[16:17]
	v_add_co_u32 v13, s8, s24, v13
	v_add_co_ci_u32_e64 v14, null, s25, v14, s8
	v_cmp_gt_u64_e64 s8, s[20:21], v[16:17]
	v_cndmask_b32_e64 v17, s9, v14, s8
	v_cndmask_b32_e64 v16, 0, v13, s8
	flat_load_dwordx2 v[16:17], v[16:17]
	s_waitcnt vmcnt(0) lgkmcnt(0)
	v_mul_f32_e32 v18, s11, v17
	v_mul_f32_e32 v17, s10, v17
	v_fma_f32 v18, s10, v16, -v18
	v_fmac_f32_e32 v17, s11, v16
	buffer_store_dword v18, off, s[0:3], 0
	buffer_store_dword v17, off, s[0:3], 0 offset:4
	s_and_saveexec_b32 s30, vcc_lo
	s_cbranch_execnz .LBB32_14
; %bb.11:                               ;   in Loop: Header=BB32_4 Depth=1
	s_or_b32 exec_lo, exec_lo, s30
	s_and_saveexec_b32 s30, s6
	s_cbranch_execnz .LBB32_15
.LBB32_12:                              ;   in Loop: Header=BB32_4 Depth=1
	s_or_b32 exec_lo, exec_lo, s30
	s_and_saveexec_b32 s6, s7
	s_cbranch_execnz .LBB32_16
.LBB32_13:                              ;   in Loop: Header=BB32_4 Depth=1
	s_or_b32 exec_lo, exec_lo, s6
	s_and_saveexec_b32 s6, s8
	s_cbranch_execz .LBB32_3
	s_branch .LBB32_17
.LBB32_14:                              ;   in Loop: Header=BB32_4 Depth=1
	v_mul_f32_e32 v16, s11, v4
	v_mul_f32_e32 v17, s11, v3
	v_add_co_u32 v1, vcc_lo, s24, v1
	v_add_co_ci_u32_e64 v2, null, s25, v2, vcc_lo
	v_fma_f32 v16, v3, s10, -v16
	v_fmac_f32_e32 v17, s10, v4
	global_store_dwordx2 v[1:2], v[16:17], off
	s_or_b32 exec_lo, exec_lo, s30
	s_and_saveexec_b32 s30, s6
	s_cbranch_execz .LBB32_12
.LBB32_15:                              ;   in Loop: Header=BB32_4 Depth=1
	v_mul_f32_e32 v1, s11, v8
	v_mul_f32_e32 v2, s11, v7
	v_add_co_u32 v3, vcc_lo, s24, v5
	v_add_co_ci_u32_e64 v4, null, s25, v6, vcc_lo
	v_fma_f32 v1, v7, s10, -v1
	v_fmac_f32_e32 v2, s10, v8
	global_store_dwordx2 v[3:4], v[1:2], off
	s_or_b32 exec_lo, exec_lo, s30
	s_and_saveexec_b32 s6, s7
	s_cbranch_execz .LBB32_13
.LBB32_16:                              ;   in Loop: Header=BB32_4 Depth=1
	v_mul_f32_e32 v1, s11, v12
	v_mul_f32_e32 v2, s10, v12
	v_add_co_u32 v3, vcc_lo, s24, v9
	v_add_co_ci_u32_e64 v4, null, s25, v10, vcc_lo
	v_fma_f32 v1, s10, v11, -v1
	v_fmac_f32_e32 v2, s11, v11
	global_store_dwordx2 v[3:4], v[1:2], off
	s_or_b32 exec_lo, exec_lo, s6
	s_and_saveexec_b32 s6, s8
	s_cbranch_execz .LBB32_3
.LBB32_17:                              ;   in Loop: Header=BB32_4 Depth=1
	s_clause 0x1
	buffer_load_dword v1, off, s[0:3], 0
	buffer_load_dword v2, off, s[0:3], 0 offset:4
	s_waitcnt vmcnt(0)
	global_store_dwordx2 v[13:14], v[1:2], off
	s_branch .LBB32_3
.LBB32_18:
	s_cbranch_execz .LBB32_20
	s_branch .LBB32_23
.LBB32_19:
.LBB32_20:
	v_cmp_gt_i64_e64 s6, 0x10000, s[16:17]
	v_mov_b32_e32 v2, 0
	v_lshlrev_b32_e32 v1, 2, v0
	s_mov_b32 s8, 0
	s_mov_b32 s9, exec_lo
	s_and_b32 s6, s6, exec_lo
	s_cselect_b32 s7, s17, 0
	s_cselect_b32 s6, s16, 0x10000
	v_cmpx_gt_i64_e64 s[6:7], v[1:2]
	s_cbranch_execz .LBB32_23
; %bb.21:
	s_load_dword s4, s[4:5], 0xf54
	v_mov_b32_e32 v1, v2
	v_lshlrev_b32_e32 v2, 5, v0
	s_waitcnt lgkmcnt(0)
	s_and_b32 s5, s4, 0xffff
	s_add_u32 s4, s12, s14
	s_addc_u32 s9, s13, s15
	v_add_co_u32 v2, s4, s4, v2
	v_add_co_ci_u32_e64 v3, null, s9, 0, s4
	s_lshl_b32 s9, s5, 5
	s_inst_prefetch 0x1
	.p2align	6
.LBB32_22:                              ; =>This Inner Loop Header: Depth=1
	s_clause 0x1
	global_load_dwordx4 v[4:7], v[2:3], off
	global_load_dwordx4 v[8:11], v[2:3], off offset:16
	v_add_co_u32 v0, vcc_lo, v0, s5
	v_add_co_ci_u32_e64 v1, null, 0, v1, vcc_lo
	v_lshlrev_b64 v[15:16], 2, v[0:1]
	v_cmp_le_i64_e32 vcc_lo, s[6:7], v[15:16]
	s_or_b32 s8, vcc_lo, s8
	s_waitcnt vmcnt(1)
	v_mul_f32_e32 v13, s11, v5
	v_mul_f32_e32 v12, s10, v5
	v_mul_f32_e32 v17, s11, v7
	v_mul_f32_e32 v14, s10, v7
	s_waitcnt vmcnt(0)
	v_mul_f32_e32 v18, s11, v9
	v_mul_f32_e32 v5, s10, v9
	;; [unrolled: 1-line block ×4, first 2 shown]
	v_fma_f32 v11, v4, s10, -v13
	v_fmac_f32_e32 v12, s11, v4
	v_fma_f32 v13, v6, s10, -v17
	v_fmac_f32_e32 v14, s11, v6
	;; [unrolled: 2-line block ×4, first 2 shown]
	global_store_dwordx4 v[2:3], v[11:14], off
	global_store_dwordx4 v[2:3], v[4:7], off offset:16
	v_add_co_u32 v2, s4, v2, s9
	v_add_co_ci_u32_e64 v3, null, 0, v3, s4
	buffer_store_dword v6, off, s[0:3], 0
	buffer_store_dword v7, off, s[0:3], 0 offset:4
	s_andn2_b32 exec_lo, exec_lo, s8
	s_cbranch_execnz .LBB32_22
.LBB32_23:
	s_inst_prefetch 0x2
	s_endpgm
	.section	.rodata,"a",@progbits
	.p2align	6, 0x0
	.amdhsa_kernel _ZN2at6native12_GLOBAL__N_125multi_tensor_apply_kernelINS1_28TensorListScalarListMetadataIN3c107complexIfEELi1EEENS1_25BinaryOpScalarListFunctorIS6_Li1ELi1ELi0EEEJSt10multipliesIS6_EEEEvT_T0_DpT1_
		.amdhsa_group_segment_fixed_size 0
		.amdhsa_private_segment_fixed_size 16
		.amdhsa_kernarg_size 4168
		.amdhsa_user_sgpr_count 8
		.amdhsa_user_sgpr_private_segment_buffer 1
		.amdhsa_user_sgpr_dispatch_ptr 0
		.amdhsa_user_sgpr_queue_ptr 0
		.amdhsa_user_sgpr_kernarg_segment_ptr 1
		.amdhsa_user_sgpr_dispatch_id 0
		.amdhsa_user_sgpr_flat_scratch_init 1
		.amdhsa_user_sgpr_private_segment_size 0
		.amdhsa_wavefront_size32 1
		.amdhsa_uses_dynamic_stack 0
		.amdhsa_system_sgpr_private_segment_wavefront_offset 1
		.amdhsa_system_sgpr_workgroup_id_x 1
		.amdhsa_system_sgpr_workgroup_id_y 0
		.amdhsa_system_sgpr_workgroup_id_z 0
		.amdhsa_system_sgpr_workgroup_info 0
		.amdhsa_system_vgpr_workitem_id 0
		.amdhsa_next_free_vgpr 19
		.amdhsa_next_free_sgpr 31
		.amdhsa_reserve_vcc 1
		.amdhsa_reserve_flat_scratch 1
		.amdhsa_float_round_mode_32 0
		.amdhsa_float_round_mode_16_64 0
		.amdhsa_float_denorm_mode_32 3
		.amdhsa_float_denorm_mode_16_64 3
		.amdhsa_dx10_clamp 1
		.amdhsa_ieee_mode 1
		.amdhsa_fp16_overflow 0
		.amdhsa_workgroup_processor_mode 1
		.amdhsa_memory_ordered 1
		.amdhsa_forward_progress 1
		.amdhsa_shared_vgpr_count 0
		.amdhsa_exception_fp_ieee_invalid_op 0
		.amdhsa_exception_fp_denorm_src 0
		.amdhsa_exception_fp_ieee_div_zero 0
		.amdhsa_exception_fp_ieee_overflow 0
		.amdhsa_exception_fp_ieee_underflow 0
		.amdhsa_exception_fp_ieee_inexact 0
		.amdhsa_exception_int_div_zero 0
	.end_amdhsa_kernel
	.section	.text._ZN2at6native12_GLOBAL__N_125multi_tensor_apply_kernelINS1_28TensorListScalarListMetadataIN3c107complexIfEELi1EEENS1_25BinaryOpScalarListFunctorIS6_Li1ELi1ELi0EEEJSt10multipliesIS6_EEEEvT_T0_DpT1_,"axG",@progbits,_ZN2at6native12_GLOBAL__N_125multi_tensor_apply_kernelINS1_28TensorListScalarListMetadataIN3c107complexIfEELi1EEENS1_25BinaryOpScalarListFunctorIS6_Li1ELi1ELi0EEEJSt10multipliesIS6_EEEEvT_T0_DpT1_,comdat
.Lfunc_end32:
	.size	_ZN2at6native12_GLOBAL__N_125multi_tensor_apply_kernelINS1_28TensorListScalarListMetadataIN3c107complexIfEELi1EEENS1_25BinaryOpScalarListFunctorIS6_Li1ELi1ELi0EEEJSt10multipliesIS6_EEEEvT_T0_DpT1_, .Lfunc_end32-_ZN2at6native12_GLOBAL__N_125multi_tensor_apply_kernelINS1_28TensorListScalarListMetadataIN3c107complexIfEELi1EEENS1_25BinaryOpScalarListFunctorIS6_Li1ELi1ELi0EEEJSt10multipliesIS6_EEEEvT_T0_DpT1_
                                        ; -- End function
	.set _ZN2at6native12_GLOBAL__N_125multi_tensor_apply_kernelINS1_28TensorListScalarListMetadataIN3c107complexIfEELi1EEENS1_25BinaryOpScalarListFunctorIS6_Li1ELi1ELi0EEEJSt10multipliesIS6_EEEEvT_T0_DpT1_.num_vgpr, 19
	.set _ZN2at6native12_GLOBAL__N_125multi_tensor_apply_kernelINS1_28TensorListScalarListMetadataIN3c107complexIfEELi1EEENS1_25BinaryOpScalarListFunctorIS6_Li1ELi1ELi0EEEJSt10multipliesIS6_EEEEvT_T0_DpT1_.num_agpr, 0
	.set _ZN2at6native12_GLOBAL__N_125multi_tensor_apply_kernelINS1_28TensorListScalarListMetadataIN3c107complexIfEELi1EEENS1_25BinaryOpScalarListFunctorIS6_Li1ELi1ELi0EEEJSt10multipliesIS6_EEEEvT_T0_DpT1_.numbered_sgpr, 31
	.set _ZN2at6native12_GLOBAL__N_125multi_tensor_apply_kernelINS1_28TensorListScalarListMetadataIN3c107complexIfEELi1EEENS1_25BinaryOpScalarListFunctorIS6_Li1ELi1ELi0EEEJSt10multipliesIS6_EEEEvT_T0_DpT1_.num_named_barrier, 0
	.set _ZN2at6native12_GLOBAL__N_125multi_tensor_apply_kernelINS1_28TensorListScalarListMetadataIN3c107complexIfEELi1EEENS1_25BinaryOpScalarListFunctorIS6_Li1ELi1ELi0EEEJSt10multipliesIS6_EEEEvT_T0_DpT1_.private_seg_size, 16
	.set _ZN2at6native12_GLOBAL__N_125multi_tensor_apply_kernelINS1_28TensorListScalarListMetadataIN3c107complexIfEELi1EEENS1_25BinaryOpScalarListFunctorIS6_Li1ELi1ELi0EEEJSt10multipliesIS6_EEEEvT_T0_DpT1_.uses_vcc, 1
	.set _ZN2at6native12_GLOBAL__N_125multi_tensor_apply_kernelINS1_28TensorListScalarListMetadataIN3c107complexIfEELi1EEENS1_25BinaryOpScalarListFunctorIS6_Li1ELi1ELi0EEEJSt10multipliesIS6_EEEEvT_T0_DpT1_.uses_flat_scratch, 1
	.set _ZN2at6native12_GLOBAL__N_125multi_tensor_apply_kernelINS1_28TensorListScalarListMetadataIN3c107complexIfEELi1EEENS1_25BinaryOpScalarListFunctorIS6_Li1ELi1ELi0EEEJSt10multipliesIS6_EEEEvT_T0_DpT1_.has_dyn_sized_stack, 0
	.set _ZN2at6native12_GLOBAL__N_125multi_tensor_apply_kernelINS1_28TensorListScalarListMetadataIN3c107complexIfEELi1EEENS1_25BinaryOpScalarListFunctorIS6_Li1ELi1ELi0EEEJSt10multipliesIS6_EEEEvT_T0_DpT1_.has_recursion, 0
	.set _ZN2at6native12_GLOBAL__N_125multi_tensor_apply_kernelINS1_28TensorListScalarListMetadataIN3c107complexIfEELi1EEENS1_25BinaryOpScalarListFunctorIS6_Li1ELi1ELi0EEEJSt10multipliesIS6_EEEEvT_T0_DpT1_.has_indirect_call, 0
	.section	.AMDGPU.csdata,"",@progbits
; Kernel info:
; codeLenInByte = 1292
; TotalNumSgprs: 33
; NumVgprs: 19
; ScratchSize: 16
; MemoryBound: 0
; FloatMode: 240
; IeeeMode: 1
; LDSByteSize: 0 bytes/workgroup (compile time only)
; SGPRBlocks: 0
; VGPRBlocks: 2
; NumSGPRsForWavesPerEU: 33
; NumVGPRsForWavesPerEU: 19
; Occupancy: 16
; WaveLimiterHint : 1
; COMPUTE_PGM_RSRC2:SCRATCH_EN: 1
; COMPUTE_PGM_RSRC2:USER_SGPR: 8
; COMPUTE_PGM_RSRC2:TRAP_HANDLER: 0
; COMPUTE_PGM_RSRC2:TGID_X_EN: 1
; COMPUTE_PGM_RSRC2:TGID_Y_EN: 0
; COMPUTE_PGM_RSRC2:TGID_Z_EN: 0
; COMPUTE_PGM_RSRC2:TIDIG_COMP_CNT: 0
	.section	.text._ZN2at6native12_GLOBAL__N_125multi_tensor_apply_kernelINS1_28TensorListScalarListMetadataIbLi1EEENS1_25BinaryOpScalarListFunctorIbLi1ELi1ELi0EEEJSt10multipliesIbEEEEvT_T0_DpT1_,"axG",@progbits,_ZN2at6native12_GLOBAL__N_125multi_tensor_apply_kernelINS1_28TensorListScalarListMetadataIbLi1EEENS1_25BinaryOpScalarListFunctorIbLi1ELi1ELi0EEEJSt10multipliesIbEEEEvT_T0_DpT1_,comdat
	.globl	_ZN2at6native12_GLOBAL__N_125multi_tensor_apply_kernelINS1_28TensorListScalarListMetadataIbLi1EEENS1_25BinaryOpScalarListFunctorIbLi1ELi1ELi0EEEJSt10multipliesIbEEEEvT_T0_DpT1_ ; -- Begin function _ZN2at6native12_GLOBAL__N_125multi_tensor_apply_kernelINS1_28TensorListScalarListMetadataIbLi1EEENS1_25BinaryOpScalarListFunctorIbLi1ELi1ELi0EEEJSt10multipliesIbEEEEvT_T0_DpT1_
	.p2align	8
	.type	_ZN2at6native12_GLOBAL__N_125multi_tensor_apply_kernelINS1_28TensorListScalarListMetadataIbLi1EEENS1_25BinaryOpScalarListFunctorIbLi1ELi1ELi0EEEJSt10multipliesIbEEEEvT_T0_DpT1_,@function
_ZN2at6native12_GLOBAL__N_125multi_tensor_apply_kernelINS1_28TensorListScalarListMetadataIbLi1EEENS1_25BinaryOpScalarListFunctorIbLi1ELi1ELi0EEEJSt10multipliesIbEEEEvT_T0_DpT1_: ; @_ZN2at6native12_GLOBAL__N_125multi_tensor_apply_kernelINS1_28TensorListScalarListMetadataIbLi1EEENS1_25BinaryOpScalarListFunctorIbLi1ELi1ELi0EEEJSt10multipliesIbEEEEvT_T0_DpT1_
; %bb.0:
	v_mov_b32_e32 v1, s6
	s_mul_i32 s1, s6, 3
	s_mul_hi_u32 s2, s6, 3
	global_load_ubyte v3, v1, s[4:5] offset:1632
	s_waitcnt vmcnt(0)
	v_add_co_u32 v1, s0, s4, v3
	v_add_co_ci_u32_e64 v2, null, s5, 0, s0
	s_add_u32 s0, s4, s6
	s_addc_u32 s3, s5, 0
	s_add_u32 s0, s0, s1
	global_load_ubyte v1, v[1:2], off offset:1536
	s_addc_u32 s1, s3, s2
	v_readfirstlane_b32 s2, v3
	s_load_dword s0, s[0:1], 0x7a0
	s_lshl_b32 s1, s2, 3
	s_clause 0x1
	s_load_dwordx2 s[2:3], s[4:5], s1 offset:0x300
	s_load_dwordx2 s[6:7], s[4:5], s1 offset:0x0
	s_waitcnt lgkmcnt(0)
	s_ashr_i32 s1, s0, 31
	s_lshl_b64 s[8:9], s[0:1], 16
	s_waitcnt vmcnt(0)
	v_readfirstlane_b32 s10, v1
	s_bitcmp1_b32 s10, 0
	s_cselect_b32 s18, -1, 0
	s_sub_u32 s10, s2, s8
	s_subb_u32 s11, s3, s9
	s_or_b32 s0, s2, s6
	s_and_b32 s0, s0, 3
	s_cmp_eq_u32 s0, 0
	s_cbranch_scc1 .LBB33_21
; %bb.1:
	v_cmp_lt_i64_e64 s0, s[10:11], 1
	s_and_b32 vcc_lo, exec_lo, s0
	s_cbranch_vccnz .LBB33_20
; %bb.2:
	s_load_dword s0, s[4:5], 0xcb4
	v_cmp_gt_i64_e64 s1, 0x10000, s[10:11]
	v_add_co_u32 v11, s2, s8, v0
	v_add_co_ci_u32_e64 v12, null, s9, 0, s2
	v_cmp_gt_u64_e64 s2, 0x10000, s[10:11]
	s_and_b32 s1, s1, exec_lo
	s_cselect_b32 s13, s11, 0
	s_cselect_b32 s12, s10, 0x10000
	v_add_co_u32 v1, vcc_lo, s6, v11
	v_add_co_ci_u32_e64 v2, null, s7, v12, vcc_lo
	s_waitcnt lgkmcnt(0)
	s_and_b32 s0, s0, 0xffff
	s_and_b32 s1, s2, exec_lo
	s_mul_i32 s2, s0, 3
	s_cselect_b32 s15, s11, 0
	s_cselect_b32 s14, s10, 0x10000
	s_lshl_b32 s1, s0, 1
	s_lshl_b32 s19, s0, 2
	s_add_u32 s3, s8, s2
	s_addc_u32 s16, s9, 0
	s_add_u32 s3, s6, s3
	v_add_co_u32 v5, s2, s2, v0
	s_addc_u32 s16, s7, s16
	v_add_co_u32 v3, s3, s3, v0
	v_add_co_ci_u32_e64 v6, null, 0, 0, s2
	s_add_u32 s2, s8, s1
	v_add_co_ci_u32_e64 v4, null, s16, 0, s3
	s_addc_u32 s3, s9, 0
	s_add_u32 s2, s6, s2
	v_add_co_u32 v9, s1, s1, v0
	s_addc_u32 s3, s7, s3
	v_add_co_u32 v7, s2, s2, v0
	v_add_co_ci_u32_e64 v10, null, 0, 0, s1
	s_add_u32 s1, s6, s0
	v_add_co_ci_u32_e64 v8, null, s3, 0, s2
	s_addc_u32 s2, s7, 0
	v_add_co_u32 v11, vcc_lo, s1, v11
	v_add_co_u32 v13, s0, v0, s0
	v_add_co_ci_u32_e64 v12, null, s2, v12, vcc_lo
	v_add_co_ci_u32_e64 v14, null, 0, 0, s0
	s_mov_b64 s[16:17], 0
	s_branch .LBB33_4
.LBB33_3:                               ;   in Loop: Header=BB33_4 Depth=1
	s_or_b32 exec_lo, exec_lo, s0
	s_add_u32 s16, s16, s19
	s_addc_u32 s17, s17, 0
	v_cmp_lt_i64_e64 s0, s[16:17], s[12:13]
	s_and_b32 vcc_lo, exec_lo, s0
	s_cbranch_vccz .LBB33_20
.LBB33_4:                               ; =>This Inner Loop Header: Depth=1
	v_add_co_u32 v15, s0, v0, s16
	v_add_co_ci_u32_e64 v16, null, 0, s17, s0
	s_mov_b32 s21, 0
	v_cmp_gt_u64_e32 vcc_lo, s[14:15], v[15:16]
	s_and_saveexec_b32 s1, vcc_lo
	s_cbranch_execz .LBB33_6
; %bb.5:                                ;   in Loop: Header=BB33_4 Depth=1
	v_add_co_u32 v15, s0, v1, s16
	v_add_co_ci_u32_e64 v16, null, s17, v2, s0
	global_load_ubyte v15, v[15:16], off
	s_waitcnt vmcnt(0)
	v_cmp_ne_u16_e64 s0, 0, v15
	s_and_b32 s21, s0, exec_lo
.LBB33_6:                               ;   in Loop: Header=BB33_4 Depth=1
	s_or_b32 exec_lo, exec_lo, s1
	v_add_co_u32 v15, s0, v13, s16
	v_add_co_ci_u32_e64 v16, null, s17, v14, s0
	s_mov_b32 s20, 0
	s_mov_b32 s22, 0
	v_cmp_gt_u64_e64 s0, s[14:15], v[15:16]
	s_and_saveexec_b32 s2, s0
	s_cbranch_execz .LBB33_8
; %bb.7:                                ;   in Loop: Header=BB33_4 Depth=1
	v_add_co_u32 v15, s1, v11, s16
	v_add_co_ci_u32_e64 v16, null, s17, v12, s1
	global_load_ubyte v15, v[15:16], off
	s_waitcnt vmcnt(0)
	v_cmp_ne_u16_e64 s1, 0, v15
	s_and_b32 s22, s1, exec_lo
.LBB33_8:                               ;   in Loop: Header=BB33_4 Depth=1
	s_or_b32 exec_lo, exec_lo, s2
	v_add_co_u32 v15, s1, v9, s16
	v_add_co_ci_u32_e64 v16, null, s17, v10, s1
	v_cmp_gt_u64_e64 s1, s[14:15], v[15:16]
	s_and_saveexec_b32 s3, s1
	s_cbranch_execz .LBB33_10
; %bb.9:                                ;   in Loop: Header=BB33_4 Depth=1
	v_add_co_u32 v15, s2, v7, s16
	v_add_co_ci_u32_e64 v16, null, s17, v8, s2
	global_load_ubyte v15, v[15:16], off
	s_waitcnt vmcnt(0)
	v_cmp_ne_u16_e64 s2, 0, v15
	s_and_b32 s20, s2, exec_lo
.LBB33_10:                              ;   in Loop: Header=BB33_4 Depth=1
	s_or_b32 exec_lo, exec_lo, s3
	v_add_co_u32 v15, s2, v5, s16
	v_add_co_ci_u32_e64 v16, null, s17, v6, s2
	s_mov_b32 s3, 0
	v_cmp_gt_u64_e64 s2, s[14:15], v[15:16]
	s_and_saveexec_b32 s23, s2
	s_cbranch_execnz .LBB33_15
; %bb.11:                               ;   in Loop: Header=BB33_4 Depth=1
	s_or_b32 exec_lo, exec_lo, s23
	s_and_saveexec_b32 s23, vcc_lo
	s_cbranch_execnz .LBB33_16
.LBB33_12:                              ;   in Loop: Header=BB33_4 Depth=1
	s_or_b32 exec_lo, exec_lo, s23
	s_and_saveexec_b32 s21, s0
	s_cbranch_execnz .LBB33_17
.LBB33_13:                              ;   in Loop: Header=BB33_4 Depth=1
	s_or_b32 exec_lo, exec_lo, s21
	s_and_saveexec_b32 s0, s1
	s_cbranch_execnz .LBB33_18
.LBB33_14:                              ;   in Loop: Header=BB33_4 Depth=1
	s_or_b32 exec_lo, exec_lo, s0
	s_and_saveexec_b32 s0, s2
	s_cbranch_execz .LBB33_3
	s_branch .LBB33_19
.LBB33_15:                              ;   in Loop: Header=BB33_4 Depth=1
	v_add_co_u32 v15, s3, v3, s16
	v_add_co_ci_u32_e64 v16, null, s17, v4, s3
	global_load_ubyte v15, v[15:16], off
	s_waitcnt vmcnt(0)
	v_cmp_ne_u16_e64 s3, 0, v15
	s_and_b32 s3, s3, exec_lo
	s_or_b32 exec_lo, exec_lo, s23
	s_and_saveexec_b32 s23, vcc_lo
	s_cbranch_execz .LBB33_12
.LBB33_16:                              ;   in Loop: Header=BB33_4 Depth=1
	s_and_b32 s21, s21, s18
	v_add_co_u32 v15, vcc_lo, v1, s16
	v_cndmask_b32_e64 v17, 0, 1, s21
	v_add_co_ci_u32_e64 v16, null, s17, v2, vcc_lo
	global_store_byte v[15:16], v17, off
	s_or_b32 exec_lo, exec_lo, s23
	s_and_saveexec_b32 s21, s0
	s_cbranch_execz .LBB33_13
.LBB33_17:                              ;   in Loop: Header=BB33_4 Depth=1
	s_and_b32 s0, s22, s18
	v_add_co_u32 v15, vcc_lo, v11, s16
	v_cndmask_b32_e64 v17, 0, 1, s0
	v_add_co_ci_u32_e64 v16, null, s17, v12, vcc_lo
	global_store_byte v[15:16], v17, off
	s_or_b32 exec_lo, exec_lo, s21
	s_and_saveexec_b32 s0, s1
	s_cbranch_execz .LBB33_14
.LBB33_18:                              ;   in Loop: Header=BB33_4 Depth=1
	s_and_b32 s1, s20, s18
	v_add_co_u32 v15, vcc_lo, v7, s16
	v_cndmask_b32_e64 v17, 0, 1, s1
	v_add_co_ci_u32_e64 v16, null, s17, v8, vcc_lo
	global_store_byte v[15:16], v17, off
	s_or_b32 exec_lo, exec_lo, s0
	s_and_saveexec_b32 s0, s2
	s_cbranch_execz .LBB33_3
.LBB33_19:                              ;   in Loop: Header=BB33_4 Depth=1
	s_and_b32 s1, s3, s18
	v_add_co_u32 v15, vcc_lo, v3, s16
	v_cndmask_b32_e64 v17, 0, 1, s1
	v_add_co_ci_u32_e64 v16, null, s17, v4, vcc_lo
	global_store_byte v[15:16], v17, off
	s_branch .LBB33_3
.LBB33_20:
	s_cbranch_execz .LBB33_22
	s_branch .LBB33_25
.LBB33_21:
.LBB33_22:
	v_cmp_gt_i64_e64 s0, 0x10000, s[10:11]
	v_mov_b32_e32 v3, 0
	v_lshlrev_b32_e32 v2, 2, v0
	s_and_b32 s0, s0, exec_lo
	s_cselect_b32 s3, s11, 0
	s_cselect_b32 s2, s10, 0x10000
	s_mov_b32 s10, 0
	s_mov_b32 s0, exec_lo
	v_cmpx_gt_i64_e64 s[2:3], v[2:3]
	s_cbranch_execz .LBB33_25
; %bb.23:
	s_load_dword s0, s[4:5], 0xcb4
	v_mov_b32_e32 v1, v3
	s_waitcnt lgkmcnt(0)
	s_and_b32 s4, s0, 0xffff
	s_add_u32 s0, s6, s8
	s_addc_u32 s1, s7, s9
	v_add_co_u32 v4, s0, s0, v2
	v_add_co_ci_u32_e64 v5, null, s1, 0, s0
	s_lshl_b32 s5, s4, 2
.LBB33_24:                              ; =>This Inner Loop Header: Depth=1
	global_load_dword v2, v[4:5], off
	s_waitcnt vmcnt(0)
	v_and_b32_e32 v6, 0xff00, v2
	v_and_b32_e32 v7, 0xff0000, v2
	v_cmp_lt_u32_e32 vcc_lo, 0xffffff, v2
	v_cmp_ne_u32_sdwa s6, v2, v3 src0_sel:BYTE_0 src1_sel:DWORD
	v_cmp_ne_u32_e64 s0, 0, v6
	v_cmp_ne_u32_e64 s1, 0, v7
	s_and_b32 s7, vcc_lo, s18
	v_add_co_u32 v0, vcc_lo, v0, s4
	s_and_b32 s0, s0, s18
	v_cndmask_b32_e64 v2, 0, 1, s7
	v_cndmask_b32_e64 v6, 0, 1, s0
	s_and_b32 s0, s6, s18
	v_add_co_ci_u32_e64 v1, null, 0, v1, vcc_lo
	v_cndmask_b32_e64 v7, 0, 1, s0
	s_and_b32 s0, s1, s18
	v_lshlrev_b16 v2, 8, v2
	v_cndmask_b32_e64 v8, 0, 1, s0
	v_lshlrev_b16 v6, 8, v6
	v_or_b32_sdwa v2, v8, v2 dst_sel:WORD_1 dst_unused:UNUSED_PAD src0_sel:DWORD src1_sel:DWORD
	v_or_b32_e32 v8, v7, v6
	v_lshlrev_b64 v[6:7], 2, v[0:1]
	v_or_b32_sdwa v2, v8, v2 dst_sel:DWORD dst_unused:UNUSED_PAD src0_sel:WORD_0 src1_sel:DWORD
	v_cmp_le_i64_e32 vcc_lo, s[2:3], v[6:7]
	global_store_dword v[4:5], v2, off
	v_add_co_u32 v4, s0, v4, s5
	v_add_co_ci_u32_e64 v5, null, 0, v5, s0
	s_or_b32 s10, vcc_lo, s10
	s_andn2_b32 exec_lo, exec_lo, s10
	s_cbranch_execnz .LBB33_24
.LBB33_25:
	s_endpgm
	.section	.rodata,"a",@progbits
	.p2align	6, 0x0
	.amdhsa_kernel _ZN2at6native12_GLOBAL__N_125multi_tensor_apply_kernelINS1_28TensorListScalarListMetadataIbLi1EEENS1_25BinaryOpScalarListFunctorIbLi1ELi1ELi0EEEJSt10multipliesIbEEEEvT_T0_DpT1_
		.amdhsa_group_segment_fixed_size 0
		.amdhsa_private_segment_fixed_size 0
		.amdhsa_kernarg_size 3496
		.amdhsa_user_sgpr_count 6
		.amdhsa_user_sgpr_private_segment_buffer 1
		.amdhsa_user_sgpr_dispatch_ptr 0
		.amdhsa_user_sgpr_queue_ptr 0
		.amdhsa_user_sgpr_kernarg_segment_ptr 1
		.amdhsa_user_sgpr_dispatch_id 0
		.amdhsa_user_sgpr_flat_scratch_init 0
		.amdhsa_user_sgpr_private_segment_size 0
		.amdhsa_wavefront_size32 1
		.amdhsa_uses_dynamic_stack 0
		.amdhsa_system_sgpr_private_segment_wavefront_offset 0
		.amdhsa_system_sgpr_workgroup_id_x 1
		.amdhsa_system_sgpr_workgroup_id_y 0
		.amdhsa_system_sgpr_workgroup_id_z 0
		.amdhsa_system_sgpr_workgroup_info 0
		.amdhsa_system_vgpr_workitem_id 0
		.amdhsa_next_free_vgpr 18
		.amdhsa_next_free_sgpr 24
		.amdhsa_reserve_vcc 1
		.amdhsa_reserve_flat_scratch 0
		.amdhsa_float_round_mode_32 0
		.amdhsa_float_round_mode_16_64 0
		.amdhsa_float_denorm_mode_32 3
		.amdhsa_float_denorm_mode_16_64 3
		.amdhsa_dx10_clamp 1
		.amdhsa_ieee_mode 1
		.amdhsa_fp16_overflow 0
		.amdhsa_workgroup_processor_mode 1
		.amdhsa_memory_ordered 1
		.amdhsa_forward_progress 1
		.amdhsa_shared_vgpr_count 0
		.amdhsa_exception_fp_ieee_invalid_op 0
		.amdhsa_exception_fp_denorm_src 0
		.amdhsa_exception_fp_ieee_div_zero 0
		.amdhsa_exception_fp_ieee_overflow 0
		.amdhsa_exception_fp_ieee_underflow 0
		.amdhsa_exception_fp_ieee_inexact 0
		.amdhsa_exception_int_div_zero 0
	.end_amdhsa_kernel
	.section	.text._ZN2at6native12_GLOBAL__N_125multi_tensor_apply_kernelINS1_28TensorListScalarListMetadataIbLi1EEENS1_25BinaryOpScalarListFunctorIbLi1ELi1ELi0EEEJSt10multipliesIbEEEEvT_T0_DpT1_,"axG",@progbits,_ZN2at6native12_GLOBAL__N_125multi_tensor_apply_kernelINS1_28TensorListScalarListMetadataIbLi1EEENS1_25BinaryOpScalarListFunctorIbLi1ELi1ELi0EEEJSt10multipliesIbEEEEvT_T0_DpT1_,comdat
.Lfunc_end33:
	.size	_ZN2at6native12_GLOBAL__N_125multi_tensor_apply_kernelINS1_28TensorListScalarListMetadataIbLi1EEENS1_25BinaryOpScalarListFunctorIbLi1ELi1ELi0EEEJSt10multipliesIbEEEEvT_T0_DpT1_, .Lfunc_end33-_ZN2at6native12_GLOBAL__N_125multi_tensor_apply_kernelINS1_28TensorListScalarListMetadataIbLi1EEENS1_25BinaryOpScalarListFunctorIbLi1ELi1ELi0EEEJSt10multipliesIbEEEEvT_T0_DpT1_
                                        ; -- End function
	.set _ZN2at6native12_GLOBAL__N_125multi_tensor_apply_kernelINS1_28TensorListScalarListMetadataIbLi1EEENS1_25BinaryOpScalarListFunctorIbLi1ELi1ELi0EEEJSt10multipliesIbEEEEvT_T0_DpT1_.num_vgpr, 18
	.set _ZN2at6native12_GLOBAL__N_125multi_tensor_apply_kernelINS1_28TensorListScalarListMetadataIbLi1EEENS1_25BinaryOpScalarListFunctorIbLi1ELi1ELi0EEEJSt10multipliesIbEEEEvT_T0_DpT1_.num_agpr, 0
	.set _ZN2at6native12_GLOBAL__N_125multi_tensor_apply_kernelINS1_28TensorListScalarListMetadataIbLi1EEENS1_25BinaryOpScalarListFunctorIbLi1ELi1ELi0EEEJSt10multipliesIbEEEEvT_T0_DpT1_.numbered_sgpr, 24
	.set _ZN2at6native12_GLOBAL__N_125multi_tensor_apply_kernelINS1_28TensorListScalarListMetadataIbLi1EEENS1_25BinaryOpScalarListFunctorIbLi1ELi1ELi0EEEJSt10multipliesIbEEEEvT_T0_DpT1_.num_named_barrier, 0
	.set _ZN2at6native12_GLOBAL__N_125multi_tensor_apply_kernelINS1_28TensorListScalarListMetadataIbLi1EEENS1_25BinaryOpScalarListFunctorIbLi1ELi1ELi0EEEJSt10multipliesIbEEEEvT_T0_DpT1_.private_seg_size, 0
	.set _ZN2at6native12_GLOBAL__N_125multi_tensor_apply_kernelINS1_28TensorListScalarListMetadataIbLi1EEENS1_25BinaryOpScalarListFunctorIbLi1ELi1ELi0EEEJSt10multipliesIbEEEEvT_T0_DpT1_.uses_vcc, 1
	.set _ZN2at6native12_GLOBAL__N_125multi_tensor_apply_kernelINS1_28TensorListScalarListMetadataIbLi1EEENS1_25BinaryOpScalarListFunctorIbLi1ELi1ELi0EEEJSt10multipliesIbEEEEvT_T0_DpT1_.uses_flat_scratch, 0
	.set _ZN2at6native12_GLOBAL__N_125multi_tensor_apply_kernelINS1_28TensorListScalarListMetadataIbLi1EEENS1_25BinaryOpScalarListFunctorIbLi1ELi1ELi0EEEJSt10multipliesIbEEEEvT_T0_DpT1_.has_dyn_sized_stack, 0
	.set _ZN2at6native12_GLOBAL__N_125multi_tensor_apply_kernelINS1_28TensorListScalarListMetadataIbLi1EEENS1_25BinaryOpScalarListFunctorIbLi1ELi1ELi0EEEJSt10multipliesIbEEEEvT_T0_DpT1_.has_recursion, 0
	.set _ZN2at6native12_GLOBAL__N_125multi_tensor_apply_kernelINS1_28TensorListScalarListMetadataIbLi1EEENS1_25BinaryOpScalarListFunctorIbLi1ELi1ELi0EEEJSt10multipliesIbEEEEvT_T0_DpT1_.has_indirect_call, 0
	.section	.AMDGPU.csdata,"",@progbits
; Kernel info:
; codeLenInByte = 1348
; TotalNumSgprs: 26
; NumVgprs: 18
; ScratchSize: 0
; MemoryBound: 0
; FloatMode: 240
; IeeeMode: 1
; LDSByteSize: 0 bytes/workgroup (compile time only)
; SGPRBlocks: 0
; VGPRBlocks: 2
; NumSGPRsForWavesPerEU: 26
; NumVGPRsForWavesPerEU: 18
; Occupancy: 16
; WaveLimiterHint : 0
; COMPUTE_PGM_RSRC2:SCRATCH_EN: 0
; COMPUTE_PGM_RSRC2:USER_SGPR: 6
; COMPUTE_PGM_RSRC2:TRAP_HANDLER: 0
; COMPUTE_PGM_RSRC2:TGID_X_EN: 1
; COMPUTE_PGM_RSRC2:TGID_Y_EN: 0
; COMPUTE_PGM_RSRC2:TGID_Z_EN: 0
; COMPUTE_PGM_RSRC2:TIDIG_COMP_CNT: 0
	.section	.text._ZN2at6native12_GLOBAL__N_125multi_tensor_apply_kernelINS1_28TensorListScalarListMetadataIfLi1EEENS1_25BinaryOpScalarListFunctorIN3c104HalfELi1ELi1ELi0EEEJSt10multipliesIfEEEEvT_T0_DpT1_,"axG",@progbits,_ZN2at6native12_GLOBAL__N_125multi_tensor_apply_kernelINS1_28TensorListScalarListMetadataIfLi1EEENS1_25BinaryOpScalarListFunctorIN3c104HalfELi1ELi1ELi0EEEJSt10multipliesIfEEEEvT_T0_DpT1_,comdat
	.globl	_ZN2at6native12_GLOBAL__N_125multi_tensor_apply_kernelINS1_28TensorListScalarListMetadataIfLi1EEENS1_25BinaryOpScalarListFunctorIN3c104HalfELi1ELi1ELi0EEEJSt10multipliesIfEEEEvT_T0_DpT1_ ; -- Begin function _ZN2at6native12_GLOBAL__N_125multi_tensor_apply_kernelINS1_28TensorListScalarListMetadataIfLi1EEENS1_25BinaryOpScalarListFunctorIN3c104HalfELi1ELi1ELi0EEEJSt10multipliesIfEEEEvT_T0_DpT1_
	.p2align	8
	.type	_ZN2at6native12_GLOBAL__N_125multi_tensor_apply_kernelINS1_28TensorListScalarListMetadataIfLi1EEENS1_25BinaryOpScalarListFunctorIN3c104HalfELi1ELi1ELi0EEEJSt10multipliesIfEEEEvT_T0_DpT1_,@function
_ZN2at6native12_GLOBAL__N_125multi_tensor_apply_kernelINS1_28TensorListScalarListMetadataIfLi1EEENS1_25BinaryOpScalarListFunctorIN3c104HalfELi1ELi1ELi0EEEJSt10multipliesIfEEEEvT_T0_DpT1_: ; @_ZN2at6native12_GLOBAL__N_125multi_tensor_apply_kernelINS1_28TensorListScalarListMetadataIfLi1EEENS1_25BinaryOpScalarListFunctorIN3c104HalfELi1ELi1ELi0EEEJSt10multipliesIfEEEEvT_T0_DpT1_
; %bb.0:
	v_mov_b32_e32 v1, s6
	s_add_u32 s0, s4, s6
	s_mul_i32 s1, s6, 3
	s_mul_hi_u32 s2, s6, 3
	s_addc_u32 s3, s5, 0
	global_load_ubyte v1, v1, s[4:5] offset:1920
	s_add_u32 s0, s0, s1
	s_addc_u32 s1, s3, s2
	s_mov_b32 s13, 0
	s_load_dword s0, s[0:1], 0x8c0
	s_waitcnt vmcnt(0)
	v_readfirstlane_b32 s1, v1
	v_lshlrev_b32_e32 v1, 2, v1
	s_lshl_b32 s8, s1, 3
	v_sub_co_u32 v1, s1, 0, v1
	v_sub_co_ci_u32_e64 v2, null, 0, 0, s1
	s_waitcnt lgkmcnt(0)
	s_ashr_i32 s1, s0, 31
	s_clause 0x1
	s_load_dwordx2 s[2:3], s[4:5], s8 offset:0x300
	s_load_dwordx2 s[6:7], s[4:5], s8 offset:0x0
	s_add_u32 s8, s4, s8
	s_addc_u32 s9, s5, 0
	v_add_co_u32 v1, vcc_lo, s8, v1
	v_add_co_ci_u32_e64 v2, null, s9, v2, vcc_lo
	v_readfirstlane_b32 s8, v1
	v_readfirstlane_b32 s9, v2
	s_load_dword s18, s[8:9], 0x600
	s_lshl_b64 s[8:9], s[0:1], 17
	s_lshl_b64 s[0:1], s[0:1], 16
	s_waitcnt lgkmcnt(0)
	s_and_b32 s12, s6, 7
	s_sub_u32 s10, s2, s0
	s_subb_u32 s11, s3, s1
	s_and_b32 s0, s2, 3
	s_mov_b32 s1, s13
	s_or_b64 s[0:1], s[12:13], s[0:1]
	s_cmp_eq_u64 s[0:1], 0
	s_cbranch_scc1 .LBB34_21
; %bb.1:
	v_cmp_lt_i64_e64 s0, s[10:11], 1
	s_and_b32 vcc_lo, exec_lo, s0
	s_cbranch_vccnz .LBB34_20
; %bb.2:
	s_load_dword s0, s[4:5], 0xdd4
	v_cmp_gt_i64_e64 s1, 0x10000, s[10:11]
	v_cmp_gt_u64_e64 s2, 0x10000, s[10:11]
	v_lshlrev_b32_e32 v1, 1, v0
	s_and_b32 s1, s1, exec_lo
	s_cselect_b32 s13, s11, 0
	s_cselect_b32 s12, s10, 0x10000
	s_waitcnt lgkmcnt(0)
	s_and_b32 s0, s0, 0xffff
	s_and_b32 s1, s2, exec_lo
	v_add_co_u32 v5, s3, v0, s0
	s_cselect_b32 s15, s11, 0
	s_cselect_b32 s14, s10, 0x10000
	s_lshl_b32 s1, s0, 1
	v_lshlrev_b32_e32 v3, 1, v5
	s_mul_i32 s2, s0, 3
	s_lshl_b32 s19, s0, 2
	s_add_u32 s16, s6, s8
	v_add_co_u32 v6, s2, s2, v0
	v_add_co_u32 v9, s1, s1, v0
	s_addc_u32 s17, s7, s9
	v_add_co_ci_u32_e64 v7, null, 0, 0, s2
	v_add_co_u32 v1, s2, s16, v1
	v_add_co_ci_u32_e64 v10, null, 0, 0, s1
	v_add_co_u32 v3, s1, s16, v3
	v_add_co_ci_u32_e64 v2, null, s17, 0, s2
	v_add_co_ci_u32_e64 v8, null, 0, 0, s3
	v_add_co_ci_u32_e64 v4, null, s17, 0, s1
	s_lshl_b32 s20, s0, 3
	s_mul_i32 s21, s0, 6
	s_mov_b64 s[16:17], 0
	s_branch .LBB34_4
.LBB34_3:                               ;   in Loop: Header=BB34_4 Depth=1
	s_or_b32 exec_lo, exec_lo, s0
	s_add_u32 s16, s16, s19
	s_addc_u32 s17, s17, 0
	v_add_co_u32 v1, vcc_lo, v1, s20
	v_cmp_lt_i64_e64 s0, s[16:17], s[12:13]
	v_add_co_ci_u32_e64 v2, null, 0, v2, vcc_lo
	v_add_co_u32 v3, vcc_lo, v3, s20
	v_add_co_ci_u32_e64 v4, null, 0, v4, vcc_lo
	s_and_b32 vcc_lo, exec_lo, s0
	s_cbranch_vccz .LBB34_20
.LBB34_4:                               ; =>This Inner Loop Header: Depth=1
	v_add_co_u32 v11, s0, v0, s16
	v_add_co_ci_u32_e64 v12, null, 0, s17, s0
	v_cmp_gt_u64_e32 vcc_lo, s[14:15], v[11:12]
	v_mov_b32_e32 v11, 0
	s_and_saveexec_b32 s0, vcc_lo
	s_cbranch_execz .LBB34_6
; %bb.5:                                ;   in Loop: Header=BB34_4 Depth=1
	global_load_ushort v11, v[1:2], off
	s_waitcnt vmcnt(0)
	v_cvt_f32_f16_e32 v11, v11
.LBB34_6:                               ;   in Loop: Header=BB34_4 Depth=1
	s_or_b32 exec_lo, exec_lo, s0
	v_add_co_u32 v12, s0, v5, s16
	v_add_co_ci_u32_e64 v13, null, s17, v8, s0
	v_cmp_gt_u64_e64 s0, s[14:15], v[12:13]
	v_mov_b32_e32 v12, 0
	v_mov_b32_e32 v13, 0
	s_and_saveexec_b32 s1, s0
	s_cbranch_execz .LBB34_8
; %bb.7:                                ;   in Loop: Header=BB34_4 Depth=1
	global_load_ushort v13, v[3:4], off
	s_waitcnt vmcnt(0)
	v_cvt_f32_f16_e32 v13, v13
.LBB34_8:                               ;   in Loop: Header=BB34_4 Depth=1
	s_or_b32 exec_lo, exec_lo, s1
	v_add_co_u32 v14, s1, v9, s16
	v_add_co_ci_u32_e64 v15, null, s17, v10, s1
	v_cmp_gt_u64_e64 s1, s[14:15], v[14:15]
	s_and_saveexec_b32 s3, s1
	s_cbranch_execz .LBB34_10
; %bb.9:                                ;   in Loop: Header=BB34_4 Depth=1
	v_add_co_u32 v14, s2, v1, s19
	v_add_co_ci_u32_e64 v15, null, 0, v2, s2
	global_load_ushort v12, v[14:15], off
	s_waitcnt vmcnt(0)
	v_cvt_f32_f16_e32 v12, v12
.LBB34_10:                              ;   in Loop: Header=BB34_4 Depth=1
	s_or_b32 exec_lo, exec_lo, s3
	v_add_co_u32 v14, s2, v6, s16
	v_add_co_ci_u32_e64 v15, null, s17, v7, s2
	v_cmp_gt_u64_e64 s2, s[14:15], v[14:15]
	v_mov_b32_e32 v14, 0
	s_and_saveexec_b32 s22, s2
	s_cbranch_execnz .LBB34_15
; %bb.11:                               ;   in Loop: Header=BB34_4 Depth=1
	s_or_b32 exec_lo, exec_lo, s22
	s_and_saveexec_b32 s3, vcc_lo
	s_cbranch_execnz .LBB34_16
.LBB34_12:                              ;   in Loop: Header=BB34_4 Depth=1
	s_or_b32 exec_lo, exec_lo, s3
	s_and_saveexec_b32 s3, s0
	s_cbranch_execnz .LBB34_17
.LBB34_13:                              ;   in Loop: Header=BB34_4 Depth=1
	s_or_b32 exec_lo, exec_lo, s3
	s_and_saveexec_b32 s0, s1
	s_cbranch_execnz .LBB34_18
.LBB34_14:                              ;   in Loop: Header=BB34_4 Depth=1
	s_or_b32 exec_lo, exec_lo, s0
	s_and_saveexec_b32 s0, s2
	s_cbranch_execz .LBB34_3
	s_branch .LBB34_19
.LBB34_15:                              ;   in Loop: Header=BB34_4 Depth=1
	v_add_co_u32 v14, s3, v1, s21
	v_add_co_ci_u32_e64 v15, null, 0, v2, s3
	global_load_ushort v14, v[14:15], off
	s_waitcnt vmcnt(0)
	v_cvt_f32_f16_e32 v14, v14
	s_or_b32 exec_lo, exec_lo, s22
	s_and_saveexec_b32 s3, vcc_lo
	s_cbranch_execz .LBB34_12
.LBB34_16:                              ;   in Loop: Header=BB34_4 Depth=1
	v_fma_mixlo_f16 v11, s18, v11, 0
	global_store_short v[1:2], v11, off
	s_or_b32 exec_lo, exec_lo, s3
	s_and_saveexec_b32 s3, s0
	s_cbranch_execz .LBB34_13
.LBB34_17:                              ;   in Loop: Header=BB34_4 Depth=1
	v_fma_mixlo_f16 v11, s18, v13, 0
	global_store_short v[3:4], v11, off
	s_or_b32 exec_lo, exec_lo, s3
	s_and_saveexec_b32 s0, s1
	s_cbranch_execz .LBB34_14
.LBB34_18:                              ;   in Loop: Header=BB34_4 Depth=1
	v_add_co_u32 v11, vcc_lo, v1, s19
	v_fma_mixlo_f16 v13, s18, v12, 0
	v_add_co_ci_u32_e64 v12, null, 0, v2, vcc_lo
	global_store_short v[11:12], v13, off
	s_or_b32 exec_lo, exec_lo, s0
	s_and_saveexec_b32 s0, s2
	s_cbranch_execz .LBB34_3
.LBB34_19:                              ;   in Loop: Header=BB34_4 Depth=1
	v_add_co_u32 v11, vcc_lo, v1, s21
	v_fma_mixlo_f16 v13, s18, v14, 0
	v_add_co_ci_u32_e64 v12, null, 0, v2, vcc_lo
	global_store_short v[11:12], v13, off
	s_branch .LBB34_3
.LBB34_20:
	s_cbranch_execz .LBB34_22
	s_branch .LBB34_25
.LBB34_21:
.LBB34_22:
	v_cmp_gt_i64_e64 s0, 0x10000, s[10:11]
	v_mov_b32_e32 v2, 0
	v_lshlrev_b32_e32 v1, 2, v0
	s_mov_b32 s1, 0
	s_and_b32 s0, s0, exec_lo
	s_cselect_b32 s3, s11, 0
	s_cselect_b32 s2, s10, 0x10000
	s_mov_b32 s0, exec_lo
	v_cmpx_gt_i64_e64 s[2:3], v[1:2]
	s_cbranch_execz .LBB34_25
; %bb.23:
	s_load_dword s0, s[4:5], 0xdd4
	v_lshlrev_b32_e32 v1, 3, v0
	s_waitcnt lgkmcnt(0)
	s_and_b32 s4, s0, 0xffff
	s_add_u32 s0, s6, s8
	s_addc_u32 s5, s7, s9
	v_add_co_u32 v3, s0, s0, v1
	v_add_co_ci_u32_e64 v4, null, s5, 0, s0
	v_mov_b32_e32 v1, v2
	v_add_co_u32 v2, vcc_lo, v3, 6
	v_add_co_ci_u32_e64 v3, null, 0, v4, vcc_lo
	s_mov_b32 s5, s18
	s_lshl_b32 s6, s4, 3
	.p2align	6
.LBB34_24:                              ; =>This Inner Loop Header: Depth=1
	global_load_dwordx2 v[4:5], v[2:3], off offset:-6
	v_add_co_u32 v0, vcc_lo, v0, s4
	v_add_co_ci_u32_e64 v1, null, 0, v1, vcc_lo
	v_lshlrev_b64 v[8:9], 2, v[0:1]
	v_cmp_le_i64_e32 vcc_lo, s[2:3], v[8:9]
	s_or_b32 s1, vcc_lo, s1
	s_waitcnt vmcnt(0)
	v_fma_mixlo_f16 v7, s5, v5, 0 op_sel_hi:[0,1,0]
	v_fma_mixlo_f16 v6, s18, v4, 0 op_sel_hi:[0,1,0]
	v_fma_mixhi_f16 v7, s18, v5, 0 op_sel:[0,1,0] op_sel_hi:[0,1,0]
	v_fma_mixhi_f16 v6, s18, v4, 0 op_sel:[0,1,0] op_sel_hi:[0,1,0]
	global_store_dwordx2 v[2:3], v[6:7], off offset:-6
	v_add_co_u32 v2, s0, v2, s6
	v_add_co_ci_u32_e64 v3, null, 0, v3, s0
	s_andn2_b32 exec_lo, exec_lo, s1
	s_cbranch_execnz .LBB34_24
.LBB34_25:
	s_endpgm
	.section	.rodata,"a",@progbits
	.p2align	6, 0x0
	.amdhsa_kernel _ZN2at6native12_GLOBAL__N_125multi_tensor_apply_kernelINS1_28TensorListScalarListMetadataIfLi1EEENS1_25BinaryOpScalarListFunctorIN3c104HalfELi1ELi1ELi0EEEJSt10multipliesIfEEEEvT_T0_DpT1_
		.amdhsa_group_segment_fixed_size 0
		.amdhsa_private_segment_fixed_size 0
		.amdhsa_kernarg_size 3784
		.amdhsa_user_sgpr_count 6
		.amdhsa_user_sgpr_private_segment_buffer 1
		.amdhsa_user_sgpr_dispatch_ptr 0
		.amdhsa_user_sgpr_queue_ptr 0
		.amdhsa_user_sgpr_kernarg_segment_ptr 1
		.amdhsa_user_sgpr_dispatch_id 0
		.amdhsa_user_sgpr_flat_scratch_init 0
		.amdhsa_user_sgpr_private_segment_size 0
		.amdhsa_wavefront_size32 1
		.amdhsa_uses_dynamic_stack 0
		.amdhsa_system_sgpr_private_segment_wavefront_offset 0
		.amdhsa_system_sgpr_workgroup_id_x 1
		.amdhsa_system_sgpr_workgroup_id_y 0
		.amdhsa_system_sgpr_workgroup_id_z 0
		.amdhsa_system_sgpr_workgroup_info 0
		.amdhsa_system_vgpr_workitem_id 0
		.amdhsa_next_free_vgpr 16
		.amdhsa_next_free_sgpr 23
		.amdhsa_reserve_vcc 1
		.amdhsa_reserve_flat_scratch 0
		.amdhsa_float_round_mode_32 0
		.amdhsa_float_round_mode_16_64 0
		.amdhsa_float_denorm_mode_32 3
		.amdhsa_float_denorm_mode_16_64 3
		.amdhsa_dx10_clamp 1
		.amdhsa_ieee_mode 1
		.amdhsa_fp16_overflow 0
		.amdhsa_workgroup_processor_mode 1
		.amdhsa_memory_ordered 1
		.amdhsa_forward_progress 1
		.amdhsa_shared_vgpr_count 0
		.amdhsa_exception_fp_ieee_invalid_op 0
		.amdhsa_exception_fp_denorm_src 0
		.amdhsa_exception_fp_ieee_div_zero 0
		.amdhsa_exception_fp_ieee_overflow 0
		.amdhsa_exception_fp_ieee_underflow 0
		.amdhsa_exception_fp_ieee_inexact 0
		.amdhsa_exception_int_div_zero 0
	.end_amdhsa_kernel
	.section	.text._ZN2at6native12_GLOBAL__N_125multi_tensor_apply_kernelINS1_28TensorListScalarListMetadataIfLi1EEENS1_25BinaryOpScalarListFunctorIN3c104HalfELi1ELi1ELi0EEEJSt10multipliesIfEEEEvT_T0_DpT1_,"axG",@progbits,_ZN2at6native12_GLOBAL__N_125multi_tensor_apply_kernelINS1_28TensorListScalarListMetadataIfLi1EEENS1_25BinaryOpScalarListFunctorIN3c104HalfELi1ELi1ELi0EEEJSt10multipliesIfEEEEvT_T0_DpT1_,comdat
.Lfunc_end34:
	.size	_ZN2at6native12_GLOBAL__N_125multi_tensor_apply_kernelINS1_28TensorListScalarListMetadataIfLi1EEENS1_25BinaryOpScalarListFunctorIN3c104HalfELi1ELi1ELi0EEEJSt10multipliesIfEEEEvT_T0_DpT1_, .Lfunc_end34-_ZN2at6native12_GLOBAL__N_125multi_tensor_apply_kernelINS1_28TensorListScalarListMetadataIfLi1EEENS1_25BinaryOpScalarListFunctorIN3c104HalfELi1ELi1ELi0EEEJSt10multipliesIfEEEEvT_T0_DpT1_
                                        ; -- End function
	.set _ZN2at6native12_GLOBAL__N_125multi_tensor_apply_kernelINS1_28TensorListScalarListMetadataIfLi1EEENS1_25BinaryOpScalarListFunctorIN3c104HalfELi1ELi1ELi0EEEJSt10multipliesIfEEEEvT_T0_DpT1_.num_vgpr, 16
	.set _ZN2at6native12_GLOBAL__N_125multi_tensor_apply_kernelINS1_28TensorListScalarListMetadataIfLi1EEENS1_25BinaryOpScalarListFunctorIN3c104HalfELi1ELi1ELi0EEEJSt10multipliesIfEEEEvT_T0_DpT1_.num_agpr, 0
	.set _ZN2at6native12_GLOBAL__N_125multi_tensor_apply_kernelINS1_28TensorListScalarListMetadataIfLi1EEENS1_25BinaryOpScalarListFunctorIN3c104HalfELi1ELi1ELi0EEEJSt10multipliesIfEEEEvT_T0_DpT1_.numbered_sgpr, 23
	.set _ZN2at6native12_GLOBAL__N_125multi_tensor_apply_kernelINS1_28TensorListScalarListMetadataIfLi1EEENS1_25BinaryOpScalarListFunctorIN3c104HalfELi1ELi1ELi0EEEJSt10multipliesIfEEEEvT_T0_DpT1_.num_named_barrier, 0
	.set _ZN2at6native12_GLOBAL__N_125multi_tensor_apply_kernelINS1_28TensorListScalarListMetadataIfLi1EEENS1_25BinaryOpScalarListFunctorIN3c104HalfELi1ELi1ELi0EEEJSt10multipliesIfEEEEvT_T0_DpT1_.private_seg_size, 0
	.set _ZN2at6native12_GLOBAL__N_125multi_tensor_apply_kernelINS1_28TensorListScalarListMetadataIfLi1EEENS1_25BinaryOpScalarListFunctorIN3c104HalfELi1ELi1ELi0EEEJSt10multipliesIfEEEEvT_T0_DpT1_.uses_vcc, 1
	.set _ZN2at6native12_GLOBAL__N_125multi_tensor_apply_kernelINS1_28TensorListScalarListMetadataIfLi1EEENS1_25BinaryOpScalarListFunctorIN3c104HalfELi1ELi1ELi0EEEJSt10multipliesIfEEEEvT_T0_DpT1_.uses_flat_scratch, 0
	.set _ZN2at6native12_GLOBAL__N_125multi_tensor_apply_kernelINS1_28TensorListScalarListMetadataIfLi1EEENS1_25BinaryOpScalarListFunctorIN3c104HalfELi1ELi1ELi0EEEJSt10multipliesIfEEEEvT_T0_DpT1_.has_dyn_sized_stack, 0
	.set _ZN2at6native12_GLOBAL__N_125multi_tensor_apply_kernelINS1_28TensorListScalarListMetadataIfLi1EEENS1_25BinaryOpScalarListFunctorIN3c104HalfELi1ELi1ELi0EEEJSt10multipliesIfEEEEvT_T0_DpT1_.has_recursion, 0
	.set _ZN2at6native12_GLOBAL__N_125multi_tensor_apply_kernelINS1_28TensorListScalarListMetadataIfLi1EEENS1_25BinaryOpScalarListFunctorIN3c104HalfELi1ELi1ELi0EEEJSt10multipliesIfEEEEvT_T0_DpT1_.has_indirect_call, 0
	.section	.AMDGPU.csdata,"",@progbits
; Kernel info:
; codeLenInByte = 1200
; TotalNumSgprs: 25
; NumVgprs: 16
; ScratchSize: 0
; MemoryBound: 0
; FloatMode: 240
; IeeeMode: 1
; LDSByteSize: 0 bytes/workgroup (compile time only)
; SGPRBlocks: 0
; VGPRBlocks: 1
; NumSGPRsForWavesPerEU: 25
; NumVGPRsForWavesPerEU: 16
; Occupancy: 16
; WaveLimiterHint : 0
; COMPUTE_PGM_RSRC2:SCRATCH_EN: 0
; COMPUTE_PGM_RSRC2:USER_SGPR: 6
; COMPUTE_PGM_RSRC2:TRAP_HANDLER: 0
; COMPUTE_PGM_RSRC2:TGID_X_EN: 1
; COMPUTE_PGM_RSRC2:TGID_Y_EN: 0
; COMPUTE_PGM_RSRC2:TGID_Z_EN: 0
; COMPUTE_PGM_RSRC2:TIDIG_COMP_CNT: 0
	.section	.text._ZN2at6native12_GLOBAL__N_125multi_tensor_apply_kernelINS1_28TensorListScalarListMetadataIfLi1EEENS1_25BinaryOpScalarListFunctorIN3c108BFloat16ELi1ELi1ELi0EEEJSt10multipliesIfEEEEvT_T0_DpT1_,"axG",@progbits,_ZN2at6native12_GLOBAL__N_125multi_tensor_apply_kernelINS1_28TensorListScalarListMetadataIfLi1EEENS1_25BinaryOpScalarListFunctorIN3c108BFloat16ELi1ELi1ELi0EEEJSt10multipliesIfEEEEvT_T0_DpT1_,comdat
	.globl	_ZN2at6native12_GLOBAL__N_125multi_tensor_apply_kernelINS1_28TensorListScalarListMetadataIfLi1EEENS1_25BinaryOpScalarListFunctorIN3c108BFloat16ELi1ELi1ELi0EEEJSt10multipliesIfEEEEvT_T0_DpT1_ ; -- Begin function _ZN2at6native12_GLOBAL__N_125multi_tensor_apply_kernelINS1_28TensorListScalarListMetadataIfLi1EEENS1_25BinaryOpScalarListFunctorIN3c108BFloat16ELi1ELi1ELi0EEEJSt10multipliesIfEEEEvT_T0_DpT1_
	.p2align	8
	.type	_ZN2at6native12_GLOBAL__N_125multi_tensor_apply_kernelINS1_28TensorListScalarListMetadataIfLi1EEENS1_25BinaryOpScalarListFunctorIN3c108BFloat16ELi1ELi1ELi0EEEJSt10multipliesIfEEEEvT_T0_DpT1_,@function
_ZN2at6native12_GLOBAL__N_125multi_tensor_apply_kernelINS1_28TensorListScalarListMetadataIfLi1EEENS1_25BinaryOpScalarListFunctorIN3c108BFloat16ELi1ELi1ELi0EEEJSt10multipliesIfEEEEvT_T0_DpT1_: ; @_ZN2at6native12_GLOBAL__N_125multi_tensor_apply_kernelINS1_28TensorListScalarListMetadataIfLi1EEENS1_25BinaryOpScalarListFunctorIN3c108BFloat16ELi1ELi1ELi0EEEJSt10multipliesIfEEEEvT_T0_DpT1_
; %bb.0:
	v_mov_b32_e32 v1, s6
	s_add_u32 s0, s4, s6
	s_mul_i32 s1, s6, 3
	s_mul_hi_u32 s2, s6, 3
	s_addc_u32 s3, s5, 0
	global_load_ubyte v1, v1, s[4:5] offset:1920
	s_add_u32 s0, s0, s1
	s_addc_u32 s1, s3, s2
	s_mov_b32 s13, 0
	s_load_dword s0, s[0:1], 0x8c0
	s_waitcnt vmcnt(0)
	v_readfirstlane_b32 s1, v1
	v_lshlrev_b32_e32 v1, 2, v1
	s_lshl_b32 s8, s1, 3
	v_sub_co_u32 v1, s1, 0, v1
	v_sub_co_ci_u32_e64 v2, null, 0, 0, s1
	s_waitcnt lgkmcnt(0)
	s_ashr_i32 s1, s0, 31
	s_clause 0x1
	s_load_dwordx2 s[2:3], s[4:5], s8 offset:0x300
	s_load_dwordx2 s[6:7], s[4:5], s8 offset:0x0
	s_add_u32 s8, s4, s8
	s_addc_u32 s9, s5, 0
	v_add_co_u32 v1, vcc_lo, s8, v1
	v_add_co_ci_u32_e64 v2, null, s9, v2, vcc_lo
	v_readfirstlane_b32 s8, v1
	v_readfirstlane_b32 s9, v2
	s_load_dword s18, s[8:9], 0x600
	s_lshl_b64 s[8:9], s[0:1], 17
	s_lshl_b64 s[0:1], s[0:1], 16
	s_waitcnt lgkmcnt(0)
	s_and_b32 s12, s6, 7
	s_sub_u32 s10, s2, s0
	s_subb_u32 s11, s3, s1
	s_and_b32 s0, s2, 3
	s_mov_b32 s1, s13
	s_or_b64 s[0:1], s[12:13], s[0:1]
	s_cmp_eq_u64 s[0:1], 0
	s_cbranch_scc1 .LBB35_21
; %bb.1:
	v_cmp_lt_i64_e64 s0, s[10:11], 1
	s_and_b32 vcc_lo, exec_lo, s0
	s_cbranch_vccnz .LBB35_20
; %bb.2:
	s_load_dword s0, s[4:5], 0xdd4
	v_cmp_gt_i64_e64 s1, 0x10000, s[10:11]
	v_cmp_gt_u64_e64 s2, 0x10000, s[10:11]
	v_lshlrev_b32_e32 v1, 1, v0
	v_mov_b32_e32 v11, 0x7fc0
	s_and_b32 s1, s1, exec_lo
	s_cselect_b32 s13, s11, 0
	s_cselect_b32 s12, s10, 0x10000
	s_waitcnt lgkmcnt(0)
	s_and_b32 s0, s0, 0xffff
	s_and_b32 s1, s2, exec_lo
	v_add_co_u32 v5, s3, v0, s0
	s_cselect_b32 s15, s11, 0
	s_cselect_b32 s14, s10, 0x10000
	s_lshl_b32 s1, s0, 1
	v_lshlrev_b32_e32 v3, 1, v5
	s_mul_i32 s2, s0, 3
	s_lshl_b32 s19, s0, 2
	s_add_u32 s16, s6, s8
	v_add_co_u32 v6, s2, s2, v0
	v_add_co_u32 v9, s1, s1, v0
	s_addc_u32 s17, s7, s9
	v_add_co_ci_u32_e64 v7, null, 0, 0, s2
	v_add_co_u32 v1, s2, s16, v1
	v_add_co_ci_u32_e64 v10, null, 0, 0, s1
	v_add_co_u32 v3, s1, s16, v3
	v_add_co_ci_u32_e64 v2, null, s17, 0, s2
	v_add_co_ci_u32_e64 v8, null, 0, 0, s3
	;; [unrolled: 1-line block ×3, first 2 shown]
	s_lshl_b32 s20, s0, 3
	s_mul_i32 s21, s0, 6
	s_mov_b64 s[16:17], 0
	s_branch .LBB35_4
.LBB35_3:                               ;   in Loop: Header=BB35_4 Depth=1
	s_or_b32 exec_lo, exec_lo, s0
	s_add_u32 s16, s16, s19
	s_addc_u32 s17, s17, 0
	v_add_co_u32 v1, vcc_lo, v1, s20
	v_cmp_lt_i64_e64 s0, s[16:17], s[12:13]
	v_add_co_ci_u32_e64 v2, null, 0, v2, vcc_lo
	v_add_co_u32 v3, vcc_lo, v3, s20
	v_add_co_ci_u32_e64 v4, null, 0, v4, vcc_lo
	s_and_b32 vcc_lo, exec_lo, s0
	s_cbranch_vccz .LBB35_20
.LBB35_4:                               ; =>This Inner Loop Header: Depth=1
	v_add_co_u32 v12, s0, v0, s16
	v_add_co_ci_u32_e64 v13, null, 0, s17, s0
	v_cmp_gt_u64_e32 vcc_lo, s[14:15], v[12:13]
	v_mov_b32_e32 v13, 0
	s_and_saveexec_b32 s0, vcc_lo
	s_cbranch_execz .LBB35_6
; %bb.5:                                ;   in Loop: Header=BB35_4 Depth=1
	global_load_ushort v12, v[1:2], off
	s_waitcnt vmcnt(0)
	v_lshlrev_b32_e32 v13, 16, v12
.LBB35_6:                               ;   in Loop: Header=BB35_4 Depth=1
	s_or_b32 exec_lo, exec_lo, s0
	v_add_co_u32 v14, s0, v5, s16
	v_add_co_ci_u32_e64 v15, null, s17, v8, s0
	v_mov_b32_e32 v12, 0
	v_cmp_gt_u64_e64 s0, s[14:15], v[14:15]
	v_mov_b32_e32 v14, 0
	s_and_saveexec_b32 s1, s0
	s_cbranch_execz .LBB35_8
; %bb.7:                                ;   in Loop: Header=BB35_4 Depth=1
	global_load_ushort v14, v[3:4], off
	s_waitcnt vmcnt(0)
	v_lshlrev_b32_e32 v14, 16, v14
.LBB35_8:                               ;   in Loop: Header=BB35_4 Depth=1
	s_or_b32 exec_lo, exec_lo, s1
	v_add_co_u32 v15, s1, v9, s16
	v_add_co_ci_u32_e64 v16, null, s17, v10, s1
	v_cmp_gt_u64_e64 s1, s[14:15], v[15:16]
	s_and_saveexec_b32 s3, s1
	s_cbranch_execz .LBB35_10
; %bb.9:                                ;   in Loop: Header=BB35_4 Depth=1
	v_add_co_u32 v15, s2, v1, s19
	v_add_co_ci_u32_e64 v16, null, 0, v2, s2
	global_load_ushort v12, v[15:16], off
	s_waitcnt vmcnt(0)
	v_lshlrev_b32_e32 v12, 16, v12
.LBB35_10:                              ;   in Loop: Header=BB35_4 Depth=1
	s_or_b32 exec_lo, exec_lo, s3
	v_add_co_u32 v15, s2, v6, s16
	v_add_co_ci_u32_e64 v16, null, s17, v7, s2
	v_cmp_gt_u64_e64 s2, s[14:15], v[15:16]
	v_mov_b32_e32 v15, 0
	s_and_saveexec_b32 s22, s2
	s_cbranch_execnz .LBB35_15
; %bb.11:                               ;   in Loop: Header=BB35_4 Depth=1
	s_or_b32 exec_lo, exec_lo, s22
	s_and_saveexec_b32 s3, vcc_lo
	s_cbranch_execnz .LBB35_16
.LBB35_12:                              ;   in Loop: Header=BB35_4 Depth=1
	s_or_b32 exec_lo, exec_lo, s3
	s_and_saveexec_b32 s3, s0
	s_cbranch_execnz .LBB35_17
.LBB35_13:                              ;   in Loop: Header=BB35_4 Depth=1
	s_or_b32 exec_lo, exec_lo, s3
	s_and_saveexec_b32 s0, s1
	s_cbranch_execnz .LBB35_18
.LBB35_14:                              ;   in Loop: Header=BB35_4 Depth=1
	s_or_b32 exec_lo, exec_lo, s0
	s_and_saveexec_b32 s0, s2
	s_cbranch_execz .LBB35_3
	s_branch .LBB35_19
.LBB35_15:                              ;   in Loop: Header=BB35_4 Depth=1
	v_add_co_u32 v15, s3, v1, s21
	v_add_co_ci_u32_e64 v16, null, 0, v2, s3
	global_load_ushort v15, v[15:16], off
	s_waitcnt vmcnt(0)
	v_lshlrev_b32_e32 v15, 16, v15
	s_or_b32 exec_lo, exec_lo, s22
	s_and_saveexec_b32 s3, vcc_lo
	s_cbranch_execz .LBB35_12
.LBB35_16:                              ;   in Loop: Header=BB35_4 Depth=1
	v_mul_f32_e32 v13, s18, v13
	v_bfe_u32 v16, v13, 16, 1
	v_cmp_o_f32_e32 vcc_lo, v13, v13
	v_add3_u32 v13, v13, v16, 0x7fff
	v_cndmask_b32_sdwa v13, v11, v13, vcc_lo dst_sel:DWORD dst_unused:UNUSED_PAD src0_sel:DWORD src1_sel:WORD_1
	global_store_short v[1:2], v13, off
	s_or_b32 exec_lo, exec_lo, s3
	s_and_saveexec_b32 s3, s0
	s_cbranch_execz .LBB35_13
.LBB35_17:                              ;   in Loop: Header=BB35_4 Depth=1
	v_mul_f32_e32 v13, s18, v14
	v_bfe_u32 v14, v13, 16, 1
	v_cmp_o_f32_e32 vcc_lo, v13, v13
	v_add3_u32 v13, v13, v14, 0x7fff
	v_cndmask_b32_sdwa v13, v11, v13, vcc_lo dst_sel:DWORD dst_unused:UNUSED_PAD src0_sel:DWORD src1_sel:WORD_1
	global_store_short v[3:4], v13, off
	s_or_b32 exec_lo, exec_lo, s3
	s_and_saveexec_b32 s0, s1
	s_cbranch_execz .LBB35_14
.LBB35_18:                              ;   in Loop: Header=BB35_4 Depth=1
	v_mul_f32_e32 v12, s18, v12
	v_bfe_u32 v13, v12, 16, 1
	v_cmp_o_f32_e32 vcc_lo, v12, v12
	v_add3_u32 v12, v12, v13, 0x7fff
	v_cndmask_b32_sdwa v14, v11, v12, vcc_lo dst_sel:DWORD dst_unused:UNUSED_PAD src0_sel:DWORD src1_sel:WORD_1
	v_add_co_u32 v12, vcc_lo, v1, s19
	v_add_co_ci_u32_e64 v13, null, 0, v2, vcc_lo
	global_store_short v[12:13], v14, off
	s_or_b32 exec_lo, exec_lo, s0
	s_and_saveexec_b32 s0, s2
	s_cbranch_execz .LBB35_3
.LBB35_19:                              ;   in Loop: Header=BB35_4 Depth=1
	v_mul_f32_e32 v12, s18, v15
	v_bfe_u32 v13, v12, 16, 1
	v_cmp_o_f32_e32 vcc_lo, v12, v12
	v_add3_u32 v12, v12, v13, 0x7fff
	v_cndmask_b32_sdwa v14, v11, v12, vcc_lo dst_sel:DWORD dst_unused:UNUSED_PAD src0_sel:DWORD src1_sel:WORD_1
	v_add_co_u32 v12, vcc_lo, v1, s21
	v_add_co_ci_u32_e64 v13, null, 0, v2, vcc_lo
	global_store_short v[12:13], v14, off
	s_branch .LBB35_3
.LBB35_20:
	s_cbranch_execz .LBB35_22
	s_branch .LBB35_25
.LBB35_21:
.LBB35_22:
	v_cmp_gt_i64_e64 s0, 0x10000, s[10:11]
	v_mov_b32_e32 v2, 0
	v_lshlrev_b32_e32 v1, 2, v0
	s_mov_b32 s1, 0
	s_and_b32 s0, s0, exec_lo
	s_cselect_b32 s3, s11, 0
	s_cselect_b32 s2, s10, 0x10000
	s_mov_b32 s0, exec_lo
	v_cmpx_gt_i64_e64 s[2:3], v[1:2]
	s_cbranch_execz .LBB35_25
; %bb.23:
	s_load_dword s0, s[4:5], 0xdd4
	v_mov_b32_e32 v1, v2
	v_lshlrev_b32_e32 v2, 3, v0
	s_waitcnt lgkmcnt(0)
	s_and_b32 s4, s0, 0xffff
	s_add_u32 s0, s6, s8
	s_addc_u32 s5, s7, s9
	v_add_co_u32 v2, s0, s0, v2
	v_add_co_ci_u32_e64 v3, null, s5, 0, s0
	s_lshl_b32 s5, s4, 3
.LBB35_24:                              ; =>This Inner Loop Header: Depth=1
	global_load_dwordx2 v[4:5], v[2:3], off
	v_add_co_u32 v0, vcc_lo, v0, s4
	v_add_co_ci_u32_e64 v1, null, 0, v1, vcc_lo
	s_waitcnt vmcnt(0)
	v_alignbit_b32 v6, v5, v4, 16
	v_lshlrev_b32_e32 v7, 16, v4
	v_and_b32_e32 v4, 0xffff0000, v4
	v_and_b32_e32 v5, 0xffff0000, v5
	;; [unrolled: 1-line block ×3, first 2 shown]
	v_mul_f32_e32 v7, s18, v7
	v_mul_f32_e32 v4, s18, v4
	;; [unrolled: 1-line block ×4, first 2 shown]
	v_bfe_u32 v8, v7, 16, 1
	v_bfe_u32 v9, v4, 16, 1
	;; [unrolled: 1-line block ×3, first 2 shown]
	v_cmp_o_f32_e32 vcc_lo, v4, v4
	v_bfe_u32 v11, v6, 16, 1
	v_add3_u32 v8, v7, v8, 0x7fff
	v_add3_u32 v9, v4, v9, 0x7fff
	;; [unrolled: 1-line block ×4, first 2 shown]
	v_lshrrev_b32_e32 v8, 16, v8
	v_and_b32_e32 v9, 0xffff0000, v9
	v_and_b32_e32 v10, 0xffff0000, v10
	v_lshrrev_b32_e32 v11, 16, v11
	v_cndmask_b32_e32 v4, 0x7fc00000, v9, vcc_lo
	v_cmp_o_f32_e32 vcc_lo, v7, v7
	v_cndmask_b32_e32 v7, 0x7fc0, v8, vcc_lo
	v_cmp_o_f32_e32 vcc_lo, v5, v5
	v_or_b32_e32 v9, v7, v4
	v_cndmask_b32_e32 v8, 0x7fc00000, v10, vcc_lo
	v_cmp_o_f32_e32 vcc_lo, v6, v6
	v_lshlrev_b64 v[4:5], 2, v[0:1]
	v_cndmask_b32_e32 v6, 0x7fc0, v11, vcc_lo
	v_cmp_le_i64_e32 vcc_lo, s[2:3], v[4:5]
	v_or3_b32 v7, 0, v6, v8
	v_or3_b32 v6, v9, 0, 0
	s_or_b32 s1, vcc_lo, s1
	global_store_dwordx2 v[2:3], v[6:7], off
	v_add_co_u32 v2, s0, v2, s5
	v_add_co_ci_u32_e64 v3, null, 0, v3, s0
	s_andn2_b32 exec_lo, exec_lo, s1
	s_cbranch_execnz .LBB35_24
.LBB35_25:
	s_endpgm
	.section	.rodata,"a",@progbits
	.p2align	6, 0x0
	.amdhsa_kernel _ZN2at6native12_GLOBAL__N_125multi_tensor_apply_kernelINS1_28TensorListScalarListMetadataIfLi1EEENS1_25BinaryOpScalarListFunctorIN3c108BFloat16ELi1ELi1ELi0EEEJSt10multipliesIfEEEEvT_T0_DpT1_
		.amdhsa_group_segment_fixed_size 0
		.amdhsa_private_segment_fixed_size 0
		.amdhsa_kernarg_size 3784
		.amdhsa_user_sgpr_count 6
		.amdhsa_user_sgpr_private_segment_buffer 1
		.amdhsa_user_sgpr_dispatch_ptr 0
		.amdhsa_user_sgpr_queue_ptr 0
		.amdhsa_user_sgpr_kernarg_segment_ptr 1
		.amdhsa_user_sgpr_dispatch_id 0
		.amdhsa_user_sgpr_flat_scratch_init 0
		.amdhsa_user_sgpr_private_segment_size 0
		.amdhsa_wavefront_size32 1
		.amdhsa_uses_dynamic_stack 0
		.amdhsa_system_sgpr_private_segment_wavefront_offset 0
		.amdhsa_system_sgpr_workgroup_id_x 1
		.amdhsa_system_sgpr_workgroup_id_y 0
		.amdhsa_system_sgpr_workgroup_id_z 0
		.amdhsa_system_sgpr_workgroup_info 0
		.amdhsa_system_vgpr_workitem_id 0
		.amdhsa_next_free_vgpr 17
		.amdhsa_next_free_sgpr 23
		.amdhsa_reserve_vcc 1
		.amdhsa_reserve_flat_scratch 0
		.amdhsa_float_round_mode_32 0
		.amdhsa_float_round_mode_16_64 0
		.amdhsa_float_denorm_mode_32 3
		.amdhsa_float_denorm_mode_16_64 3
		.amdhsa_dx10_clamp 1
		.amdhsa_ieee_mode 1
		.amdhsa_fp16_overflow 0
		.amdhsa_workgroup_processor_mode 1
		.amdhsa_memory_ordered 1
		.amdhsa_forward_progress 1
		.amdhsa_shared_vgpr_count 0
		.amdhsa_exception_fp_ieee_invalid_op 0
		.amdhsa_exception_fp_denorm_src 0
		.amdhsa_exception_fp_ieee_div_zero 0
		.amdhsa_exception_fp_ieee_overflow 0
		.amdhsa_exception_fp_ieee_underflow 0
		.amdhsa_exception_fp_ieee_inexact 0
		.amdhsa_exception_int_div_zero 0
	.end_amdhsa_kernel
	.section	.text._ZN2at6native12_GLOBAL__N_125multi_tensor_apply_kernelINS1_28TensorListScalarListMetadataIfLi1EEENS1_25BinaryOpScalarListFunctorIN3c108BFloat16ELi1ELi1ELi0EEEJSt10multipliesIfEEEEvT_T0_DpT1_,"axG",@progbits,_ZN2at6native12_GLOBAL__N_125multi_tensor_apply_kernelINS1_28TensorListScalarListMetadataIfLi1EEENS1_25BinaryOpScalarListFunctorIN3c108BFloat16ELi1ELi1ELi0EEEJSt10multipliesIfEEEEvT_T0_DpT1_,comdat
.Lfunc_end35:
	.size	_ZN2at6native12_GLOBAL__N_125multi_tensor_apply_kernelINS1_28TensorListScalarListMetadataIfLi1EEENS1_25BinaryOpScalarListFunctorIN3c108BFloat16ELi1ELi1ELi0EEEJSt10multipliesIfEEEEvT_T0_DpT1_, .Lfunc_end35-_ZN2at6native12_GLOBAL__N_125multi_tensor_apply_kernelINS1_28TensorListScalarListMetadataIfLi1EEENS1_25BinaryOpScalarListFunctorIN3c108BFloat16ELi1ELi1ELi0EEEJSt10multipliesIfEEEEvT_T0_DpT1_
                                        ; -- End function
	.set _ZN2at6native12_GLOBAL__N_125multi_tensor_apply_kernelINS1_28TensorListScalarListMetadataIfLi1EEENS1_25BinaryOpScalarListFunctorIN3c108BFloat16ELi1ELi1ELi0EEEJSt10multipliesIfEEEEvT_T0_DpT1_.num_vgpr, 17
	.set _ZN2at6native12_GLOBAL__N_125multi_tensor_apply_kernelINS1_28TensorListScalarListMetadataIfLi1EEENS1_25BinaryOpScalarListFunctorIN3c108BFloat16ELi1ELi1ELi0EEEJSt10multipliesIfEEEEvT_T0_DpT1_.num_agpr, 0
	.set _ZN2at6native12_GLOBAL__N_125multi_tensor_apply_kernelINS1_28TensorListScalarListMetadataIfLi1EEENS1_25BinaryOpScalarListFunctorIN3c108BFloat16ELi1ELi1ELi0EEEJSt10multipliesIfEEEEvT_T0_DpT1_.numbered_sgpr, 23
	.set _ZN2at6native12_GLOBAL__N_125multi_tensor_apply_kernelINS1_28TensorListScalarListMetadataIfLi1EEENS1_25BinaryOpScalarListFunctorIN3c108BFloat16ELi1ELi1ELi0EEEJSt10multipliesIfEEEEvT_T0_DpT1_.num_named_barrier, 0
	.set _ZN2at6native12_GLOBAL__N_125multi_tensor_apply_kernelINS1_28TensorListScalarListMetadataIfLi1EEENS1_25BinaryOpScalarListFunctorIN3c108BFloat16ELi1ELi1ELi0EEEJSt10multipliesIfEEEEvT_T0_DpT1_.private_seg_size, 0
	.set _ZN2at6native12_GLOBAL__N_125multi_tensor_apply_kernelINS1_28TensorListScalarListMetadataIfLi1EEENS1_25BinaryOpScalarListFunctorIN3c108BFloat16ELi1ELi1ELi0EEEJSt10multipliesIfEEEEvT_T0_DpT1_.uses_vcc, 1
	.set _ZN2at6native12_GLOBAL__N_125multi_tensor_apply_kernelINS1_28TensorListScalarListMetadataIfLi1EEENS1_25BinaryOpScalarListFunctorIN3c108BFloat16ELi1ELi1ELi0EEEJSt10multipliesIfEEEEvT_T0_DpT1_.uses_flat_scratch, 0
	.set _ZN2at6native12_GLOBAL__N_125multi_tensor_apply_kernelINS1_28TensorListScalarListMetadataIfLi1EEENS1_25BinaryOpScalarListFunctorIN3c108BFloat16ELi1ELi1ELi0EEEJSt10multipliesIfEEEEvT_T0_DpT1_.has_dyn_sized_stack, 0
	.set _ZN2at6native12_GLOBAL__N_125multi_tensor_apply_kernelINS1_28TensorListScalarListMetadataIfLi1EEENS1_25BinaryOpScalarListFunctorIN3c108BFloat16ELi1ELi1ELi0EEEJSt10multipliesIfEEEEvT_T0_DpT1_.has_recursion, 0
	.set _ZN2at6native12_GLOBAL__N_125multi_tensor_apply_kernelINS1_28TensorListScalarListMetadataIfLi1EEENS1_25BinaryOpScalarListFunctorIN3c108BFloat16ELi1ELi1ELi0EEEJSt10multipliesIfEEEEvT_T0_DpT1_.has_indirect_call, 0
	.section	.AMDGPU.csdata,"",@progbits
; Kernel info:
; codeLenInByte = 1460
; TotalNumSgprs: 25
; NumVgprs: 17
; ScratchSize: 0
; MemoryBound: 0
; FloatMode: 240
; IeeeMode: 1
; LDSByteSize: 0 bytes/workgroup (compile time only)
; SGPRBlocks: 0
; VGPRBlocks: 2
; NumSGPRsForWavesPerEU: 25
; NumVGPRsForWavesPerEU: 17
; Occupancy: 16
; WaveLimiterHint : 0
; COMPUTE_PGM_RSRC2:SCRATCH_EN: 0
; COMPUTE_PGM_RSRC2:USER_SGPR: 6
; COMPUTE_PGM_RSRC2:TRAP_HANDLER: 0
; COMPUTE_PGM_RSRC2:TGID_X_EN: 1
; COMPUTE_PGM_RSRC2:TGID_Y_EN: 0
; COMPUTE_PGM_RSRC2:TGID_Z_EN: 0
; COMPUTE_PGM_RSRC2:TIDIG_COMP_CNT: 0
	.section	.text._ZN2at6native12_GLOBAL__N_125multi_tensor_apply_kernelINS1_28TensorListScalarListMetadataIhLi2EEENS1_25BinaryOpScalarListFunctorIhLi2ELi1ELi1EEEJSt10multipliesIhEEEEvT_T0_DpT1_,"axG",@progbits,_ZN2at6native12_GLOBAL__N_125multi_tensor_apply_kernelINS1_28TensorListScalarListMetadataIhLi2EEENS1_25BinaryOpScalarListFunctorIhLi2ELi1ELi1EEEJSt10multipliesIhEEEEvT_T0_DpT1_,comdat
	.globl	_ZN2at6native12_GLOBAL__N_125multi_tensor_apply_kernelINS1_28TensorListScalarListMetadataIhLi2EEENS1_25BinaryOpScalarListFunctorIhLi2ELi1ELi1EEEJSt10multipliesIhEEEEvT_T0_DpT1_ ; -- Begin function _ZN2at6native12_GLOBAL__N_125multi_tensor_apply_kernelINS1_28TensorListScalarListMetadataIhLi2EEENS1_25BinaryOpScalarListFunctorIhLi2ELi1ELi1EEEJSt10multipliesIhEEEEvT_T0_DpT1_
	.p2align	8
	.type	_ZN2at6native12_GLOBAL__N_125multi_tensor_apply_kernelINS1_28TensorListScalarListMetadataIhLi2EEENS1_25BinaryOpScalarListFunctorIhLi2ELi1ELi1EEEJSt10multipliesIhEEEEvT_T0_DpT1_,@function
_ZN2at6native12_GLOBAL__N_125multi_tensor_apply_kernelINS1_28TensorListScalarListMetadataIhLi2EEENS1_25BinaryOpScalarListFunctorIhLi2ELi1ELi1EEEJSt10multipliesIhEEEEvT_T0_DpT1_: ; @_ZN2at6native12_GLOBAL__N_125multi_tensor_apply_kernelINS1_28TensorListScalarListMetadataIhLi2EEENS1_25BinaryOpScalarListFunctorIhLi2ELi1ELi1EEEJSt10multipliesIhEEEEvT_T0_DpT1_
; %bb.0:
	v_mov_b32_e32 v1, s6
	s_mul_i32 s2, s6, 3
	s_mul_hi_u32 s3, s6, 3
	global_load_ubyte v3, v1, s[4:5] offset:1600
	s_waitcnt vmcnt(0)
	v_add_co_u32 v1, s0, s4, v3
	v_add_co_ci_u32_e64 v2, null, s5, 0, s0
	s_add_u32 s0, s4, s6
	s_addc_u32 s1, s5, 0
	s_add_u32 s0, s0, s2
	global_load_ubyte v4, v[1:2], off offset:1536
	s_addc_u32 s1, s1, s3
	v_readfirstlane_b32 s2, v3
	s_load_dword s0, s[0:1], 0x780
	s_lshl_b32 s1, s2, 3
	s_clause 0x2
	s_load_dwordx2 s[6:7], s[4:5], s1 offset:0x0
	s_load_dwordx2 s[2:3], s[4:5], s1 offset:0x400
	;; [unrolled: 1-line block ×3, first 2 shown]
	s_waitcnt lgkmcnt(0)
	s_ashr_i32 s1, s0, 31
	s_lshl_b64 s[10:11], s[0:1], 16
	s_add_u32 s0, s6, s10
	s_sub_u32 s12, s2, s10
	s_subb_u32 s13, s3, s11
	s_or_b32 s1, s2, s8
	s_or_b32 s0, s1, s0
	s_and_b32 s0, s0, 3
	s_cmp_eq_u32 s0, 0
	s_mov_b32 s0, -1
	s_cbranch_scc1 .LBB36_21
; %bb.1:
	v_cmp_lt_i64_e64 s0, s[12:13], 1
	s_and_b32 vcc_lo, exec_lo, s0
	s_cbranch_vccnz .LBB36_20
; %bb.2:
	s_load_dword s0, s[4:5], 0xc94
	v_cmp_gt_i64_e64 s1, 0x10000, s[12:13]
	v_add_co_u32 v16, s2, s10, v0
	v_add_co_ci_u32_e64 v17, null, s11, 0, s2
	v_cmp_gt_u64_e64 s2, 0x10000, s[12:13]
	s_and_b32 s1, s1, exec_lo
	s_cselect_b32 s15, s13, 0
	s_cselect_b32 s14, s12, 0x10000
	v_add_co_u32 v1, vcc_lo, s6, v16
	v_add_co_ci_u32_e64 v2, null, s7, v17, vcc_lo
	v_add_co_u32 v3, vcc_lo, s8, v16
	v_add_co_ci_u32_e64 v5, null, s9, v17, vcc_lo
	s_waitcnt lgkmcnt(0)
	s_and_b32 s0, s0, 0xffff
	s_and_b32 s1, s2, exec_lo
	s_mul_i32 s2, s0, 3
	s_cselect_b32 s17, s13, 0
	s_cselect_b32 s16, s12, 0x10000
	s_lshl_b32 s1, s0, 1
	s_lshl_b32 s20, s0, 2
	s_add_u32 s3, s10, s2
	s_addc_u32 s18, s11, 0
	v_add_co_u32 v8, s3, s3, v0
	v_add_co_ci_u32_e64 v9, null, s18, 0, s3
	s_add_u32 s3, s10, s1
	s_addc_u32 s18, s11, 0
	v_add_co_u32 v14, s3, s3, v0
	v_add_co_u32 v6, vcc_lo, s6, v8
	v_add_co_ci_u32_e64 v15, null, s18, 0, s3
	v_add_co_ci_u32_e64 v7, null, s7, v9, vcc_lo
	v_add_co_u32 v8, vcc_lo, s8, v8
	v_add_co_ci_u32_e64 v9, null, s9, v9, vcc_lo
	v_add_co_u32 v12, vcc_lo, s6, v14
	;; [unrolled: 2-line block ×4, first 2 shown]
	v_add_co_ci_u32_e64 v21, null, 0, v17, vcc_lo
	v_add_co_u32 v10, s2, s2, v0
	v_add_co_u32 v18, vcc_lo, s6, v20
	v_add_co_u32 v16, s1, s1, v0
	v_add_co_ci_u32_e64 v19, null, s7, v21, vcc_lo
	v_add_co_u32 v20, vcc_lo, s8, v20
	v_add_co_u32 v22, s0, v0, s0
	v_add_co_ci_u32_e64 v11, null, 0, 0, s2
	v_add_co_ci_u32_e64 v17, null, 0, 0, s1
	v_add_co_ci_u32_e64 v21, null, s9, v21, vcc_lo
	v_add_co_ci_u32_e64 v23, null, 0, 0, s0
	s_mov_b64 s[18:19], 0
	s_branch .LBB36_4
.LBB36_3:                               ;   in Loop: Header=BB36_4 Depth=1
	s_or_b32 exec_lo, exec_lo, s0
	s_add_u32 s18, s18, s20
	s_addc_u32 s19, s19, 0
	v_cmp_lt_i64_e64 s0, s[18:19], s[14:15]
	s_and_b32 vcc_lo, exec_lo, s0
	s_cbranch_vccz .LBB36_20
.LBB36_4:                               ; =>This Inner Loop Header: Depth=1
	s_waitcnt vmcnt(0)
	v_add_co_u32 v24, s0, v0, s18
	v_add_co_ci_u32_e64 v25, null, 0, s19, s0
	v_cmp_gt_u64_e32 vcc_lo, s[16:17], v[24:25]
	v_mov_b32_e32 v25, 0
	s_and_saveexec_b32 s1, vcc_lo
	s_cbranch_execz .LBB36_6
; %bb.5:                                ;   in Loop: Header=BB36_4 Depth=1
	v_add_co_u32 v24, s0, v1, s18
	v_add_co_ci_u32_e64 v25, null, s19, v2, s0
	global_load_ubyte v25, v[24:25], off
.LBB36_6:                               ;   in Loop: Header=BB36_4 Depth=1
	s_or_b32 exec_lo, exec_lo, s1
	v_add_co_u32 v26, s0, v22, s18
	v_add_co_ci_u32_e64 v27, null, s19, v23, s0
	v_mov_b32_e32 v24, 0
	v_cmp_gt_u64_e64 s0, s[16:17], v[26:27]
	v_mov_b32_e32 v26, 0
	s_and_saveexec_b32 s2, s0
	s_cbranch_execz .LBB36_8
; %bb.7:                                ;   in Loop: Header=BB36_4 Depth=1
	v_add_co_u32 v26, s1, v18, s18
	v_add_co_ci_u32_e64 v27, null, s19, v19, s1
	global_load_ubyte v26, v[26:27], off
.LBB36_8:                               ;   in Loop: Header=BB36_4 Depth=1
	s_or_b32 exec_lo, exec_lo, s2
	v_add_co_u32 v27, s1, v16, s18
	v_add_co_ci_u32_e64 v28, null, s19, v17, s1
	v_cmp_gt_u64_e64 s1, s[16:17], v[27:28]
	s_and_saveexec_b32 s3, s1
	s_cbranch_execz .LBB36_10
; %bb.9:                                ;   in Loop: Header=BB36_4 Depth=1
	v_add_co_u32 v27, s2, v12, s18
	v_add_co_ci_u32_e64 v28, null, s19, v13, s2
	global_load_ubyte v24, v[27:28], off
.LBB36_10:                              ;   in Loop: Header=BB36_4 Depth=1
	s_or_b32 exec_lo, exec_lo, s3
	v_add_co_u32 v27, s2, v10, s18
	v_add_co_ci_u32_e64 v28, null, s19, v11, s2
	v_cmp_gt_u64_e64 s2, s[16:17], v[27:28]
	v_mov_b32_e32 v27, 0
	s_and_saveexec_b32 s21, s2
	s_cbranch_execnz .LBB36_15
; %bb.11:                               ;   in Loop: Header=BB36_4 Depth=1
	s_or_b32 exec_lo, exec_lo, s21
	s_and_saveexec_b32 s3, vcc_lo
	s_cbranch_execnz .LBB36_16
.LBB36_12:                              ;   in Loop: Header=BB36_4 Depth=1
	s_or_b32 exec_lo, exec_lo, s3
	s_and_saveexec_b32 s3, s0
	s_cbranch_execnz .LBB36_17
.LBB36_13:                              ;   in Loop: Header=BB36_4 Depth=1
	s_or_b32 exec_lo, exec_lo, s3
	s_and_saveexec_b32 s0, s1
	s_cbranch_execnz .LBB36_18
.LBB36_14:                              ;   in Loop: Header=BB36_4 Depth=1
	s_or_b32 exec_lo, exec_lo, s0
	s_and_saveexec_b32 s0, s2
	s_cbranch_execz .LBB36_3
	s_branch .LBB36_19
.LBB36_15:                              ;   in Loop: Header=BB36_4 Depth=1
	v_add_co_u32 v27, s3, v6, s18
	v_add_co_ci_u32_e64 v28, null, s19, v7, s3
	global_load_ubyte v27, v[27:28], off
	s_or_b32 exec_lo, exec_lo, s21
	s_and_saveexec_b32 s3, vcc_lo
	s_cbranch_execz .LBB36_12
.LBB36_16:                              ;   in Loop: Header=BB36_4 Depth=1
	v_add_co_u32 v28, vcc_lo, v3, s18
	s_waitcnt vmcnt(0)
	v_mul_lo_u16 v25, v25, v4
	v_add_co_ci_u32_e64 v29, null, s19, v5, vcc_lo
	global_store_byte v[28:29], v25, off
	s_or_b32 exec_lo, exec_lo, s3
	s_and_saveexec_b32 s3, s0
	s_cbranch_execz .LBB36_13
.LBB36_17:                              ;   in Loop: Header=BB36_4 Depth=1
	s_waitcnt vmcnt(0)
	v_add_co_u32 v25, vcc_lo, v20, s18
	v_mul_lo_u16 v28, v26, v4
	v_add_co_ci_u32_e64 v26, null, s19, v21, vcc_lo
	global_store_byte v[25:26], v28, off
	s_or_b32 exec_lo, exec_lo, s3
	s_and_saveexec_b32 s0, s1
	s_cbranch_execz .LBB36_14
.LBB36_18:                              ;   in Loop: Header=BB36_4 Depth=1
	s_waitcnt vmcnt(0)
	v_mul_lo_u16 v26, v24, v4
	v_add_co_u32 v24, vcc_lo, v14, s18
	v_add_co_ci_u32_e64 v25, null, s19, v15, vcc_lo
	global_store_byte v[24:25], v26, off
	s_or_b32 exec_lo, exec_lo, s0
	s_and_saveexec_b32 s0, s2
	s_cbranch_execz .LBB36_3
.LBB36_19:                              ;   in Loop: Header=BB36_4 Depth=1
	s_waitcnt vmcnt(0)
	v_add_co_u32 v24, vcc_lo, v8, s18
	v_mul_lo_u16 v26, v27, v4
	v_add_co_ci_u32_e64 v25, null, s19, v9, vcc_lo
	global_store_byte v[24:25], v26, off
	s_branch .LBB36_3
.LBB36_20:
	s_mov_b32 s0, 0
.LBB36_21:
	s_andn2_b32 vcc_lo, exec_lo, s0
	s_cbranch_vccnz .LBB36_25
; %bb.22:
	v_cmp_gt_i64_e64 s0, 0x10000, s[12:13]
	v_mov_b32_e32 v3, 0
	v_lshlrev_b32_e32 v2, 2, v0
	s_mov_b32 s1, 0
	s_and_b32 s0, s0, exec_lo
	s_cselect_b32 s3, s13, 0
	s_cselect_b32 s2, s12, 0x10000
	s_mov_b32 s0, exec_lo
	v_cmpx_gt_i64_e64 s[2:3], v[2:3]
	s_cbranch_execz .LBB36_25
; %bb.23:
	s_load_dword s0, s[4:5], 0xc94
	v_add_co_u32 v2, s4, s10, v2
	v_mov_b32_e32 v1, v3
	v_add_co_ci_u32_e64 v3, null, s11, 0, s4
	s_waitcnt lgkmcnt(0)
	s_and_b32 s4, s0, 0xffff
	s_lshl_b32 s5, s4, 2
	s_inst_prefetch 0x1
	.p2align	6
.LBB36_24:                              ; =>This Inner Loop Header: Depth=1
	v_add_co_u32 v5, vcc_lo, s6, v2
	v_add_co_ci_u32_e64 v6, null, s7, v3, vcc_lo
	v_add_co_u32 v0, vcc_lo, v0, s4
	v_add_co_ci_u32_e64 v1, null, 0, v1, vcc_lo
	global_load_dword v6, v[5:6], off
	v_add_co_u32 v5, vcc_lo, s8, v2
	v_lshlrev_b64 v[7:8], 2, v[0:1]
	v_add_co_u32 v2, s0, v2, s5
	s_waitcnt vmcnt(0)
	v_lshrrev_b32_e32 v9, 8, v6
	v_lshrrev_b32_e32 v10, 24, v6
	;; [unrolled: 1-line block ×3, first 2 shown]
	v_mul_lo_u16 v12, v4, v6
	v_add_co_ci_u32_e64 v6, null, s9, v3, vcc_lo
	v_mul_lo_u16 v9, v4, v9
	v_mul_lo_u16 v10, v4, v10
	;; [unrolled: 1-line block ×3, first 2 shown]
	v_cmp_le_i64_e32 vcc_lo, s[2:3], v[7:8]
	v_add_co_ci_u32_e64 v3, null, 0, v3, s0
	v_lshlrev_b16 v9, 8, v9
	v_lshlrev_b16 v10, 8, v10
	s_or_b32 s1, vcc_lo, s1
	v_or_b32_sdwa v9, v12, v9 dst_sel:DWORD dst_unused:UNUSED_PAD src0_sel:BYTE_0 src1_sel:DWORD
	v_or_b32_sdwa v10, v11, v10 dst_sel:WORD_1 dst_unused:UNUSED_PAD src0_sel:BYTE_0 src1_sel:DWORD
	v_or_b32_sdwa v7, v9, v10 dst_sel:DWORD dst_unused:UNUSED_PAD src0_sel:WORD_0 src1_sel:DWORD
	global_store_dword v[5:6], v7, off
	s_andn2_b32 exec_lo, exec_lo, s1
	s_cbranch_execnz .LBB36_24
.LBB36_25:
	s_inst_prefetch 0x2
	s_endpgm
	.section	.rodata,"a",@progbits
	.p2align	6, 0x0
	.amdhsa_kernel _ZN2at6native12_GLOBAL__N_125multi_tensor_apply_kernelINS1_28TensorListScalarListMetadataIhLi2EEENS1_25BinaryOpScalarListFunctorIhLi2ELi1ELi1EEEJSt10multipliesIhEEEEvT_T0_DpT1_
		.amdhsa_group_segment_fixed_size 0
		.amdhsa_private_segment_fixed_size 0
		.amdhsa_kernarg_size 3464
		.amdhsa_user_sgpr_count 6
		.amdhsa_user_sgpr_private_segment_buffer 1
		.amdhsa_user_sgpr_dispatch_ptr 0
		.amdhsa_user_sgpr_queue_ptr 0
		.amdhsa_user_sgpr_kernarg_segment_ptr 1
		.amdhsa_user_sgpr_dispatch_id 0
		.amdhsa_user_sgpr_flat_scratch_init 0
		.amdhsa_user_sgpr_private_segment_size 0
		.amdhsa_wavefront_size32 1
		.amdhsa_uses_dynamic_stack 0
		.amdhsa_system_sgpr_private_segment_wavefront_offset 0
		.amdhsa_system_sgpr_workgroup_id_x 1
		.amdhsa_system_sgpr_workgroup_id_y 0
		.amdhsa_system_sgpr_workgroup_id_z 0
		.amdhsa_system_sgpr_workgroup_info 0
		.amdhsa_system_vgpr_workitem_id 0
		.amdhsa_next_free_vgpr 30
		.amdhsa_next_free_sgpr 22
		.amdhsa_reserve_vcc 1
		.amdhsa_reserve_flat_scratch 0
		.amdhsa_float_round_mode_32 0
		.amdhsa_float_round_mode_16_64 0
		.amdhsa_float_denorm_mode_32 3
		.amdhsa_float_denorm_mode_16_64 3
		.amdhsa_dx10_clamp 1
		.amdhsa_ieee_mode 1
		.amdhsa_fp16_overflow 0
		.amdhsa_workgroup_processor_mode 1
		.amdhsa_memory_ordered 1
		.amdhsa_forward_progress 1
		.amdhsa_shared_vgpr_count 0
		.amdhsa_exception_fp_ieee_invalid_op 0
		.amdhsa_exception_fp_denorm_src 0
		.amdhsa_exception_fp_ieee_div_zero 0
		.amdhsa_exception_fp_ieee_overflow 0
		.amdhsa_exception_fp_ieee_underflow 0
		.amdhsa_exception_fp_ieee_inexact 0
		.amdhsa_exception_int_div_zero 0
	.end_amdhsa_kernel
	.section	.text._ZN2at6native12_GLOBAL__N_125multi_tensor_apply_kernelINS1_28TensorListScalarListMetadataIhLi2EEENS1_25BinaryOpScalarListFunctorIhLi2ELi1ELi1EEEJSt10multipliesIhEEEEvT_T0_DpT1_,"axG",@progbits,_ZN2at6native12_GLOBAL__N_125multi_tensor_apply_kernelINS1_28TensorListScalarListMetadataIhLi2EEENS1_25BinaryOpScalarListFunctorIhLi2ELi1ELi1EEEJSt10multipliesIhEEEEvT_T0_DpT1_,comdat
.Lfunc_end36:
	.size	_ZN2at6native12_GLOBAL__N_125multi_tensor_apply_kernelINS1_28TensorListScalarListMetadataIhLi2EEENS1_25BinaryOpScalarListFunctorIhLi2ELi1ELi1EEEJSt10multipliesIhEEEEvT_T0_DpT1_, .Lfunc_end36-_ZN2at6native12_GLOBAL__N_125multi_tensor_apply_kernelINS1_28TensorListScalarListMetadataIhLi2EEENS1_25BinaryOpScalarListFunctorIhLi2ELi1ELi1EEEJSt10multipliesIhEEEEvT_T0_DpT1_
                                        ; -- End function
	.set _ZN2at6native12_GLOBAL__N_125multi_tensor_apply_kernelINS1_28TensorListScalarListMetadataIhLi2EEENS1_25BinaryOpScalarListFunctorIhLi2ELi1ELi1EEEJSt10multipliesIhEEEEvT_T0_DpT1_.num_vgpr, 30
	.set _ZN2at6native12_GLOBAL__N_125multi_tensor_apply_kernelINS1_28TensorListScalarListMetadataIhLi2EEENS1_25BinaryOpScalarListFunctorIhLi2ELi1ELi1EEEJSt10multipliesIhEEEEvT_T0_DpT1_.num_agpr, 0
	.set _ZN2at6native12_GLOBAL__N_125multi_tensor_apply_kernelINS1_28TensorListScalarListMetadataIhLi2EEENS1_25BinaryOpScalarListFunctorIhLi2ELi1ELi1EEEJSt10multipliesIhEEEEvT_T0_DpT1_.numbered_sgpr, 22
	.set _ZN2at6native12_GLOBAL__N_125multi_tensor_apply_kernelINS1_28TensorListScalarListMetadataIhLi2EEENS1_25BinaryOpScalarListFunctorIhLi2ELi1ELi1EEEJSt10multipliesIhEEEEvT_T0_DpT1_.num_named_barrier, 0
	.set _ZN2at6native12_GLOBAL__N_125multi_tensor_apply_kernelINS1_28TensorListScalarListMetadataIhLi2EEENS1_25BinaryOpScalarListFunctorIhLi2ELi1ELi1EEEJSt10multipliesIhEEEEvT_T0_DpT1_.private_seg_size, 0
	.set _ZN2at6native12_GLOBAL__N_125multi_tensor_apply_kernelINS1_28TensorListScalarListMetadataIhLi2EEENS1_25BinaryOpScalarListFunctorIhLi2ELi1ELi1EEEJSt10multipliesIhEEEEvT_T0_DpT1_.uses_vcc, 1
	.set _ZN2at6native12_GLOBAL__N_125multi_tensor_apply_kernelINS1_28TensorListScalarListMetadataIhLi2EEENS1_25BinaryOpScalarListFunctorIhLi2ELi1ELi1EEEJSt10multipliesIhEEEEvT_T0_DpT1_.uses_flat_scratch, 0
	.set _ZN2at6native12_GLOBAL__N_125multi_tensor_apply_kernelINS1_28TensorListScalarListMetadataIhLi2EEENS1_25BinaryOpScalarListFunctorIhLi2ELi1ELi1EEEJSt10multipliesIhEEEEvT_T0_DpT1_.has_dyn_sized_stack, 0
	.set _ZN2at6native12_GLOBAL__N_125multi_tensor_apply_kernelINS1_28TensorListScalarListMetadataIhLi2EEENS1_25BinaryOpScalarListFunctorIhLi2ELi1ELi1EEEJSt10multipliesIhEEEEvT_T0_DpT1_.has_recursion, 0
	.set _ZN2at6native12_GLOBAL__N_125multi_tensor_apply_kernelINS1_28TensorListScalarListMetadataIhLi2EEENS1_25BinaryOpScalarListFunctorIhLi2ELi1ELi1EEEJSt10multipliesIhEEEEvT_T0_DpT1_.has_indirect_call, 0
	.section	.AMDGPU.csdata,"",@progbits
; Kernel info:
; codeLenInByte = 1416
; TotalNumSgprs: 24
; NumVgprs: 30
; ScratchSize: 0
; MemoryBound: 0
; FloatMode: 240
; IeeeMode: 1
; LDSByteSize: 0 bytes/workgroup (compile time only)
; SGPRBlocks: 0
; VGPRBlocks: 3
; NumSGPRsForWavesPerEU: 24
; NumVGPRsForWavesPerEU: 30
; Occupancy: 16
; WaveLimiterHint : 0
; COMPUTE_PGM_RSRC2:SCRATCH_EN: 0
; COMPUTE_PGM_RSRC2:USER_SGPR: 6
; COMPUTE_PGM_RSRC2:TRAP_HANDLER: 0
; COMPUTE_PGM_RSRC2:TGID_X_EN: 1
; COMPUTE_PGM_RSRC2:TGID_Y_EN: 0
; COMPUTE_PGM_RSRC2:TGID_Z_EN: 0
; COMPUTE_PGM_RSRC2:TIDIG_COMP_CNT: 0
	.section	.text._ZN2at6native12_GLOBAL__N_125multi_tensor_apply_kernelINS1_28TensorListScalarListMetadataIaLi2EEENS1_25BinaryOpScalarListFunctorIaLi2ELi1ELi1EEEJSt10multipliesIaEEEEvT_T0_DpT1_,"axG",@progbits,_ZN2at6native12_GLOBAL__N_125multi_tensor_apply_kernelINS1_28TensorListScalarListMetadataIaLi2EEENS1_25BinaryOpScalarListFunctorIaLi2ELi1ELi1EEEJSt10multipliesIaEEEEvT_T0_DpT1_,comdat
	.globl	_ZN2at6native12_GLOBAL__N_125multi_tensor_apply_kernelINS1_28TensorListScalarListMetadataIaLi2EEENS1_25BinaryOpScalarListFunctorIaLi2ELi1ELi1EEEJSt10multipliesIaEEEEvT_T0_DpT1_ ; -- Begin function _ZN2at6native12_GLOBAL__N_125multi_tensor_apply_kernelINS1_28TensorListScalarListMetadataIaLi2EEENS1_25BinaryOpScalarListFunctorIaLi2ELi1ELi1EEEJSt10multipliesIaEEEEvT_T0_DpT1_
	.p2align	8
	.type	_ZN2at6native12_GLOBAL__N_125multi_tensor_apply_kernelINS1_28TensorListScalarListMetadataIaLi2EEENS1_25BinaryOpScalarListFunctorIaLi2ELi1ELi1EEEJSt10multipliesIaEEEEvT_T0_DpT1_,@function
_ZN2at6native12_GLOBAL__N_125multi_tensor_apply_kernelINS1_28TensorListScalarListMetadataIaLi2EEENS1_25BinaryOpScalarListFunctorIaLi2ELi1ELi1EEEJSt10multipliesIaEEEEvT_T0_DpT1_: ; @_ZN2at6native12_GLOBAL__N_125multi_tensor_apply_kernelINS1_28TensorListScalarListMetadataIaLi2EEENS1_25BinaryOpScalarListFunctorIaLi2ELi1ELi1EEEJSt10multipliesIaEEEEvT_T0_DpT1_
; %bb.0:
	v_mov_b32_e32 v1, s6
	s_mul_i32 s2, s6, 3
	s_mul_hi_u32 s3, s6, 3
	global_load_ubyte v3, v1, s[4:5] offset:1600
	s_waitcnt vmcnt(0)
	v_add_co_u32 v1, s0, s4, v3
	v_add_co_ci_u32_e64 v2, null, s5, 0, s0
	s_add_u32 s0, s4, s6
	s_addc_u32 s1, s5, 0
	s_add_u32 s0, s0, s2
	global_load_ubyte v4, v[1:2], off offset:1536
	s_addc_u32 s1, s1, s3
	v_readfirstlane_b32 s2, v3
	s_load_dword s0, s[0:1], 0x780
	s_lshl_b32 s1, s2, 3
	s_clause 0x2
	s_load_dwordx2 s[6:7], s[4:5], s1 offset:0x0
	s_load_dwordx2 s[2:3], s[4:5], s1 offset:0x400
	;; [unrolled: 1-line block ×3, first 2 shown]
	s_waitcnt lgkmcnt(0)
	s_ashr_i32 s1, s0, 31
	s_lshl_b64 s[10:11], s[0:1], 16
	s_add_u32 s0, s6, s10
	s_sub_u32 s12, s2, s10
	s_subb_u32 s13, s3, s11
	s_or_b32 s1, s2, s8
	s_or_b32 s0, s1, s0
	s_and_b32 s0, s0, 3
	s_cmp_eq_u32 s0, 0
	s_mov_b32 s0, -1
	s_cbranch_scc1 .LBB37_21
; %bb.1:
	v_cmp_lt_i64_e64 s0, s[12:13], 1
	s_and_b32 vcc_lo, exec_lo, s0
	s_cbranch_vccnz .LBB37_20
; %bb.2:
	s_load_dword s0, s[4:5], 0xc94
	v_cmp_gt_i64_e64 s1, 0x10000, s[12:13]
	v_add_co_u32 v16, s2, s10, v0
	v_add_co_ci_u32_e64 v17, null, s11, 0, s2
	v_cmp_gt_u64_e64 s2, 0x10000, s[12:13]
	s_and_b32 s1, s1, exec_lo
	s_cselect_b32 s15, s13, 0
	s_cselect_b32 s14, s12, 0x10000
	v_add_co_u32 v1, vcc_lo, s6, v16
	v_add_co_ci_u32_e64 v2, null, s7, v17, vcc_lo
	v_add_co_u32 v3, vcc_lo, s8, v16
	v_add_co_ci_u32_e64 v5, null, s9, v17, vcc_lo
	s_waitcnt lgkmcnt(0)
	s_and_b32 s0, s0, 0xffff
	s_and_b32 s1, s2, exec_lo
	s_mul_i32 s2, s0, 3
	s_cselect_b32 s17, s13, 0
	s_cselect_b32 s16, s12, 0x10000
	s_lshl_b32 s1, s0, 1
	s_lshl_b32 s20, s0, 2
	s_add_u32 s3, s10, s2
	s_addc_u32 s18, s11, 0
	v_add_co_u32 v8, s3, s3, v0
	v_add_co_ci_u32_e64 v9, null, s18, 0, s3
	s_add_u32 s3, s10, s1
	s_addc_u32 s18, s11, 0
	v_add_co_u32 v14, s3, s3, v0
	v_add_co_u32 v6, vcc_lo, s6, v8
	v_add_co_ci_u32_e64 v15, null, s18, 0, s3
	v_add_co_ci_u32_e64 v7, null, s7, v9, vcc_lo
	v_add_co_u32 v8, vcc_lo, s8, v8
	v_add_co_ci_u32_e64 v9, null, s9, v9, vcc_lo
	v_add_co_u32 v12, vcc_lo, s6, v14
	;; [unrolled: 2-line block ×4, first 2 shown]
	v_add_co_ci_u32_e64 v21, null, 0, v17, vcc_lo
	v_add_co_u32 v10, s2, s2, v0
	v_add_co_u32 v18, vcc_lo, s6, v20
	v_add_co_u32 v16, s1, s1, v0
	v_add_co_ci_u32_e64 v19, null, s7, v21, vcc_lo
	v_add_co_u32 v20, vcc_lo, s8, v20
	v_add_co_u32 v22, s0, v0, s0
	v_add_co_ci_u32_e64 v11, null, 0, 0, s2
	v_add_co_ci_u32_e64 v17, null, 0, 0, s1
	v_add_co_ci_u32_e64 v21, null, s9, v21, vcc_lo
	v_add_co_ci_u32_e64 v23, null, 0, 0, s0
	s_mov_b64 s[18:19], 0
	s_branch .LBB37_4
.LBB37_3:                               ;   in Loop: Header=BB37_4 Depth=1
	s_or_b32 exec_lo, exec_lo, s0
	s_add_u32 s18, s18, s20
	s_addc_u32 s19, s19, 0
	v_cmp_lt_i64_e64 s0, s[18:19], s[14:15]
	s_and_b32 vcc_lo, exec_lo, s0
	s_cbranch_vccz .LBB37_20
.LBB37_4:                               ; =>This Inner Loop Header: Depth=1
	s_waitcnt vmcnt(0)
	v_add_co_u32 v24, s0, v0, s18
	v_add_co_ci_u32_e64 v25, null, 0, s19, s0
	v_cmp_gt_u64_e32 vcc_lo, s[16:17], v[24:25]
	v_mov_b32_e32 v25, 0
	s_and_saveexec_b32 s1, vcc_lo
	s_cbranch_execz .LBB37_6
; %bb.5:                                ;   in Loop: Header=BB37_4 Depth=1
	v_add_co_u32 v24, s0, v1, s18
	v_add_co_ci_u32_e64 v25, null, s19, v2, s0
	global_load_ubyte v25, v[24:25], off
.LBB37_6:                               ;   in Loop: Header=BB37_4 Depth=1
	s_or_b32 exec_lo, exec_lo, s1
	v_add_co_u32 v26, s0, v22, s18
	v_add_co_ci_u32_e64 v27, null, s19, v23, s0
	v_mov_b32_e32 v24, 0
	v_cmp_gt_u64_e64 s0, s[16:17], v[26:27]
	v_mov_b32_e32 v26, 0
	s_and_saveexec_b32 s2, s0
	s_cbranch_execz .LBB37_8
; %bb.7:                                ;   in Loop: Header=BB37_4 Depth=1
	v_add_co_u32 v26, s1, v18, s18
	v_add_co_ci_u32_e64 v27, null, s19, v19, s1
	global_load_ubyte v26, v[26:27], off
.LBB37_8:                               ;   in Loop: Header=BB37_4 Depth=1
	s_or_b32 exec_lo, exec_lo, s2
	v_add_co_u32 v27, s1, v16, s18
	v_add_co_ci_u32_e64 v28, null, s19, v17, s1
	v_cmp_gt_u64_e64 s1, s[16:17], v[27:28]
	s_and_saveexec_b32 s3, s1
	s_cbranch_execz .LBB37_10
; %bb.9:                                ;   in Loop: Header=BB37_4 Depth=1
	v_add_co_u32 v27, s2, v12, s18
	v_add_co_ci_u32_e64 v28, null, s19, v13, s2
	global_load_ubyte v24, v[27:28], off
.LBB37_10:                              ;   in Loop: Header=BB37_4 Depth=1
	s_or_b32 exec_lo, exec_lo, s3
	v_add_co_u32 v27, s2, v10, s18
	v_add_co_ci_u32_e64 v28, null, s19, v11, s2
	v_cmp_gt_u64_e64 s2, s[16:17], v[27:28]
	v_mov_b32_e32 v27, 0
	s_and_saveexec_b32 s21, s2
	s_cbranch_execnz .LBB37_15
; %bb.11:                               ;   in Loop: Header=BB37_4 Depth=1
	s_or_b32 exec_lo, exec_lo, s21
	s_and_saveexec_b32 s3, vcc_lo
	s_cbranch_execnz .LBB37_16
.LBB37_12:                              ;   in Loop: Header=BB37_4 Depth=1
	s_or_b32 exec_lo, exec_lo, s3
	s_and_saveexec_b32 s3, s0
	s_cbranch_execnz .LBB37_17
.LBB37_13:                              ;   in Loop: Header=BB37_4 Depth=1
	s_or_b32 exec_lo, exec_lo, s3
	s_and_saveexec_b32 s0, s1
	s_cbranch_execnz .LBB37_18
.LBB37_14:                              ;   in Loop: Header=BB37_4 Depth=1
	s_or_b32 exec_lo, exec_lo, s0
	s_and_saveexec_b32 s0, s2
	s_cbranch_execz .LBB37_3
	s_branch .LBB37_19
.LBB37_15:                              ;   in Loop: Header=BB37_4 Depth=1
	v_add_co_u32 v27, s3, v6, s18
	v_add_co_ci_u32_e64 v28, null, s19, v7, s3
	global_load_ubyte v27, v[27:28], off
	s_or_b32 exec_lo, exec_lo, s21
	s_and_saveexec_b32 s3, vcc_lo
	s_cbranch_execz .LBB37_12
.LBB37_16:                              ;   in Loop: Header=BB37_4 Depth=1
	v_add_co_u32 v28, vcc_lo, v3, s18
	s_waitcnt vmcnt(0)
	v_mul_lo_u16 v25, v25, v4
	v_add_co_ci_u32_e64 v29, null, s19, v5, vcc_lo
	global_store_byte v[28:29], v25, off
	s_or_b32 exec_lo, exec_lo, s3
	s_and_saveexec_b32 s3, s0
	s_cbranch_execz .LBB37_13
.LBB37_17:                              ;   in Loop: Header=BB37_4 Depth=1
	s_waitcnt vmcnt(0)
	v_add_co_u32 v25, vcc_lo, v20, s18
	v_mul_lo_u16 v28, v26, v4
	v_add_co_ci_u32_e64 v26, null, s19, v21, vcc_lo
	global_store_byte v[25:26], v28, off
	s_or_b32 exec_lo, exec_lo, s3
	s_and_saveexec_b32 s0, s1
	s_cbranch_execz .LBB37_14
.LBB37_18:                              ;   in Loop: Header=BB37_4 Depth=1
	s_waitcnt vmcnt(0)
	v_mul_lo_u16 v26, v24, v4
	v_add_co_u32 v24, vcc_lo, v14, s18
	v_add_co_ci_u32_e64 v25, null, s19, v15, vcc_lo
	global_store_byte v[24:25], v26, off
	s_or_b32 exec_lo, exec_lo, s0
	s_and_saveexec_b32 s0, s2
	s_cbranch_execz .LBB37_3
.LBB37_19:                              ;   in Loop: Header=BB37_4 Depth=1
	s_waitcnt vmcnt(0)
	v_add_co_u32 v24, vcc_lo, v8, s18
	v_mul_lo_u16 v26, v27, v4
	v_add_co_ci_u32_e64 v25, null, s19, v9, vcc_lo
	global_store_byte v[24:25], v26, off
	s_branch .LBB37_3
.LBB37_20:
	s_mov_b32 s0, 0
.LBB37_21:
	s_andn2_b32 vcc_lo, exec_lo, s0
	s_cbranch_vccnz .LBB37_25
; %bb.22:
	v_cmp_gt_i64_e64 s0, 0x10000, s[12:13]
	v_mov_b32_e32 v3, 0
	v_lshlrev_b32_e32 v2, 2, v0
	s_mov_b32 s1, 0
	s_and_b32 s0, s0, exec_lo
	s_cselect_b32 s3, s13, 0
	s_cselect_b32 s2, s12, 0x10000
	s_mov_b32 s0, exec_lo
	v_cmpx_gt_i64_e64 s[2:3], v[2:3]
	s_cbranch_execz .LBB37_25
; %bb.23:
	s_load_dword s0, s[4:5], 0xc94
	v_add_co_u32 v2, s4, s10, v2
	v_mov_b32_e32 v1, v3
	v_add_co_ci_u32_e64 v3, null, s11, 0, s4
	s_waitcnt lgkmcnt(0)
	s_and_b32 s4, s0, 0xffff
	s_lshl_b32 s5, s4, 2
	s_inst_prefetch 0x1
	.p2align	6
.LBB37_24:                              ; =>This Inner Loop Header: Depth=1
	v_add_co_u32 v5, vcc_lo, s6, v2
	v_add_co_ci_u32_e64 v6, null, s7, v3, vcc_lo
	v_add_co_u32 v0, vcc_lo, v0, s4
	v_add_co_ci_u32_e64 v1, null, 0, v1, vcc_lo
	global_load_dword v6, v[5:6], off
	v_add_co_u32 v5, vcc_lo, s8, v2
	v_lshlrev_b64 v[7:8], 2, v[0:1]
	v_add_co_u32 v2, s0, v2, s5
	s_waitcnt vmcnt(0)
	v_lshrrev_b32_e32 v9, 8, v6
	v_lshrrev_b32_e32 v10, 24, v6
	;; [unrolled: 1-line block ×3, first 2 shown]
	v_mul_lo_u16 v12, v4, v6
	v_add_co_ci_u32_e64 v6, null, s9, v3, vcc_lo
	v_mul_lo_u16 v9, v4, v9
	v_mul_lo_u16 v10, v4, v10
	;; [unrolled: 1-line block ×3, first 2 shown]
	v_cmp_le_i64_e32 vcc_lo, s[2:3], v[7:8]
	v_add_co_ci_u32_e64 v3, null, 0, v3, s0
	v_lshlrev_b16 v9, 8, v9
	v_lshlrev_b16 v10, 8, v10
	s_or_b32 s1, vcc_lo, s1
	v_or_b32_sdwa v9, v12, v9 dst_sel:DWORD dst_unused:UNUSED_PAD src0_sel:BYTE_0 src1_sel:DWORD
	v_or_b32_sdwa v10, v11, v10 dst_sel:WORD_1 dst_unused:UNUSED_PAD src0_sel:BYTE_0 src1_sel:DWORD
	v_or_b32_sdwa v7, v9, v10 dst_sel:DWORD dst_unused:UNUSED_PAD src0_sel:WORD_0 src1_sel:DWORD
	global_store_dword v[5:6], v7, off
	s_andn2_b32 exec_lo, exec_lo, s1
	s_cbranch_execnz .LBB37_24
.LBB37_25:
	s_inst_prefetch 0x2
	s_endpgm
	.section	.rodata,"a",@progbits
	.p2align	6, 0x0
	.amdhsa_kernel _ZN2at6native12_GLOBAL__N_125multi_tensor_apply_kernelINS1_28TensorListScalarListMetadataIaLi2EEENS1_25BinaryOpScalarListFunctorIaLi2ELi1ELi1EEEJSt10multipliesIaEEEEvT_T0_DpT1_
		.amdhsa_group_segment_fixed_size 0
		.amdhsa_private_segment_fixed_size 0
		.amdhsa_kernarg_size 3464
		.amdhsa_user_sgpr_count 6
		.amdhsa_user_sgpr_private_segment_buffer 1
		.amdhsa_user_sgpr_dispatch_ptr 0
		.amdhsa_user_sgpr_queue_ptr 0
		.amdhsa_user_sgpr_kernarg_segment_ptr 1
		.amdhsa_user_sgpr_dispatch_id 0
		.amdhsa_user_sgpr_flat_scratch_init 0
		.amdhsa_user_sgpr_private_segment_size 0
		.amdhsa_wavefront_size32 1
		.amdhsa_uses_dynamic_stack 0
		.amdhsa_system_sgpr_private_segment_wavefront_offset 0
		.amdhsa_system_sgpr_workgroup_id_x 1
		.amdhsa_system_sgpr_workgroup_id_y 0
		.amdhsa_system_sgpr_workgroup_id_z 0
		.amdhsa_system_sgpr_workgroup_info 0
		.amdhsa_system_vgpr_workitem_id 0
		.amdhsa_next_free_vgpr 30
		.amdhsa_next_free_sgpr 22
		.amdhsa_reserve_vcc 1
		.amdhsa_reserve_flat_scratch 0
		.amdhsa_float_round_mode_32 0
		.amdhsa_float_round_mode_16_64 0
		.amdhsa_float_denorm_mode_32 3
		.amdhsa_float_denorm_mode_16_64 3
		.amdhsa_dx10_clamp 1
		.amdhsa_ieee_mode 1
		.amdhsa_fp16_overflow 0
		.amdhsa_workgroup_processor_mode 1
		.amdhsa_memory_ordered 1
		.amdhsa_forward_progress 1
		.amdhsa_shared_vgpr_count 0
		.amdhsa_exception_fp_ieee_invalid_op 0
		.amdhsa_exception_fp_denorm_src 0
		.amdhsa_exception_fp_ieee_div_zero 0
		.amdhsa_exception_fp_ieee_overflow 0
		.amdhsa_exception_fp_ieee_underflow 0
		.amdhsa_exception_fp_ieee_inexact 0
		.amdhsa_exception_int_div_zero 0
	.end_amdhsa_kernel
	.section	.text._ZN2at6native12_GLOBAL__N_125multi_tensor_apply_kernelINS1_28TensorListScalarListMetadataIaLi2EEENS1_25BinaryOpScalarListFunctorIaLi2ELi1ELi1EEEJSt10multipliesIaEEEEvT_T0_DpT1_,"axG",@progbits,_ZN2at6native12_GLOBAL__N_125multi_tensor_apply_kernelINS1_28TensorListScalarListMetadataIaLi2EEENS1_25BinaryOpScalarListFunctorIaLi2ELi1ELi1EEEJSt10multipliesIaEEEEvT_T0_DpT1_,comdat
.Lfunc_end37:
	.size	_ZN2at6native12_GLOBAL__N_125multi_tensor_apply_kernelINS1_28TensorListScalarListMetadataIaLi2EEENS1_25BinaryOpScalarListFunctorIaLi2ELi1ELi1EEEJSt10multipliesIaEEEEvT_T0_DpT1_, .Lfunc_end37-_ZN2at6native12_GLOBAL__N_125multi_tensor_apply_kernelINS1_28TensorListScalarListMetadataIaLi2EEENS1_25BinaryOpScalarListFunctorIaLi2ELi1ELi1EEEJSt10multipliesIaEEEEvT_T0_DpT1_
                                        ; -- End function
	.set _ZN2at6native12_GLOBAL__N_125multi_tensor_apply_kernelINS1_28TensorListScalarListMetadataIaLi2EEENS1_25BinaryOpScalarListFunctorIaLi2ELi1ELi1EEEJSt10multipliesIaEEEEvT_T0_DpT1_.num_vgpr, 30
	.set _ZN2at6native12_GLOBAL__N_125multi_tensor_apply_kernelINS1_28TensorListScalarListMetadataIaLi2EEENS1_25BinaryOpScalarListFunctorIaLi2ELi1ELi1EEEJSt10multipliesIaEEEEvT_T0_DpT1_.num_agpr, 0
	.set _ZN2at6native12_GLOBAL__N_125multi_tensor_apply_kernelINS1_28TensorListScalarListMetadataIaLi2EEENS1_25BinaryOpScalarListFunctorIaLi2ELi1ELi1EEEJSt10multipliesIaEEEEvT_T0_DpT1_.numbered_sgpr, 22
	.set _ZN2at6native12_GLOBAL__N_125multi_tensor_apply_kernelINS1_28TensorListScalarListMetadataIaLi2EEENS1_25BinaryOpScalarListFunctorIaLi2ELi1ELi1EEEJSt10multipliesIaEEEEvT_T0_DpT1_.num_named_barrier, 0
	.set _ZN2at6native12_GLOBAL__N_125multi_tensor_apply_kernelINS1_28TensorListScalarListMetadataIaLi2EEENS1_25BinaryOpScalarListFunctorIaLi2ELi1ELi1EEEJSt10multipliesIaEEEEvT_T0_DpT1_.private_seg_size, 0
	.set _ZN2at6native12_GLOBAL__N_125multi_tensor_apply_kernelINS1_28TensorListScalarListMetadataIaLi2EEENS1_25BinaryOpScalarListFunctorIaLi2ELi1ELi1EEEJSt10multipliesIaEEEEvT_T0_DpT1_.uses_vcc, 1
	.set _ZN2at6native12_GLOBAL__N_125multi_tensor_apply_kernelINS1_28TensorListScalarListMetadataIaLi2EEENS1_25BinaryOpScalarListFunctorIaLi2ELi1ELi1EEEJSt10multipliesIaEEEEvT_T0_DpT1_.uses_flat_scratch, 0
	.set _ZN2at6native12_GLOBAL__N_125multi_tensor_apply_kernelINS1_28TensorListScalarListMetadataIaLi2EEENS1_25BinaryOpScalarListFunctorIaLi2ELi1ELi1EEEJSt10multipliesIaEEEEvT_T0_DpT1_.has_dyn_sized_stack, 0
	.set _ZN2at6native12_GLOBAL__N_125multi_tensor_apply_kernelINS1_28TensorListScalarListMetadataIaLi2EEENS1_25BinaryOpScalarListFunctorIaLi2ELi1ELi1EEEJSt10multipliesIaEEEEvT_T0_DpT1_.has_recursion, 0
	.set _ZN2at6native12_GLOBAL__N_125multi_tensor_apply_kernelINS1_28TensorListScalarListMetadataIaLi2EEENS1_25BinaryOpScalarListFunctorIaLi2ELi1ELi1EEEJSt10multipliesIaEEEEvT_T0_DpT1_.has_indirect_call, 0
	.section	.AMDGPU.csdata,"",@progbits
; Kernel info:
; codeLenInByte = 1416
; TotalNumSgprs: 24
; NumVgprs: 30
; ScratchSize: 0
; MemoryBound: 0
; FloatMode: 240
; IeeeMode: 1
; LDSByteSize: 0 bytes/workgroup (compile time only)
; SGPRBlocks: 0
; VGPRBlocks: 3
; NumSGPRsForWavesPerEU: 24
; NumVGPRsForWavesPerEU: 30
; Occupancy: 16
; WaveLimiterHint : 0
; COMPUTE_PGM_RSRC2:SCRATCH_EN: 0
; COMPUTE_PGM_RSRC2:USER_SGPR: 6
; COMPUTE_PGM_RSRC2:TRAP_HANDLER: 0
; COMPUTE_PGM_RSRC2:TGID_X_EN: 1
; COMPUTE_PGM_RSRC2:TGID_Y_EN: 0
; COMPUTE_PGM_RSRC2:TGID_Z_EN: 0
; COMPUTE_PGM_RSRC2:TIDIG_COMP_CNT: 0
	.section	.text._ZN2at6native12_GLOBAL__N_125multi_tensor_apply_kernelINS1_28TensorListScalarListMetadataIiLi2EEENS1_25BinaryOpScalarListFunctorIiLi2ELi1ELi1EEEJSt10multipliesIiEEEEvT_T0_DpT1_,"axG",@progbits,_ZN2at6native12_GLOBAL__N_125multi_tensor_apply_kernelINS1_28TensorListScalarListMetadataIiLi2EEENS1_25BinaryOpScalarListFunctorIiLi2ELi1ELi1EEEJSt10multipliesIiEEEEvT_T0_DpT1_,comdat
	.globl	_ZN2at6native12_GLOBAL__N_125multi_tensor_apply_kernelINS1_28TensorListScalarListMetadataIiLi2EEENS1_25BinaryOpScalarListFunctorIiLi2ELi1ELi1EEEJSt10multipliesIiEEEEvT_T0_DpT1_ ; -- Begin function _ZN2at6native12_GLOBAL__N_125multi_tensor_apply_kernelINS1_28TensorListScalarListMetadataIiLi2EEENS1_25BinaryOpScalarListFunctorIiLi2ELi1ELi1EEEJSt10multipliesIiEEEEvT_T0_DpT1_
	.p2align	8
	.type	_ZN2at6native12_GLOBAL__N_125multi_tensor_apply_kernelINS1_28TensorListScalarListMetadataIiLi2EEENS1_25BinaryOpScalarListFunctorIiLi2ELi1ELi1EEEJSt10multipliesIiEEEEvT_T0_DpT1_,@function
_ZN2at6native12_GLOBAL__N_125multi_tensor_apply_kernelINS1_28TensorListScalarListMetadataIiLi2EEENS1_25BinaryOpScalarListFunctorIiLi2ELi1ELi1EEEJSt10multipliesIiEEEEvT_T0_DpT1_: ; @_ZN2at6native12_GLOBAL__N_125multi_tensor_apply_kernelINS1_28TensorListScalarListMetadataIiLi2EEENS1_25BinaryOpScalarListFunctorIiLi2ELi1ELi1EEEJSt10multipliesIiEEEEvT_T0_DpT1_
; %bb.0:
	v_mov_b32_e32 v1, s6
	s_add_u32 s0, s4, s6
	s_mul_hi_u32 s1, s6, 3
	s_mul_i32 s6, s6, 3
	s_addc_u32 s2, s5, 0
	global_load_ubyte v1, v1, s[4:5] offset:1792
	s_add_u32 s0, s0, s6
	s_addc_u32 s1, s2, s1
	s_mov_b32 s15, 0
	s_load_dword s0, s[0:1], 0x840
	s_mov_b32 s17, s15
	s_waitcnt vmcnt(0)
	v_readfirstlane_b32 s1, v1
	v_lshlrev_b32_e32 v1, 2, v1
	s_lshl_b32 s10, s1, 3
	v_sub_co_u32 v1, s1, 0, v1
	v_sub_co_ci_u32_e64 v2, null, 0, 0, s1
	s_waitcnt lgkmcnt(0)
	s_ashr_i32 s1, s0, 31
	s_clause 0x2
	s_load_dwordx2 s[2:3], s[4:5], s10 offset:0x400
	s_load_dwordx2 s[6:7], s[4:5], s10 offset:0x0
	;; [unrolled: 1-line block ×3, first 2 shown]
	s_add_u32 s10, s4, s10
	s_addc_u32 s11, s5, 0
	v_add_co_u32 v1, vcc_lo, s10, v1
	v_add_co_ci_u32_e64 v2, null, s11, v2, vcc_lo
	v_readfirstlane_b32 s10, v1
	v_readfirstlane_b32 s11, v2
	s_load_dword s20, s[10:11], 0x600
	s_lshl_b64 s[10:11], s[0:1], 18
	s_lshl_b64 s[0:1], s[0:1], 16
	s_waitcnt lgkmcnt(0)
	s_add_u32 s12, s6, s10
	s_and_b32 s16, s8, 15
	s_and_b32 s14, s12, 15
	s_sub_u32 s12, s2, s0
	s_subb_u32 s13, s3, s1
	s_and_b32 s0, s2, 3
	s_mov_b32 s1, s15
	s_or_b64 s[0:1], s[16:17], s[0:1]
	s_or_b64 s[0:1], s[0:1], s[14:15]
	s_cmp_eq_u64 s[0:1], 0
	s_mov_b32 s0, -1
	s_cbranch_scc1 .LBB38_21
; %bb.1:
	v_cmp_lt_i64_e64 s0, s[12:13], 1
	s_and_b32 vcc_lo, exec_lo, s0
	s_cbranch_vccnz .LBB38_20
; %bb.2:
	s_load_dword s0, s[4:5], 0xd54
	v_cmp_gt_i64_e64 s1, 0x10000, s[12:13]
	v_lshlrev_b32_e32 v9, 2, v0
	v_cmp_gt_u64_e64 s2, 0x10000, s[12:13]
	v_mov_b32_e32 v10, 0
	s_mov_b64 s[18:19], 0
	s_and_b32 s1, s1, exec_lo
	v_add_co_u32 v3, s1, s8, v9
	v_add_co_u32 v1, s3, s6, v9
	s_cselect_b32 s15, s13, 0
	s_cselect_b32 s14, s12, 0x10000
	v_add_co_ci_u32_e64 v4, null, s9, 0, s1
	v_add_co_ci_u32_e64 v2, null, s7, 0, s3
	s_waitcnt lgkmcnt(0)
	s_and_b32 s0, s0, 0xffff
	s_and_b32 s1, s2, exec_lo
	s_cselect_b32 s17, s13, 0
	s_cselect_b32 s16, s12, 0x10000
	s_mul_i32 s2, s0, 3
	s_lshl_b32 s3, s0, 3
	v_mad_u64_u32 v[7:8], null, s0, 12, v[9:10]
	v_add_co_u32 v14, s3, s3, v9
	v_add_co_u32 v9, s2, s2, v0
	v_add_co_ci_u32_e64 v10, null, 0, 0, s2
	v_add_co_u32 v13, s2, v0, s0
	s_lshl_b32 s1, s0, 1
	v_add_co_u32 v5, vcc_lo, s6, v7
	v_lshlrev_b32_e32 v21, 2, v13
	v_add_co_ci_u32_e64 v15, null, 0, 0, s3
	v_add_co_ci_u32_e64 v6, null, s7, v8, vcc_lo
	v_add_co_u32 v7, vcc_lo, s8, v7
	v_add_co_u32 v17, s1, s1, v0
	v_add_co_ci_u32_e64 v8, null, s9, v8, vcc_lo
	v_add_co_u32 v11, vcc_lo, s6, v14
	v_add_co_ci_u32_e64 v18, null, 0, 0, s1
	v_add_co_u32 v19, s1, s6, v21
	v_add_co_ci_u32_e64 v12, null, s7, v15, vcc_lo
	v_add_co_u32 v14, vcc_lo, s8, v14
	v_add_co_ci_u32_e64 v20, null, s7, 0, s1
	v_add_co_u32 v21, s1, s8, v21
	v_add_co_ci_u32_e64 v15, null, s9, v15, vcc_lo
	v_add_co_ci_u32_e64 v16, null, 0, 0, s2
	v_add_co_ci_u32_e64 v22, null, s9, 0, s1
	s_lshl_b32 s21, s0, 2
	s_lshl_b32 s22, s0, 4
	s_branch .LBB38_4
.LBB38_3:                               ;   in Loop: Header=BB38_4 Depth=1
	s_or_b32 exec_lo, exec_lo, s0
	v_add_co_u32 v1, vcc_lo, v1, s22
	v_add_co_ci_u32_e64 v2, null, 0, v2, vcc_lo
	v_add_co_u32 v3, vcc_lo, v3, s22
	v_add_co_ci_u32_e64 v4, null, 0, v4, vcc_lo
	;; [unrolled: 2-line block ×4, first 2 shown]
	v_add_co_u32 v11, vcc_lo, v11, s22
	s_add_u32 s18, s18, s21
	v_add_co_ci_u32_e64 v12, null, 0, v12, vcc_lo
	v_add_co_u32 v14, vcc_lo, v14, s22
	s_addc_u32 s19, s19, 0
	v_add_co_ci_u32_e64 v15, null, 0, v15, vcc_lo
	v_add_co_u32 v19, vcc_lo, v19, s22
	v_cmp_lt_i64_e64 s0, s[18:19], s[14:15]
	v_add_co_ci_u32_e64 v20, null, 0, v20, vcc_lo
	v_add_co_u32 v21, vcc_lo, v21, s22
	v_add_co_ci_u32_e64 v22, null, 0, v22, vcc_lo
	s_and_b32 vcc_lo, exec_lo, s0
	s_cbranch_vccz .LBB38_20
.LBB38_4:                               ; =>This Inner Loop Header: Depth=1
	s_waitcnt vmcnt(0)
	v_add_co_u32 v23, s0, v0, s18
	v_add_co_ci_u32_e64 v24, null, 0, s19, s0
	v_cmp_gt_u64_e32 vcc_lo, s[16:17], v[23:24]
	v_mov_b32_e32 v24, 0
	s_and_saveexec_b32 s1, vcc_lo
	s_cbranch_execz .LBB38_6
; %bb.5:                                ;   in Loop: Header=BB38_4 Depth=1
	v_add_co_u32 v23, s0, v1, s10
	v_add_co_ci_u32_e64 v24, null, s11, v2, s0
	global_load_dword v24, v[23:24], off
.LBB38_6:                               ;   in Loop: Header=BB38_4 Depth=1
	s_or_b32 exec_lo, exec_lo, s1
	v_add_co_u32 v25, s0, v13, s18
	v_add_co_ci_u32_e64 v26, null, s19, v16, s0
	v_mov_b32_e32 v23, 0
	v_cmp_gt_u64_e64 s0, s[16:17], v[25:26]
	v_mov_b32_e32 v25, 0
	s_and_saveexec_b32 s2, s0
	s_cbranch_execz .LBB38_8
; %bb.7:                                ;   in Loop: Header=BB38_4 Depth=1
	v_add_co_u32 v25, s1, v19, s10
	v_add_co_ci_u32_e64 v26, null, s11, v20, s1
	global_load_dword v25, v[25:26], off
.LBB38_8:                               ;   in Loop: Header=BB38_4 Depth=1
	s_or_b32 exec_lo, exec_lo, s2
	v_add_co_u32 v26, s1, v17, s18
	v_add_co_ci_u32_e64 v27, null, s19, v18, s1
	v_cmp_gt_u64_e64 s1, s[16:17], v[26:27]
	s_and_saveexec_b32 s3, s1
	s_cbranch_execz .LBB38_10
; %bb.9:                                ;   in Loop: Header=BB38_4 Depth=1
	v_add_co_u32 v26, s2, v11, s10
	v_add_co_ci_u32_e64 v27, null, s11, v12, s2
	global_load_dword v23, v[26:27], off
.LBB38_10:                              ;   in Loop: Header=BB38_4 Depth=1
	s_or_b32 exec_lo, exec_lo, s3
	v_add_co_u32 v26, s2, v9, s18
	v_add_co_ci_u32_e64 v27, null, s19, v10, s2
	v_cmp_gt_u64_e64 s2, s[16:17], v[26:27]
	v_mov_b32_e32 v26, 0
	s_and_saveexec_b32 s23, s2
	s_cbranch_execnz .LBB38_15
; %bb.11:                               ;   in Loop: Header=BB38_4 Depth=1
	s_or_b32 exec_lo, exec_lo, s23
	s_and_saveexec_b32 s3, vcc_lo
	s_cbranch_execnz .LBB38_16
.LBB38_12:                              ;   in Loop: Header=BB38_4 Depth=1
	s_or_b32 exec_lo, exec_lo, s3
	s_and_saveexec_b32 s3, s0
	s_cbranch_execnz .LBB38_17
.LBB38_13:                              ;   in Loop: Header=BB38_4 Depth=1
	s_or_b32 exec_lo, exec_lo, s3
	s_and_saveexec_b32 s0, s1
	s_cbranch_execnz .LBB38_18
.LBB38_14:                              ;   in Loop: Header=BB38_4 Depth=1
	s_or_b32 exec_lo, exec_lo, s0
	s_and_saveexec_b32 s0, s2
	s_cbranch_execz .LBB38_3
	s_branch .LBB38_19
.LBB38_15:                              ;   in Loop: Header=BB38_4 Depth=1
	v_add_co_u32 v26, s3, v5, s10
	v_add_co_ci_u32_e64 v27, null, s11, v6, s3
	global_load_dword v26, v[26:27], off
	s_or_b32 exec_lo, exec_lo, s23
	s_and_saveexec_b32 s3, vcc_lo
	s_cbranch_execz .LBB38_12
.LBB38_16:                              ;   in Loop: Header=BB38_4 Depth=1
	s_waitcnt vmcnt(0)
	v_mul_lo_u32 v24, v24, s20
	v_add_co_u32 v27, vcc_lo, v3, s10
	v_add_co_ci_u32_e64 v28, null, s11, v4, vcc_lo
	global_store_dword v[27:28], v24, off
	s_or_b32 exec_lo, exec_lo, s3
	s_and_saveexec_b32 s3, s0
	s_cbranch_execz .LBB38_13
.LBB38_17:                              ;   in Loop: Header=BB38_4 Depth=1
	s_waitcnt vmcnt(0)
	v_mul_lo_u32 v27, v25, s20
	v_add_co_u32 v24, vcc_lo, v21, s10
	v_add_co_ci_u32_e64 v25, null, s11, v22, vcc_lo
	global_store_dword v[24:25], v27, off
	s_or_b32 exec_lo, exec_lo, s3
	s_and_saveexec_b32 s0, s1
	s_cbranch_execz .LBB38_14
.LBB38_18:                              ;   in Loop: Header=BB38_4 Depth=1
	s_waitcnt vmcnt(0)
	v_mul_lo_u32 v25, v23, s20
	v_add_co_u32 v23, vcc_lo, v14, s10
	v_add_co_ci_u32_e64 v24, null, s11, v15, vcc_lo
	global_store_dword v[23:24], v25, off
	s_or_b32 exec_lo, exec_lo, s0
	s_and_saveexec_b32 s0, s2
	s_cbranch_execz .LBB38_3
.LBB38_19:                              ;   in Loop: Header=BB38_4 Depth=1
	s_waitcnt vmcnt(0)
	v_mul_lo_u32 v25, v26, s20
	v_add_co_u32 v23, vcc_lo, v7, s10
	v_add_co_ci_u32_e64 v24, null, s11, v8, vcc_lo
	global_store_dword v[23:24], v25, off
	s_branch .LBB38_3
.LBB38_20:
	s_mov_b32 s0, 0
.LBB38_21:
	s_andn2_b32 vcc_lo, exec_lo, s0
	s_cbranch_vccnz .LBB38_25
; %bb.22:
	v_cmp_gt_i64_e64 s0, 0x10000, s[12:13]
	v_mov_b32_e32 v2, 0
	v_lshlrev_b32_e32 v1, 2, v0
	s_mov_b32 s1, 0
	s_and_b32 s0, s0, exec_lo
	s_cselect_b32 s3, s13, 0
	s_cselect_b32 s2, s12, 0x10000
	s_mov_b32 s0, exec_lo
	v_cmpx_gt_i64_e64 s[2:3], v[1:2]
	s_cbranch_execz .LBB38_25
; %bb.23:
	s_load_dword s0, s[4:5], 0xd54
	v_lshlrev_b32_e32 v3, 4, v0
	v_mov_b32_e32 v1, v2
	v_add_co_u32 v2, s4, s10, v3
	v_add_co_ci_u32_e64 v3, null, s11, 0, s4
	s_waitcnt lgkmcnt(0)
	s_and_b32 s4, s0, 0xffff
	s_lshl_b32 s5, s4, 4
	s_inst_prefetch 0x1
	.p2align	6
.LBB38_24:                              ; =>This Inner Loop Header: Depth=1
	v_add_co_u32 v4, vcc_lo, s6, v2
	v_add_co_ci_u32_e64 v5, null, s7, v3, vcc_lo
	v_add_co_u32 v0, vcc_lo, v0, s4
	v_add_co_ci_u32_e64 v1, null, 0, v1, vcc_lo
	global_load_dwordx4 v[4:7], v[4:5], off
	v_add_co_u32 v8, vcc_lo, s8, v2
	v_lshlrev_b64 v[10:11], 2, v[0:1]
	v_add_co_ci_u32_e64 v9, null, s9, v3, vcc_lo
	v_add_co_u32 v2, s0, v2, s5
	v_add_co_ci_u32_e64 v3, null, 0, v3, s0
	v_cmp_le_i64_e32 vcc_lo, s[2:3], v[10:11]
	s_or_b32 s1, vcc_lo, s1
	s_waitcnt vmcnt(0)
	v_mul_lo_u32 v4, v4, s20
	v_mul_lo_u32 v5, v5, s20
	;; [unrolled: 1-line block ×4, first 2 shown]
	global_store_dwordx4 v[8:9], v[4:7], off
	s_andn2_b32 exec_lo, exec_lo, s1
	s_cbranch_execnz .LBB38_24
.LBB38_25:
	s_inst_prefetch 0x2
	s_endpgm
	.section	.rodata,"a",@progbits
	.p2align	6, 0x0
	.amdhsa_kernel _ZN2at6native12_GLOBAL__N_125multi_tensor_apply_kernelINS1_28TensorListScalarListMetadataIiLi2EEENS1_25BinaryOpScalarListFunctorIiLi2ELi1ELi1EEEJSt10multipliesIiEEEEvT_T0_DpT1_
		.amdhsa_group_segment_fixed_size 0
		.amdhsa_private_segment_fixed_size 0
		.amdhsa_kernarg_size 3656
		.amdhsa_user_sgpr_count 6
		.amdhsa_user_sgpr_private_segment_buffer 1
		.amdhsa_user_sgpr_dispatch_ptr 0
		.amdhsa_user_sgpr_queue_ptr 0
		.amdhsa_user_sgpr_kernarg_segment_ptr 1
		.amdhsa_user_sgpr_dispatch_id 0
		.amdhsa_user_sgpr_flat_scratch_init 0
		.amdhsa_user_sgpr_private_segment_size 0
		.amdhsa_wavefront_size32 1
		.amdhsa_uses_dynamic_stack 0
		.amdhsa_system_sgpr_private_segment_wavefront_offset 0
		.amdhsa_system_sgpr_workgroup_id_x 1
		.amdhsa_system_sgpr_workgroup_id_y 0
		.amdhsa_system_sgpr_workgroup_id_z 0
		.amdhsa_system_sgpr_workgroup_info 0
		.amdhsa_system_vgpr_workitem_id 0
		.amdhsa_next_free_vgpr 29
		.amdhsa_next_free_sgpr 24
		.amdhsa_reserve_vcc 1
		.amdhsa_reserve_flat_scratch 0
		.amdhsa_float_round_mode_32 0
		.amdhsa_float_round_mode_16_64 0
		.amdhsa_float_denorm_mode_32 3
		.amdhsa_float_denorm_mode_16_64 3
		.amdhsa_dx10_clamp 1
		.amdhsa_ieee_mode 1
		.amdhsa_fp16_overflow 0
		.amdhsa_workgroup_processor_mode 1
		.amdhsa_memory_ordered 1
		.amdhsa_forward_progress 1
		.amdhsa_shared_vgpr_count 0
		.amdhsa_exception_fp_ieee_invalid_op 0
		.amdhsa_exception_fp_denorm_src 0
		.amdhsa_exception_fp_ieee_div_zero 0
		.amdhsa_exception_fp_ieee_overflow 0
		.amdhsa_exception_fp_ieee_underflow 0
		.amdhsa_exception_fp_ieee_inexact 0
		.amdhsa_exception_int_div_zero 0
	.end_amdhsa_kernel
	.section	.text._ZN2at6native12_GLOBAL__N_125multi_tensor_apply_kernelINS1_28TensorListScalarListMetadataIiLi2EEENS1_25BinaryOpScalarListFunctorIiLi2ELi1ELi1EEEJSt10multipliesIiEEEEvT_T0_DpT1_,"axG",@progbits,_ZN2at6native12_GLOBAL__N_125multi_tensor_apply_kernelINS1_28TensorListScalarListMetadataIiLi2EEENS1_25BinaryOpScalarListFunctorIiLi2ELi1ELi1EEEJSt10multipliesIiEEEEvT_T0_DpT1_,comdat
.Lfunc_end38:
	.size	_ZN2at6native12_GLOBAL__N_125multi_tensor_apply_kernelINS1_28TensorListScalarListMetadataIiLi2EEENS1_25BinaryOpScalarListFunctorIiLi2ELi1ELi1EEEJSt10multipliesIiEEEEvT_T0_DpT1_, .Lfunc_end38-_ZN2at6native12_GLOBAL__N_125multi_tensor_apply_kernelINS1_28TensorListScalarListMetadataIiLi2EEENS1_25BinaryOpScalarListFunctorIiLi2ELi1ELi1EEEJSt10multipliesIiEEEEvT_T0_DpT1_
                                        ; -- End function
	.set _ZN2at6native12_GLOBAL__N_125multi_tensor_apply_kernelINS1_28TensorListScalarListMetadataIiLi2EEENS1_25BinaryOpScalarListFunctorIiLi2ELi1ELi1EEEJSt10multipliesIiEEEEvT_T0_DpT1_.num_vgpr, 29
	.set _ZN2at6native12_GLOBAL__N_125multi_tensor_apply_kernelINS1_28TensorListScalarListMetadataIiLi2EEENS1_25BinaryOpScalarListFunctorIiLi2ELi1ELi1EEEJSt10multipliesIiEEEEvT_T0_DpT1_.num_agpr, 0
	.set _ZN2at6native12_GLOBAL__N_125multi_tensor_apply_kernelINS1_28TensorListScalarListMetadataIiLi2EEENS1_25BinaryOpScalarListFunctorIiLi2ELi1ELi1EEEJSt10multipliesIiEEEEvT_T0_DpT1_.numbered_sgpr, 24
	.set _ZN2at6native12_GLOBAL__N_125multi_tensor_apply_kernelINS1_28TensorListScalarListMetadataIiLi2EEENS1_25BinaryOpScalarListFunctorIiLi2ELi1ELi1EEEJSt10multipliesIiEEEEvT_T0_DpT1_.num_named_barrier, 0
	.set _ZN2at6native12_GLOBAL__N_125multi_tensor_apply_kernelINS1_28TensorListScalarListMetadataIiLi2EEENS1_25BinaryOpScalarListFunctorIiLi2ELi1ELi1EEEJSt10multipliesIiEEEEvT_T0_DpT1_.private_seg_size, 0
	.set _ZN2at6native12_GLOBAL__N_125multi_tensor_apply_kernelINS1_28TensorListScalarListMetadataIiLi2EEENS1_25BinaryOpScalarListFunctorIiLi2ELi1ELi1EEEJSt10multipliesIiEEEEvT_T0_DpT1_.uses_vcc, 1
	.set _ZN2at6native12_GLOBAL__N_125multi_tensor_apply_kernelINS1_28TensorListScalarListMetadataIiLi2EEENS1_25BinaryOpScalarListFunctorIiLi2ELi1ELi1EEEJSt10multipliesIiEEEEvT_T0_DpT1_.uses_flat_scratch, 0
	.set _ZN2at6native12_GLOBAL__N_125multi_tensor_apply_kernelINS1_28TensorListScalarListMetadataIiLi2EEENS1_25BinaryOpScalarListFunctorIiLi2ELi1ELi1EEEJSt10multipliesIiEEEEvT_T0_DpT1_.has_dyn_sized_stack, 0
	.set _ZN2at6native12_GLOBAL__N_125multi_tensor_apply_kernelINS1_28TensorListScalarListMetadataIiLi2EEENS1_25BinaryOpScalarListFunctorIiLi2ELi1ELi1EEEJSt10multipliesIiEEEEvT_T0_DpT1_.has_recursion, 0
	.set _ZN2at6native12_GLOBAL__N_125multi_tensor_apply_kernelINS1_28TensorListScalarListMetadataIiLi2EEENS1_25BinaryOpScalarListFunctorIiLi2ELi1ELi1EEEJSt10multipliesIiEEEEvT_T0_DpT1_.has_indirect_call, 0
	.section	.AMDGPU.csdata,"",@progbits
; Kernel info:
; codeLenInByte = 1492
; TotalNumSgprs: 26
; NumVgprs: 29
; ScratchSize: 0
; MemoryBound: 0
; FloatMode: 240
; IeeeMode: 1
; LDSByteSize: 0 bytes/workgroup (compile time only)
; SGPRBlocks: 0
; VGPRBlocks: 3
; NumSGPRsForWavesPerEU: 26
; NumVGPRsForWavesPerEU: 29
; Occupancy: 16
; WaveLimiterHint : 0
; COMPUTE_PGM_RSRC2:SCRATCH_EN: 0
; COMPUTE_PGM_RSRC2:USER_SGPR: 6
; COMPUTE_PGM_RSRC2:TRAP_HANDLER: 0
; COMPUTE_PGM_RSRC2:TGID_X_EN: 1
; COMPUTE_PGM_RSRC2:TGID_Y_EN: 0
; COMPUTE_PGM_RSRC2:TGID_Z_EN: 0
; COMPUTE_PGM_RSRC2:TIDIG_COMP_CNT: 0
	.section	.text._ZN2at6native12_GLOBAL__N_125multi_tensor_apply_kernelINS1_28TensorListScalarListMetadataIlLi2EEENS1_25BinaryOpScalarListFunctorIlLi2ELi1ELi1EEEJSt10multipliesIlEEEEvT_T0_DpT1_,"axG",@progbits,_ZN2at6native12_GLOBAL__N_125multi_tensor_apply_kernelINS1_28TensorListScalarListMetadataIlLi2EEENS1_25BinaryOpScalarListFunctorIlLi2ELi1ELi1EEEJSt10multipliesIlEEEEvT_T0_DpT1_,comdat
	.globl	_ZN2at6native12_GLOBAL__N_125multi_tensor_apply_kernelINS1_28TensorListScalarListMetadataIlLi2EEENS1_25BinaryOpScalarListFunctorIlLi2ELi1ELi1EEEJSt10multipliesIlEEEEvT_T0_DpT1_ ; -- Begin function _ZN2at6native12_GLOBAL__N_125multi_tensor_apply_kernelINS1_28TensorListScalarListMetadataIlLi2EEENS1_25BinaryOpScalarListFunctorIlLi2ELi1ELi1EEEJSt10multipliesIlEEEEvT_T0_DpT1_
	.p2align	8
	.type	_ZN2at6native12_GLOBAL__N_125multi_tensor_apply_kernelINS1_28TensorListScalarListMetadataIlLi2EEENS1_25BinaryOpScalarListFunctorIlLi2ELi1ELi1EEEJSt10multipliesIlEEEEvT_T0_DpT1_,@function
_ZN2at6native12_GLOBAL__N_125multi_tensor_apply_kernelINS1_28TensorListScalarListMetadataIlLi2EEENS1_25BinaryOpScalarListFunctorIlLi2ELi1ELi1EEEJSt10multipliesIlEEEEvT_T0_DpT1_: ; @_ZN2at6native12_GLOBAL__N_125multi_tensor_apply_kernelINS1_28TensorListScalarListMetadataIlLi2EEENS1_25BinaryOpScalarListFunctorIlLi2ELi1ELi1EEEJSt10multipliesIlEEEEvT_T0_DpT1_
; %bb.0:
	v_mov_b32_e32 v1, 0x800
	s_add_u32 s0, s4, s6
	s_addc_u32 s1, s5, 0
	s_mov_b32 s7, 0
	s_mov_b32 s19, s7
	global_load_ubyte v1, v1, s[0:1]
	s_lshl_b64 s[0:1], s[6:7], 2
	s_add_u32 s0, s4, s0
	s_addc_u32 s1, s5, s1
	s_load_dword s0, s[0:1], 0x940
	s_waitcnt vmcnt(0)
	v_readfirstlane_b32 s1, v1
	s_lshl_b32 s1, s1, 3
	s_clause 0x3
	s_load_dwordx2 s[8:9], s[4:5], s1 offset:0x0
	s_load_dwordx2 s[10:11], s[4:5], s1 offset:0x600
	;; [unrolled: 1-line block ×4, first 2 shown]
	s_waitcnt lgkmcnt(0)
	s_ashr_i32 s1, s0, 31
	s_lshl_b64 s[14:15], s[0:1], 19
	s_lshl_b64 s[0:1], s[0:1], 16
	s_add_u32 s6, s8, s14
	s_and_b32 s18, s12, 31
	s_and_b32 s6, s6, 31
	s_sub_u32 s16, s2, s0
	s_subb_u32 s17, s3, s1
	s_and_b32 s0, s2, 3
	s_mov_b32 s1, s7
	s_or_b64 s[0:1], s[18:19], s[0:1]
	s_or_b64 s[0:1], s[0:1], s[6:7]
	s_cmp_eq_u64 s[0:1], 0
	s_mov_b32 s0, -1
	s_cbranch_scc1 .LBB39_21
; %bb.1:
	v_cmp_lt_i64_e64 s0, s[16:17], 1
	s_and_b32 vcc_lo, exec_lo, s0
	s_cbranch_vccnz .LBB39_20
; %bb.2:
	s_load_dword s0, s[4:5], 0xe54
	v_cmp_gt_i64_e64 s1, 0x10000, s[16:17]
	v_lshlrev_b32_e32 v1, 3, v0
	v_mov_b32_e32 v2, 0
	v_cmp_gt_u64_e64 s2, 0x10000, s[16:17]
	s_mov_b64 s[20:21], 0
	s_and_b32 s1, s1, exec_lo
	s_cselect_b32 s7, s17, 0
	s_cselect_b32 s6, s16, 0x10000
	v_add_co_u32 v11, s1, s12, v1
	v_add_co_u32 v9, s3, s8, v1
	v_add_co_ci_u32_e64 v12, null, s13, 0, s1
	v_add_co_ci_u32_e64 v10, null, s9, 0, s3
	s_waitcnt lgkmcnt(0)
	s_and_b32 s0, s0, 0xffff
	s_and_b32 s1, s2, exec_lo
	v_mad_u64_u32 v[2:3], null, s0, 24, v[1:2]
	s_cselect_b32 s19, s17, 0
	s_cselect_b32 s18, s16, 0x10000
	s_mul_i32 s2, s0, 3
	s_lshl_b32 s3, s0, 4
	v_add_co_u32 v17, s2, s2, v0
	v_add_co_u32 v13, vcc_lo, s8, v2
	v_add_co_u32 v1, s3, s3, v1
	v_add_co_ci_u32_e64 v14, null, s9, v3, vcc_lo
	v_add_co_u32 v15, vcc_lo, s12, v2
	v_add_co_ci_u32_e64 v2, null, 0, 0, s3
	v_add_co_ci_u32_e64 v18, null, 0, 0, s2
	v_add_co_u32 v21, s2, v0, s0
	v_add_co_ci_u32_e64 v16, null, s13, v3, vcc_lo
	v_add_co_u32 v19, vcc_lo, s8, v1
	v_add_co_ci_u32_e64 v20, null, s9, v2, vcc_lo
	v_add_co_u32 v22, vcc_lo, s12, v1
	v_lshlrev_b32_e32 v1, 3, v21
	s_lshl_b32 s1, s0, 1
	v_add_co_ci_u32_e64 v23, null, s13, v2, vcc_lo
	v_add_co_u32 v25, s1, s1, v0
	v_add_co_ci_u32_e64 v26, null, 0, 0, s1
	v_add_co_u32 v27, s1, s8, v1
	v_add_co_ci_u32_e64 v28, null, s9, 0, s1
	;; [unrolled: 2-line block ×3, first 2 shown]
	v_add_co_ci_u32_e64 v30, null, s13, 0, s1
	s_lshl_b32 s22, s0, 2
	s_lshl_b32 s23, s0, 5
	s_branch .LBB39_4
.LBB39_3:                               ;   in Loop: Header=BB39_4 Depth=1
	s_or_b32 exec_lo, exec_lo, s0
	v_add_co_u32 v9, vcc_lo, v9, s23
	v_add_co_ci_u32_e64 v10, null, 0, v10, vcc_lo
	v_add_co_u32 v11, vcc_lo, v11, s23
	v_add_co_ci_u32_e64 v12, null, 0, v12, vcc_lo
	;; [unrolled: 2-line block ×4, first 2 shown]
	v_add_co_u32 v19, vcc_lo, v19, s23
	s_add_u32 s20, s20, s22
	v_add_co_ci_u32_e64 v20, null, 0, v20, vcc_lo
	v_add_co_u32 v22, vcc_lo, v22, s23
	s_addc_u32 s21, s21, 0
	v_add_co_ci_u32_e64 v23, null, 0, v23, vcc_lo
	v_add_co_u32 v27, vcc_lo, v27, s23
	v_cmp_lt_i64_e64 s0, s[20:21], s[6:7]
	v_add_co_ci_u32_e64 v28, null, 0, v28, vcc_lo
	v_add_co_u32 v29, vcc_lo, v29, s23
	v_add_co_ci_u32_e64 v30, null, 0, v30, vcc_lo
	s_and_b32 vcc_lo, exec_lo, s0
	s_cbranch_vccz .LBB39_20
.LBB39_4:                               ; =>This Inner Loop Header: Depth=1
	s_waitcnt vmcnt(0)
	v_add_co_u32 v3, s0, v0, s20
	v_add_co_ci_u32_e64 v4, null, 0, s21, s0
	v_mov_b32_e32 v1, 0
	v_mov_b32_e32 v5, 0
	;; [unrolled: 1-line block ×3, first 2 shown]
	v_cmp_gt_u64_e32 vcc_lo, s[18:19], v[3:4]
	v_mov_b32_e32 v6, 0
	s_and_saveexec_b32 s1, vcc_lo
	s_cbranch_execz .LBB39_6
; %bb.5:                                ;   in Loop: Header=BB39_4 Depth=1
	v_add_co_u32 v3, s0, v9, s14
	v_add_co_ci_u32_e64 v4, null, s15, v10, s0
	global_load_dwordx2 v[5:6], v[3:4], off
.LBB39_6:                               ;   in Loop: Header=BB39_4 Depth=1
	s_or_b32 exec_lo, exec_lo, s1
	v_add_co_u32 v3, s0, v21, s20
	v_add_co_ci_u32_e64 v4, null, s21, v24, s0
	v_cmp_gt_u64_e64 s0, s[18:19], v[3:4]
	s_and_saveexec_b32 s2, s0
	s_cbranch_execz .LBB39_8
; %bb.7:                                ;   in Loop: Header=BB39_4 Depth=1
	v_add_co_u32 v1, s1, v27, s14
	v_add_co_ci_u32_e64 v2, null, s15, v28, s1
	global_load_dwordx2 v[1:2], v[1:2], off
.LBB39_8:                               ;   in Loop: Header=BB39_4 Depth=1
	s_or_b32 exec_lo, exec_lo, s2
	v_add_co_u32 v7, s1, v25, s20
	v_add_co_ci_u32_e64 v8, null, s21, v26, s1
	v_mov_b32_e32 v3, 0
	v_mov_b32_e32 v4, 0
	v_cmp_gt_u64_e64 s1, s[18:19], v[7:8]
	v_mov_b32_e32 v7, 0
	v_mov_b32_e32 v8, 0
	s_and_saveexec_b32 s3, s1
	s_cbranch_execz .LBB39_10
; %bb.9:                                ;   in Loop: Header=BB39_4 Depth=1
	v_add_co_u32 v7, s2, v19, s14
	v_add_co_ci_u32_e64 v8, null, s15, v20, s2
	global_load_dwordx2 v[7:8], v[7:8], off
.LBB39_10:                              ;   in Loop: Header=BB39_4 Depth=1
	s_or_b32 exec_lo, exec_lo, s3
	v_add_co_u32 v31, s2, v17, s20
	v_add_co_ci_u32_e64 v32, null, s21, v18, s2
	v_cmp_gt_u64_e64 s2, s[18:19], v[31:32]
	s_and_saveexec_b32 s24, s2
	s_cbranch_execnz .LBB39_15
; %bb.11:                               ;   in Loop: Header=BB39_4 Depth=1
	s_or_b32 exec_lo, exec_lo, s24
	s_and_saveexec_b32 s3, vcc_lo
	s_cbranch_execnz .LBB39_16
.LBB39_12:                              ;   in Loop: Header=BB39_4 Depth=1
	s_or_b32 exec_lo, exec_lo, s3
	s_and_saveexec_b32 s3, s0
	s_cbranch_execnz .LBB39_17
.LBB39_13:                              ;   in Loop: Header=BB39_4 Depth=1
	s_or_b32 exec_lo, exec_lo, s3
	s_and_saveexec_b32 s0, s1
	s_cbranch_execnz .LBB39_18
.LBB39_14:                              ;   in Loop: Header=BB39_4 Depth=1
	s_or_b32 exec_lo, exec_lo, s0
	s_and_saveexec_b32 s0, s2
	s_cbranch_execz .LBB39_3
	s_branch .LBB39_19
.LBB39_15:                              ;   in Loop: Header=BB39_4 Depth=1
	v_add_co_u32 v3, s3, v13, s14
	v_add_co_ci_u32_e64 v4, null, s15, v14, s3
	global_load_dwordx2 v[3:4], v[3:4], off
	s_or_b32 exec_lo, exec_lo, s24
	s_and_saveexec_b32 s3, vcc_lo
	s_cbranch_execz .LBB39_12
.LBB39_16:                              ;   in Loop: Header=BB39_4 Depth=1
	s_waitcnt vmcnt(0)
	v_mul_lo_u32 v33, v6, s10
	v_mul_lo_u32 v34, v5, s11
	v_mad_u64_u32 v[5:6], null, v5, s10, 0
	v_add_co_u32 v31, vcc_lo, v11, s14
	v_add_co_ci_u32_e64 v32, null, s15, v12, vcc_lo
	v_add3_u32 v6, v6, v34, v33
	global_store_dwordx2 v[31:32], v[5:6], off
	s_or_b32 exec_lo, exec_lo, s3
	s_and_saveexec_b32 s3, s0
	s_cbranch_execz .LBB39_13
.LBB39_17:                              ;   in Loop: Header=BB39_4 Depth=1
	s_waitcnt vmcnt(0)
	v_mul_lo_u32 v5, v2, s10
	v_mul_lo_u32 v6, v1, s11
	v_mad_u64_u32 v[1:2], null, v1, s10, 0
	v_add3_u32 v2, v2, v6, v5
	v_add_co_u32 v5, vcc_lo, v29, s14
	v_add_co_ci_u32_e64 v6, null, s15, v30, vcc_lo
	global_store_dwordx2 v[5:6], v[1:2], off
	s_or_b32 exec_lo, exec_lo, s3
	s_and_saveexec_b32 s0, s1
	s_cbranch_execz .LBB39_14
.LBB39_18:                              ;   in Loop: Header=BB39_4 Depth=1
	s_waitcnt vmcnt(0)
	v_mul_lo_u32 v5, v8, s10
	v_mul_lo_u32 v6, v7, s11
	v_mad_u64_u32 v[1:2], null, v7, s10, 0
	v_add3_u32 v2, v2, v6, v5
	v_add_co_u32 v5, vcc_lo, v22, s14
	v_add_co_ci_u32_e64 v6, null, s15, v23, vcc_lo
	global_store_dwordx2 v[5:6], v[1:2], off
	s_or_b32 exec_lo, exec_lo, s0
	s_and_saveexec_b32 s0, s2
	s_cbranch_execz .LBB39_3
.LBB39_19:                              ;   in Loop: Header=BB39_4 Depth=1
	s_waitcnt vmcnt(0)
	v_mul_lo_u32 v4, v4, s10
	v_mul_lo_u32 v5, v3, s11
	v_mad_u64_u32 v[1:2], null, v3, s10, 0
	v_add_co_u32 v3, vcc_lo, v15, s14
	v_add3_u32 v2, v2, v5, v4
	v_add_co_ci_u32_e64 v4, null, s15, v16, vcc_lo
	global_store_dwordx2 v[3:4], v[1:2], off
	s_branch .LBB39_3
.LBB39_20:
	s_mov_b32 s0, 0
.LBB39_21:
	s_andn2_b32 vcc_lo, exec_lo, s0
	s_cbranch_vccnz .LBB39_25
; %bb.22:
	v_cmp_gt_i64_e64 s0, 0x10000, s[16:17]
	s_waitcnt vmcnt(0)
	v_mov_b32_e32 v2, 0
	v_lshlrev_b32_e32 v1, 2, v0
	s_mov_b32 s1, 0
	s_and_b32 s0, s0, exec_lo
	s_cselect_b32 s3, s17, 0
	s_cselect_b32 s2, s16, 0x10000
	s_mov_b32 s0, exec_lo
	v_cmpx_gt_i64_e64 s[2:3], v[1:2]
	s_cbranch_execz .LBB39_25
; %bb.23:
	s_load_dword s0, s[4:5], 0xe54
	v_lshlrev_b32_e32 v3, 5, v0
	v_mov_b32_e32 v1, v2
	v_add_co_u32 v2, s4, s14, v3
	v_add_co_ci_u32_e64 v3, null, s15, 0, s4
	s_waitcnt lgkmcnt(0)
	s_and_b32 s4, s0, 0xffff
	s_lshl_b32 s5, s4, 5
.LBB39_24:                              ; =>This Inner Loop Header: Depth=1
	v_add_co_u32 v8, vcc_lo, s8, v2
	v_add_co_ci_u32_e64 v9, null, s9, v3, vcc_lo
	v_add_co_u32 v0, vcc_lo, v0, s4
	v_add_co_ci_u32_e64 v1, null, 0, v1, vcc_lo
	s_clause 0x1
	global_load_dwordx4 v[4:7], v[8:9], off
	global_load_dwordx4 v[8:11], v[8:9], off offset:16
	v_add_co_u32 v12, vcc_lo, s12, v2
	v_lshlrev_b64 v[14:15], 2, v[0:1]
	v_add_co_ci_u32_e64 v13, null, s13, v3, vcc_lo
	v_add_co_u32 v2, vcc_lo, v2, s5
	v_add_co_ci_u32_e64 v3, null, 0, v3, vcc_lo
	v_cmp_le_i64_e64 s0, s[2:3], v[14:15]
	s_or_b32 s1, s0, s1
	s_waitcnt vmcnt(1)
	v_mul_lo_u32 v16, v5, s10
	v_mul_lo_u32 v17, v4, s11
	v_mad_u64_u32 v[4:5], null, v4, s10, 0
	v_mul_lo_u32 v18, v7, s10
	v_mul_lo_u32 v19, v6, s11
	v_mad_u64_u32 v[6:7], null, v6, s10, 0
	s_waitcnt vmcnt(0)
	v_mul_lo_u32 v20, v9, s10
	v_mul_lo_u32 v21, v8, s11
	v_mad_u64_u32 v[8:9], null, v8, s10, 0
	v_mul_lo_u32 v22, v11, s10
	v_mul_lo_u32 v23, v10, s11
	v_mad_u64_u32 v[10:11], null, v10, s10, 0
	v_add3_u32 v5, v5, v17, v16
	v_add3_u32 v7, v7, v19, v18
	;; [unrolled: 1-line block ×4, first 2 shown]
	global_store_dwordx4 v[12:13], v[4:7], off
	global_store_dwordx4 v[12:13], v[8:11], off offset:16
	s_andn2_b32 exec_lo, exec_lo, s1
	s_cbranch_execnz .LBB39_24
.LBB39_25:
	s_endpgm
	.section	.rodata,"a",@progbits
	.p2align	6, 0x0
	.amdhsa_kernel _ZN2at6native12_GLOBAL__N_125multi_tensor_apply_kernelINS1_28TensorListScalarListMetadataIlLi2EEENS1_25BinaryOpScalarListFunctorIlLi2ELi1ELi1EEEJSt10multipliesIlEEEEvT_T0_DpT1_
		.amdhsa_group_segment_fixed_size 0
		.amdhsa_private_segment_fixed_size 0
		.amdhsa_kernarg_size 3912
		.amdhsa_user_sgpr_count 6
		.amdhsa_user_sgpr_private_segment_buffer 1
		.amdhsa_user_sgpr_dispatch_ptr 0
		.amdhsa_user_sgpr_queue_ptr 0
		.amdhsa_user_sgpr_kernarg_segment_ptr 1
		.amdhsa_user_sgpr_dispatch_id 0
		.amdhsa_user_sgpr_flat_scratch_init 0
		.amdhsa_user_sgpr_private_segment_size 0
		.amdhsa_wavefront_size32 1
		.amdhsa_uses_dynamic_stack 0
		.amdhsa_system_sgpr_private_segment_wavefront_offset 0
		.amdhsa_system_sgpr_workgroup_id_x 1
		.amdhsa_system_sgpr_workgroup_id_y 0
		.amdhsa_system_sgpr_workgroup_id_z 0
		.amdhsa_system_sgpr_workgroup_info 0
		.amdhsa_system_vgpr_workitem_id 0
		.amdhsa_next_free_vgpr 35
		.amdhsa_next_free_sgpr 25
		.amdhsa_reserve_vcc 1
		.amdhsa_reserve_flat_scratch 0
		.amdhsa_float_round_mode_32 0
		.amdhsa_float_round_mode_16_64 0
		.amdhsa_float_denorm_mode_32 3
		.amdhsa_float_denorm_mode_16_64 3
		.amdhsa_dx10_clamp 1
		.amdhsa_ieee_mode 1
		.amdhsa_fp16_overflow 0
		.amdhsa_workgroup_processor_mode 1
		.amdhsa_memory_ordered 1
		.amdhsa_forward_progress 1
		.amdhsa_shared_vgpr_count 0
		.amdhsa_exception_fp_ieee_invalid_op 0
		.amdhsa_exception_fp_denorm_src 0
		.amdhsa_exception_fp_ieee_div_zero 0
		.amdhsa_exception_fp_ieee_overflow 0
		.amdhsa_exception_fp_ieee_underflow 0
		.amdhsa_exception_fp_ieee_inexact 0
		.amdhsa_exception_int_div_zero 0
	.end_amdhsa_kernel
	.section	.text._ZN2at6native12_GLOBAL__N_125multi_tensor_apply_kernelINS1_28TensorListScalarListMetadataIlLi2EEENS1_25BinaryOpScalarListFunctorIlLi2ELi1ELi1EEEJSt10multipliesIlEEEEvT_T0_DpT1_,"axG",@progbits,_ZN2at6native12_GLOBAL__N_125multi_tensor_apply_kernelINS1_28TensorListScalarListMetadataIlLi2EEENS1_25BinaryOpScalarListFunctorIlLi2ELi1ELi1EEEJSt10multipliesIlEEEEvT_T0_DpT1_,comdat
.Lfunc_end39:
	.size	_ZN2at6native12_GLOBAL__N_125multi_tensor_apply_kernelINS1_28TensorListScalarListMetadataIlLi2EEENS1_25BinaryOpScalarListFunctorIlLi2ELi1ELi1EEEJSt10multipliesIlEEEEvT_T0_DpT1_, .Lfunc_end39-_ZN2at6native12_GLOBAL__N_125multi_tensor_apply_kernelINS1_28TensorListScalarListMetadataIlLi2EEENS1_25BinaryOpScalarListFunctorIlLi2ELi1ELi1EEEJSt10multipliesIlEEEEvT_T0_DpT1_
                                        ; -- End function
	.set _ZN2at6native12_GLOBAL__N_125multi_tensor_apply_kernelINS1_28TensorListScalarListMetadataIlLi2EEENS1_25BinaryOpScalarListFunctorIlLi2ELi1ELi1EEEJSt10multipliesIlEEEEvT_T0_DpT1_.num_vgpr, 35
	.set _ZN2at6native12_GLOBAL__N_125multi_tensor_apply_kernelINS1_28TensorListScalarListMetadataIlLi2EEENS1_25BinaryOpScalarListFunctorIlLi2ELi1ELi1EEEJSt10multipliesIlEEEEvT_T0_DpT1_.num_agpr, 0
	.set _ZN2at6native12_GLOBAL__N_125multi_tensor_apply_kernelINS1_28TensorListScalarListMetadataIlLi2EEENS1_25BinaryOpScalarListFunctorIlLi2ELi1ELi1EEEJSt10multipliesIlEEEEvT_T0_DpT1_.numbered_sgpr, 25
	.set _ZN2at6native12_GLOBAL__N_125multi_tensor_apply_kernelINS1_28TensorListScalarListMetadataIlLi2EEENS1_25BinaryOpScalarListFunctorIlLi2ELi1ELi1EEEJSt10multipliesIlEEEEvT_T0_DpT1_.num_named_barrier, 0
	.set _ZN2at6native12_GLOBAL__N_125multi_tensor_apply_kernelINS1_28TensorListScalarListMetadataIlLi2EEENS1_25BinaryOpScalarListFunctorIlLi2ELi1ELi1EEEJSt10multipliesIlEEEEvT_T0_DpT1_.private_seg_size, 0
	.set _ZN2at6native12_GLOBAL__N_125multi_tensor_apply_kernelINS1_28TensorListScalarListMetadataIlLi2EEENS1_25BinaryOpScalarListFunctorIlLi2ELi1ELi1EEEJSt10multipliesIlEEEEvT_T0_DpT1_.uses_vcc, 1
	.set _ZN2at6native12_GLOBAL__N_125multi_tensor_apply_kernelINS1_28TensorListScalarListMetadataIlLi2EEENS1_25BinaryOpScalarListFunctorIlLi2ELi1ELi1EEEJSt10multipliesIlEEEEvT_T0_DpT1_.uses_flat_scratch, 0
	.set _ZN2at6native12_GLOBAL__N_125multi_tensor_apply_kernelINS1_28TensorListScalarListMetadataIlLi2EEENS1_25BinaryOpScalarListFunctorIlLi2ELi1ELi1EEEJSt10multipliesIlEEEEvT_T0_DpT1_.has_dyn_sized_stack, 0
	.set _ZN2at6native12_GLOBAL__N_125multi_tensor_apply_kernelINS1_28TensorListScalarListMetadataIlLi2EEENS1_25BinaryOpScalarListFunctorIlLi2ELi1ELi1EEEJSt10multipliesIlEEEEvT_T0_DpT1_.has_recursion, 0
	.set _ZN2at6native12_GLOBAL__N_125multi_tensor_apply_kernelINS1_28TensorListScalarListMetadataIlLi2EEENS1_25BinaryOpScalarListFunctorIlLi2ELi1ELi1EEEJSt10multipliesIlEEEEvT_T0_DpT1_.has_indirect_call, 0
	.section	.AMDGPU.csdata,"",@progbits
; Kernel info:
; codeLenInByte = 1652
; TotalNumSgprs: 27
; NumVgprs: 35
; ScratchSize: 0
; MemoryBound: 0
; FloatMode: 240
; IeeeMode: 1
; LDSByteSize: 0 bytes/workgroup (compile time only)
; SGPRBlocks: 0
; VGPRBlocks: 4
; NumSGPRsForWavesPerEU: 27
; NumVGPRsForWavesPerEU: 35
; Occupancy: 16
; WaveLimiterHint : 1
; COMPUTE_PGM_RSRC2:SCRATCH_EN: 0
; COMPUTE_PGM_RSRC2:USER_SGPR: 6
; COMPUTE_PGM_RSRC2:TRAP_HANDLER: 0
; COMPUTE_PGM_RSRC2:TGID_X_EN: 1
; COMPUTE_PGM_RSRC2:TGID_Y_EN: 0
; COMPUTE_PGM_RSRC2:TGID_Z_EN: 0
; COMPUTE_PGM_RSRC2:TIDIG_COMP_CNT: 0
	.section	.text._ZN2at6native12_GLOBAL__N_125multi_tensor_apply_kernelINS1_28TensorListScalarListMetadataIsLi2EEENS1_25BinaryOpScalarListFunctorIsLi2ELi1ELi1EEEJSt10multipliesIsEEEEvT_T0_DpT1_,"axG",@progbits,_ZN2at6native12_GLOBAL__N_125multi_tensor_apply_kernelINS1_28TensorListScalarListMetadataIsLi2EEENS1_25BinaryOpScalarListFunctorIsLi2ELi1ELi1EEEJSt10multipliesIsEEEEvT_T0_DpT1_,comdat
	.globl	_ZN2at6native12_GLOBAL__N_125multi_tensor_apply_kernelINS1_28TensorListScalarListMetadataIsLi2EEENS1_25BinaryOpScalarListFunctorIsLi2ELi1ELi1EEEJSt10multipliesIsEEEEvT_T0_DpT1_ ; -- Begin function _ZN2at6native12_GLOBAL__N_125multi_tensor_apply_kernelINS1_28TensorListScalarListMetadataIsLi2EEENS1_25BinaryOpScalarListFunctorIsLi2ELi1ELi1EEEJSt10multipliesIsEEEEvT_T0_DpT1_
	.p2align	8
	.type	_ZN2at6native12_GLOBAL__N_125multi_tensor_apply_kernelINS1_28TensorListScalarListMetadataIsLi2EEENS1_25BinaryOpScalarListFunctorIsLi2ELi1ELi1EEEJSt10multipliesIsEEEEvT_T0_DpT1_,@function
_ZN2at6native12_GLOBAL__N_125multi_tensor_apply_kernelINS1_28TensorListScalarListMetadataIsLi2EEENS1_25BinaryOpScalarListFunctorIsLi2ELi1ELi1EEEJSt10multipliesIsEEEEvT_T0_DpT1_: ; @_ZN2at6native12_GLOBAL__N_125multi_tensor_apply_kernelINS1_28TensorListScalarListMetadataIsLi2EEENS1_25BinaryOpScalarListFunctorIsLi2ELi1ELi1EEEJSt10multipliesIsEEEEvT_T0_DpT1_
; %bb.0:
	v_mov_b32_e32 v1, s6
	s_add_u32 s0, s4, s6
	s_mul_hi_u32 s1, s6, 3
	s_mul_i32 s6, s6, 3
	s_addc_u32 s2, s5, 0
	global_load_ubyte v1, v1, s[4:5] offset:1664
	s_add_u32 s0, s0, s6
	s_addc_u32 s1, s2, s1
	s_mov_b32 s15, 0
	s_load_dword s0, s[0:1], 0x7c0
	s_mov_b32 s17, s15
	s_waitcnt vmcnt(0)
	v_readfirstlane_b32 s1, v1
	v_mul_lo_u32 v2, v1, -6
	v_mul_hi_i32 v3, v1, -6
	s_lshl_b32 s8, s1, 3
	s_waitcnt lgkmcnt(0)
	s_ashr_i32 s1, s0, 31
	s_add_u32 s6, s4, s8
	s_addc_u32 s7, s5, 0
	v_add_co_u32 v1, vcc_lo, s6, v2
	v_add_co_ci_u32_e64 v2, null, s7, v3, vcc_lo
	s_load_dwordx2 s[2:3], s[4:5], s8 offset:0x400
	s_lshl_b64 s[10:11], s[0:1], 17
	s_lshl_b64 s[0:1], s[0:1], 16
	global_load_ushort v3, v[1:2], off offset:1536
	s_clause 0x1
	s_load_dwordx2 s[6:7], s[4:5], s8 offset:0x0
	s_load_dwordx2 s[8:9], s[4:5], s8 offset:0x200
	s_waitcnt lgkmcnt(0)
	s_add_u32 s12, s6, s10
	s_and_b32 s16, s8, 7
	s_and_b32 s14, s12, 7
	s_sub_u32 s12, s2, s0
	s_subb_u32 s13, s3, s1
	s_and_b32 s0, s2, 3
	s_mov_b32 s1, s15
	s_or_b64 s[0:1], s[16:17], s[0:1]
	s_or_b64 s[0:1], s[0:1], s[14:15]
	s_cmp_eq_u64 s[0:1], 0
	s_mov_b32 s0, -1
	s_cbranch_scc1 .LBB40_21
; %bb.1:
	v_cmp_lt_i64_e64 s0, s[12:13], 1
	s_and_b32 vcc_lo, exec_lo, s0
	s_cbranch_vccnz .LBB40_20
; %bb.2:
	s_load_dword s0, s[4:5], 0xcd4
	v_cmp_gt_i64_e64 s1, 0x10000, s[12:13]
	v_lshlrev_b32_e32 v10, 1, v0
	v_cmp_gt_u64_e64 s2, 0x10000, s[12:13]
	v_mov_b32_e32 v11, 0
	s_mov_b64 s[18:19], 0
	s_and_b32 s1, s1, exec_lo
	v_add_co_u32 v1, s3, s6, v10
	s_cselect_b32 s15, s13, 0
	s_cselect_b32 s14, s12, 0x10000
	v_add_co_ci_u32_e64 v2, null, s7, 0, s3
	v_add_co_u32 v4, s3, s8, v10
	v_add_co_ci_u32_e64 v5, null, s9, 0, s3
	s_waitcnt lgkmcnt(0)
	s_and_b32 s0, s0, 0xffff
	s_and_b32 s1, s2, exec_lo
	s_cselect_b32 s17, s13, 0
	s_cselect_b32 s16, s12, 0x10000
	s_mul_i32 s2, s0, 3
	s_lshl_b32 s20, s0, 2
	v_mad_u64_u32 v[8:9], null, s0, 6, v[10:11]
	v_add_co_u32 v15, s3, s20, v10
	v_add_co_u32 v10, s2, s2, v0
	v_add_co_ci_u32_e64 v11, null, 0, 0, s2
	v_add_co_u32 v14, s2, v0, s0
	s_lshl_b32 s1, s0, 1
	v_add_co_u32 v6, vcc_lo, s6, v8
	v_lshlrev_b32_e32 v22, 1, v14
	v_add_co_ci_u32_e64 v16, null, 0, 0, s3
	v_add_co_ci_u32_e64 v7, null, s7, v9, vcc_lo
	v_add_co_u32 v8, vcc_lo, s8, v8
	v_add_co_u32 v18, s1, s1, v0
	v_add_co_ci_u32_e64 v9, null, s9, v9, vcc_lo
	v_add_co_u32 v12, vcc_lo, s6, v15
	v_add_co_ci_u32_e64 v19, null, 0, 0, s1
	v_add_co_u32 v20, s1, s6, v22
	v_add_co_ci_u32_e64 v13, null, s7, v16, vcc_lo
	v_add_co_u32 v15, vcc_lo, s8, v15
	v_add_co_ci_u32_e64 v21, null, s7, 0, s1
	v_add_co_u32 v22, s1, s8, v22
	v_add_co_ci_u32_e64 v16, null, s9, v16, vcc_lo
	v_add_co_ci_u32_e64 v17, null, 0, 0, s2
	v_add_co_ci_u32_e64 v23, null, s9, 0, s1
	s_lshl_b32 s21, s0, 3
	s_branch .LBB40_4
.LBB40_3:                               ;   in Loop: Header=BB40_4 Depth=1
	s_or_b32 exec_lo, exec_lo, s0
	v_add_co_u32 v1, vcc_lo, v1, s21
	v_add_co_ci_u32_e64 v2, null, 0, v2, vcc_lo
	v_add_co_u32 v4, vcc_lo, v4, s21
	v_add_co_ci_u32_e64 v5, null, 0, v5, vcc_lo
	;; [unrolled: 2-line block ×4, first 2 shown]
	v_add_co_u32 v12, vcc_lo, v12, s21
	s_add_u32 s18, s18, s20
	v_add_co_ci_u32_e64 v13, null, 0, v13, vcc_lo
	v_add_co_u32 v15, vcc_lo, v15, s21
	s_addc_u32 s19, s19, 0
	v_add_co_ci_u32_e64 v16, null, 0, v16, vcc_lo
	v_add_co_u32 v20, vcc_lo, v20, s21
	v_cmp_lt_i64_e64 s0, s[18:19], s[14:15]
	v_add_co_ci_u32_e64 v21, null, 0, v21, vcc_lo
	v_add_co_u32 v22, vcc_lo, v22, s21
	v_add_co_ci_u32_e64 v23, null, 0, v23, vcc_lo
	s_and_b32 vcc_lo, exec_lo, s0
	s_cbranch_vccz .LBB40_20
.LBB40_4:                               ; =>This Inner Loop Header: Depth=1
	s_waitcnt vmcnt(0)
	v_add_co_u32 v24, s0, v0, s18
	v_add_co_ci_u32_e64 v25, null, 0, s19, s0
	v_cmp_gt_u64_e32 vcc_lo, s[16:17], v[24:25]
	v_mov_b32_e32 v25, 0
	s_and_saveexec_b32 s1, vcc_lo
	s_cbranch_execz .LBB40_6
; %bb.5:                                ;   in Loop: Header=BB40_4 Depth=1
	v_add_co_u32 v24, s0, v1, s10
	v_add_co_ci_u32_e64 v25, null, s11, v2, s0
	global_load_ushort v25, v[24:25], off
.LBB40_6:                               ;   in Loop: Header=BB40_4 Depth=1
	s_or_b32 exec_lo, exec_lo, s1
	v_add_co_u32 v26, s0, v14, s18
	v_add_co_ci_u32_e64 v27, null, s19, v17, s0
	v_mov_b32_e32 v24, 0
	v_cmp_gt_u64_e64 s0, s[16:17], v[26:27]
	v_mov_b32_e32 v26, 0
	s_and_saveexec_b32 s2, s0
	s_cbranch_execz .LBB40_8
; %bb.7:                                ;   in Loop: Header=BB40_4 Depth=1
	v_add_co_u32 v26, s1, v20, s10
	v_add_co_ci_u32_e64 v27, null, s11, v21, s1
	global_load_ushort v26, v[26:27], off
.LBB40_8:                               ;   in Loop: Header=BB40_4 Depth=1
	s_or_b32 exec_lo, exec_lo, s2
	v_add_co_u32 v27, s1, v18, s18
	v_add_co_ci_u32_e64 v28, null, s19, v19, s1
	v_cmp_gt_u64_e64 s1, s[16:17], v[27:28]
	s_and_saveexec_b32 s3, s1
	s_cbranch_execz .LBB40_10
; %bb.9:                                ;   in Loop: Header=BB40_4 Depth=1
	v_add_co_u32 v27, s2, v12, s10
	v_add_co_ci_u32_e64 v28, null, s11, v13, s2
	global_load_ushort v24, v[27:28], off
.LBB40_10:                              ;   in Loop: Header=BB40_4 Depth=1
	s_or_b32 exec_lo, exec_lo, s3
	v_add_co_u32 v27, s2, v10, s18
	v_add_co_ci_u32_e64 v28, null, s19, v11, s2
	v_cmp_gt_u64_e64 s2, s[16:17], v[27:28]
	v_mov_b32_e32 v27, 0
	s_and_saveexec_b32 s22, s2
	s_cbranch_execnz .LBB40_15
; %bb.11:                               ;   in Loop: Header=BB40_4 Depth=1
	s_or_b32 exec_lo, exec_lo, s22
	s_and_saveexec_b32 s3, vcc_lo
	s_cbranch_execnz .LBB40_16
.LBB40_12:                              ;   in Loop: Header=BB40_4 Depth=1
	s_or_b32 exec_lo, exec_lo, s3
	s_and_saveexec_b32 s3, s0
	s_cbranch_execnz .LBB40_17
.LBB40_13:                              ;   in Loop: Header=BB40_4 Depth=1
	s_or_b32 exec_lo, exec_lo, s3
	s_and_saveexec_b32 s0, s1
	s_cbranch_execnz .LBB40_18
.LBB40_14:                              ;   in Loop: Header=BB40_4 Depth=1
	s_or_b32 exec_lo, exec_lo, s0
	s_and_saveexec_b32 s0, s2
	s_cbranch_execz .LBB40_3
	s_branch .LBB40_19
.LBB40_15:                              ;   in Loop: Header=BB40_4 Depth=1
	v_add_co_u32 v27, s3, v6, s10
	v_add_co_ci_u32_e64 v28, null, s11, v7, s3
	global_load_ushort v27, v[27:28], off
	s_or_b32 exec_lo, exec_lo, s22
	s_and_saveexec_b32 s3, vcc_lo
	s_cbranch_execz .LBB40_12
.LBB40_16:                              ;   in Loop: Header=BB40_4 Depth=1
	v_add_co_u32 v28, vcc_lo, v4, s10
	s_waitcnt vmcnt(0)
	v_mul_lo_u16 v25, v25, v3
	v_add_co_ci_u32_e64 v29, null, s11, v5, vcc_lo
	global_store_short v[28:29], v25, off
	s_or_b32 exec_lo, exec_lo, s3
	s_and_saveexec_b32 s3, s0
	s_cbranch_execz .LBB40_13
.LBB40_17:                              ;   in Loop: Header=BB40_4 Depth=1
	s_waitcnt vmcnt(0)
	v_add_co_u32 v25, vcc_lo, v22, s10
	v_mul_lo_u16 v28, v26, v3
	v_add_co_ci_u32_e64 v26, null, s11, v23, vcc_lo
	global_store_short v[25:26], v28, off
	s_or_b32 exec_lo, exec_lo, s3
	s_and_saveexec_b32 s0, s1
	s_cbranch_execz .LBB40_14
.LBB40_18:                              ;   in Loop: Header=BB40_4 Depth=1
	s_waitcnt vmcnt(0)
	v_mul_lo_u16 v26, v24, v3
	v_add_co_u32 v24, vcc_lo, v15, s10
	v_add_co_ci_u32_e64 v25, null, s11, v16, vcc_lo
	global_store_short v[24:25], v26, off
	s_or_b32 exec_lo, exec_lo, s0
	s_and_saveexec_b32 s0, s2
	s_cbranch_execz .LBB40_3
.LBB40_19:                              ;   in Loop: Header=BB40_4 Depth=1
	s_waitcnt vmcnt(0)
	v_add_co_u32 v24, vcc_lo, v8, s10
	v_mul_lo_u16 v26, v27, v3
	v_add_co_ci_u32_e64 v25, null, s11, v9, vcc_lo
	global_store_short v[24:25], v26, off
	s_branch .LBB40_3
.LBB40_20:
	s_mov_b32 s0, 0
.LBB40_21:
	s_andn2_b32 vcc_lo, exec_lo, s0
	s_cbranch_vccnz .LBB40_25
; %bb.22:
	v_cmp_gt_i64_e64 s0, 0x10000, s[12:13]
	v_mov_b32_e32 v2, 0
	v_lshlrev_b32_e32 v1, 2, v0
	s_mov_b32 s1, 0
	s_and_b32 s0, s0, exec_lo
	s_cselect_b32 s3, s13, 0
	s_cselect_b32 s2, s12, 0x10000
	s_mov_b32 s0, exec_lo
	v_cmpx_gt_i64_e64 s[2:3], v[1:2]
	s_cbranch_execz .LBB40_25
; %bb.23:
	s_load_dword s0, s[4:5], 0xcd4
	v_lshlrev_b32_e32 v4, 3, v0
	v_mov_b32_e32 v1, v2
	v_add_co_u32 v2, s4, s10, v4
	v_add_co_ci_u32_e64 v4, null, s11, 0, s4
	s_waitcnt lgkmcnt(0)
	s_and_b32 s4, s0, 0xffff
	s_lshl_b32 s5, s4, 3
	s_inst_prefetch 0x1
	.p2align	6
.LBB40_24:                              ; =>This Inner Loop Header: Depth=1
	v_add_co_u32 v5, vcc_lo, s6, v2
	v_add_co_ci_u32_e64 v6, null, s7, v4, vcc_lo
	v_add_co_u32 v0, vcc_lo, v0, s4
	v_add_co_ci_u32_e64 v1, null, 0, v1, vcc_lo
	global_load_dwordx2 v[5:6], v[5:6], off
	v_add_co_u32 v7, vcc_lo, s8, v2
	v_lshlrev_b64 v[9:10], 2, v[0:1]
	v_add_co_ci_u32_e64 v8, null, s9, v4, vcc_lo
	v_add_co_u32 v2, vcc_lo, v2, s5
	v_add_co_ci_u32_e64 v4, null, 0, v4, vcc_lo
	v_cmp_le_i64_e64 s0, s[2:3], v[9:10]
	s_or_b32 s1, s0, s1
	s_waitcnt vmcnt(0)
	v_lshrrev_b32_e32 v11, 16, v6
	v_lshrrev_b32_e32 v12, 16, v5
	v_mul_lo_u16 v5, v3, v5
	v_mul_lo_u16 v6, v3, v6
	;; [unrolled: 1-line block ×4, first 2 shown]
	v_perm_b32 v6, v11, v6, 0x5040100
	v_perm_b32 v5, v12, v5, 0x5040100
	global_store_dwordx2 v[7:8], v[5:6], off
	s_andn2_b32 exec_lo, exec_lo, s1
	s_cbranch_execnz .LBB40_24
.LBB40_25:
	s_inst_prefetch 0x2
	s_endpgm
	.section	.rodata,"a",@progbits
	.p2align	6, 0x0
	.amdhsa_kernel _ZN2at6native12_GLOBAL__N_125multi_tensor_apply_kernelINS1_28TensorListScalarListMetadataIsLi2EEENS1_25BinaryOpScalarListFunctorIsLi2ELi1ELi1EEEJSt10multipliesIsEEEEvT_T0_DpT1_
		.amdhsa_group_segment_fixed_size 0
		.amdhsa_private_segment_fixed_size 0
		.amdhsa_kernarg_size 3528
		.amdhsa_user_sgpr_count 6
		.amdhsa_user_sgpr_private_segment_buffer 1
		.amdhsa_user_sgpr_dispatch_ptr 0
		.amdhsa_user_sgpr_queue_ptr 0
		.amdhsa_user_sgpr_kernarg_segment_ptr 1
		.amdhsa_user_sgpr_dispatch_id 0
		.amdhsa_user_sgpr_flat_scratch_init 0
		.amdhsa_user_sgpr_private_segment_size 0
		.amdhsa_wavefront_size32 1
		.amdhsa_uses_dynamic_stack 0
		.amdhsa_system_sgpr_private_segment_wavefront_offset 0
		.amdhsa_system_sgpr_workgroup_id_x 1
		.amdhsa_system_sgpr_workgroup_id_y 0
		.amdhsa_system_sgpr_workgroup_id_z 0
		.amdhsa_system_sgpr_workgroup_info 0
		.amdhsa_system_vgpr_workitem_id 0
		.amdhsa_next_free_vgpr 30
		.amdhsa_next_free_sgpr 23
		.amdhsa_reserve_vcc 1
		.amdhsa_reserve_flat_scratch 0
		.amdhsa_float_round_mode_32 0
		.amdhsa_float_round_mode_16_64 0
		.amdhsa_float_denorm_mode_32 3
		.amdhsa_float_denorm_mode_16_64 3
		.amdhsa_dx10_clamp 1
		.amdhsa_ieee_mode 1
		.amdhsa_fp16_overflow 0
		.amdhsa_workgroup_processor_mode 1
		.amdhsa_memory_ordered 1
		.amdhsa_forward_progress 1
		.amdhsa_shared_vgpr_count 0
		.amdhsa_exception_fp_ieee_invalid_op 0
		.amdhsa_exception_fp_denorm_src 0
		.amdhsa_exception_fp_ieee_div_zero 0
		.amdhsa_exception_fp_ieee_overflow 0
		.amdhsa_exception_fp_ieee_underflow 0
		.amdhsa_exception_fp_ieee_inexact 0
		.amdhsa_exception_int_div_zero 0
	.end_amdhsa_kernel
	.section	.text._ZN2at6native12_GLOBAL__N_125multi_tensor_apply_kernelINS1_28TensorListScalarListMetadataIsLi2EEENS1_25BinaryOpScalarListFunctorIsLi2ELi1ELi1EEEJSt10multipliesIsEEEEvT_T0_DpT1_,"axG",@progbits,_ZN2at6native12_GLOBAL__N_125multi_tensor_apply_kernelINS1_28TensorListScalarListMetadataIsLi2EEENS1_25BinaryOpScalarListFunctorIsLi2ELi1ELi1EEEJSt10multipliesIsEEEEvT_T0_DpT1_,comdat
.Lfunc_end40:
	.size	_ZN2at6native12_GLOBAL__N_125multi_tensor_apply_kernelINS1_28TensorListScalarListMetadataIsLi2EEENS1_25BinaryOpScalarListFunctorIsLi2ELi1ELi1EEEJSt10multipliesIsEEEEvT_T0_DpT1_, .Lfunc_end40-_ZN2at6native12_GLOBAL__N_125multi_tensor_apply_kernelINS1_28TensorListScalarListMetadataIsLi2EEENS1_25BinaryOpScalarListFunctorIsLi2ELi1ELi1EEEJSt10multipliesIsEEEEvT_T0_DpT1_
                                        ; -- End function
	.set _ZN2at6native12_GLOBAL__N_125multi_tensor_apply_kernelINS1_28TensorListScalarListMetadataIsLi2EEENS1_25BinaryOpScalarListFunctorIsLi2ELi1ELi1EEEJSt10multipliesIsEEEEvT_T0_DpT1_.num_vgpr, 30
	.set _ZN2at6native12_GLOBAL__N_125multi_tensor_apply_kernelINS1_28TensorListScalarListMetadataIsLi2EEENS1_25BinaryOpScalarListFunctorIsLi2ELi1ELi1EEEJSt10multipliesIsEEEEvT_T0_DpT1_.num_agpr, 0
	.set _ZN2at6native12_GLOBAL__N_125multi_tensor_apply_kernelINS1_28TensorListScalarListMetadataIsLi2EEENS1_25BinaryOpScalarListFunctorIsLi2ELi1ELi1EEEJSt10multipliesIsEEEEvT_T0_DpT1_.numbered_sgpr, 23
	.set _ZN2at6native12_GLOBAL__N_125multi_tensor_apply_kernelINS1_28TensorListScalarListMetadataIsLi2EEENS1_25BinaryOpScalarListFunctorIsLi2ELi1ELi1EEEJSt10multipliesIsEEEEvT_T0_DpT1_.num_named_barrier, 0
	.set _ZN2at6native12_GLOBAL__N_125multi_tensor_apply_kernelINS1_28TensorListScalarListMetadataIsLi2EEENS1_25BinaryOpScalarListFunctorIsLi2ELi1ELi1EEEJSt10multipliesIsEEEEvT_T0_DpT1_.private_seg_size, 0
	.set _ZN2at6native12_GLOBAL__N_125multi_tensor_apply_kernelINS1_28TensorListScalarListMetadataIsLi2EEENS1_25BinaryOpScalarListFunctorIsLi2ELi1ELi1EEEJSt10multipliesIsEEEEvT_T0_DpT1_.uses_vcc, 1
	.set _ZN2at6native12_GLOBAL__N_125multi_tensor_apply_kernelINS1_28TensorListScalarListMetadataIsLi2EEENS1_25BinaryOpScalarListFunctorIsLi2ELi1ELi1EEEJSt10multipliesIsEEEEvT_T0_DpT1_.uses_flat_scratch, 0
	.set _ZN2at6native12_GLOBAL__N_125multi_tensor_apply_kernelINS1_28TensorListScalarListMetadataIsLi2EEENS1_25BinaryOpScalarListFunctorIsLi2ELi1ELi1EEEJSt10multipliesIsEEEEvT_T0_DpT1_.has_dyn_sized_stack, 0
	.set _ZN2at6native12_GLOBAL__N_125multi_tensor_apply_kernelINS1_28TensorListScalarListMetadataIsLi2EEENS1_25BinaryOpScalarListFunctorIsLi2ELi1ELi1EEEJSt10multipliesIsEEEEvT_T0_DpT1_.has_recursion, 0
	.set _ZN2at6native12_GLOBAL__N_125multi_tensor_apply_kernelINS1_28TensorListScalarListMetadataIsLi2EEENS1_25BinaryOpScalarListFunctorIsLi2ELi1ELi1EEEJSt10multipliesIsEEEEvT_T0_DpT1_.has_indirect_call, 0
	.section	.AMDGPU.csdata,"",@progbits
; Kernel info:
; codeLenInByte = 1528
; TotalNumSgprs: 25
; NumVgprs: 30
; ScratchSize: 0
; MemoryBound: 0
; FloatMode: 240
; IeeeMode: 1
; LDSByteSize: 0 bytes/workgroup (compile time only)
; SGPRBlocks: 0
; VGPRBlocks: 3
; NumSGPRsForWavesPerEU: 25
; NumVGPRsForWavesPerEU: 30
; Occupancy: 16
; WaveLimiterHint : 0
; COMPUTE_PGM_RSRC2:SCRATCH_EN: 0
; COMPUTE_PGM_RSRC2:USER_SGPR: 6
; COMPUTE_PGM_RSRC2:TRAP_HANDLER: 0
; COMPUTE_PGM_RSRC2:TGID_X_EN: 1
; COMPUTE_PGM_RSRC2:TGID_Y_EN: 0
; COMPUTE_PGM_RSRC2:TGID_Z_EN: 0
; COMPUTE_PGM_RSRC2:TIDIG_COMP_CNT: 0
	.section	.text._ZN2at6native12_GLOBAL__N_125multi_tensor_apply_kernelINS1_28TensorListScalarListMetadataIdLi2EEENS1_25BinaryOpScalarListFunctorIdLi2ELi1ELi1EEEJSt10multipliesIdEEEEvT_T0_DpT1_,"axG",@progbits,_ZN2at6native12_GLOBAL__N_125multi_tensor_apply_kernelINS1_28TensorListScalarListMetadataIdLi2EEENS1_25BinaryOpScalarListFunctorIdLi2ELi1ELi1EEEJSt10multipliesIdEEEEvT_T0_DpT1_,comdat
	.globl	_ZN2at6native12_GLOBAL__N_125multi_tensor_apply_kernelINS1_28TensorListScalarListMetadataIdLi2EEENS1_25BinaryOpScalarListFunctorIdLi2ELi1ELi1EEEJSt10multipliesIdEEEEvT_T0_DpT1_ ; -- Begin function _ZN2at6native12_GLOBAL__N_125multi_tensor_apply_kernelINS1_28TensorListScalarListMetadataIdLi2EEENS1_25BinaryOpScalarListFunctorIdLi2ELi1ELi1EEEJSt10multipliesIdEEEEvT_T0_DpT1_
	.p2align	8
	.type	_ZN2at6native12_GLOBAL__N_125multi_tensor_apply_kernelINS1_28TensorListScalarListMetadataIdLi2EEENS1_25BinaryOpScalarListFunctorIdLi2ELi1ELi1EEEJSt10multipliesIdEEEEvT_T0_DpT1_,@function
_ZN2at6native12_GLOBAL__N_125multi_tensor_apply_kernelINS1_28TensorListScalarListMetadataIdLi2EEENS1_25BinaryOpScalarListFunctorIdLi2ELi1ELi1EEEJSt10multipliesIdEEEEvT_T0_DpT1_: ; @_ZN2at6native12_GLOBAL__N_125multi_tensor_apply_kernelINS1_28TensorListScalarListMetadataIdLi2EEENS1_25BinaryOpScalarListFunctorIdLi2ELi1ELi1EEEJSt10multipliesIdEEEEvT_T0_DpT1_
; %bb.0:
	v_mov_b32_e32 v1, 0x800
	s_add_u32 s0, s4, s6
	s_addc_u32 s1, s5, 0
	s_mov_b32 s7, 0
	s_mov_b32 s19, s7
	global_load_ubyte v1, v1, s[0:1]
	s_lshl_b64 s[0:1], s[6:7], 2
	s_add_u32 s0, s4, s0
	s_addc_u32 s1, s5, s1
	s_load_dword s0, s[0:1], 0x940
	s_waitcnt vmcnt(0)
	v_readfirstlane_b32 s1, v1
	s_lshl_b32 s1, s1, 3
	s_clause 0x3
	s_load_dwordx2 s[8:9], s[4:5], s1 offset:0x0
	s_load_dwordx2 s[10:11], s[4:5], s1 offset:0x600
	;; [unrolled: 1-line block ×4, first 2 shown]
	s_waitcnt lgkmcnt(0)
	s_ashr_i32 s1, s0, 31
	s_lshl_b64 s[14:15], s[0:1], 19
	s_lshl_b64 s[0:1], s[0:1], 16
	s_add_u32 s6, s8, s14
	s_and_b32 s18, s12, 31
	s_and_b32 s6, s6, 31
	s_sub_u32 s16, s2, s0
	s_subb_u32 s17, s3, s1
	s_and_b32 s0, s2, 3
	s_mov_b32 s1, s7
	s_or_b64 s[0:1], s[18:19], s[0:1]
	s_or_b64 s[0:1], s[0:1], s[6:7]
	s_cmp_eq_u64 s[0:1], 0
	s_mov_b32 s0, -1
	s_cbranch_scc1 .LBB41_21
; %bb.1:
	v_cmp_lt_i64_e64 s0, s[16:17], 1
	s_and_b32 vcc_lo, exec_lo, s0
	s_cbranch_vccnz .LBB41_20
; %bb.2:
	s_load_dword s0, s[4:5], 0xe54
	v_cmp_gt_i64_e64 s1, 0x10000, s[16:17]
	v_lshlrev_b32_e32 v1, 3, v0
	v_mov_b32_e32 v2, 0
	v_cmp_gt_u64_e64 s2, 0x10000, s[16:17]
	s_mov_b64 s[20:21], 0
	s_and_b32 s1, s1, exec_lo
	s_cselect_b32 s7, s17, 0
	s_cselect_b32 s6, s16, 0x10000
	v_add_co_u32 v11, s1, s12, v1
	v_add_co_u32 v9, s3, s8, v1
	v_add_co_ci_u32_e64 v12, null, s13, 0, s1
	v_add_co_ci_u32_e64 v10, null, s9, 0, s3
	s_waitcnt lgkmcnt(0)
	s_and_b32 s0, s0, 0xffff
	s_and_b32 s1, s2, exec_lo
	v_mad_u64_u32 v[2:3], null, s0, 24, v[1:2]
	s_cselect_b32 s19, s17, 0
	s_cselect_b32 s18, s16, 0x10000
	s_mul_i32 s2, s0, 3
	s_lshl_b32 s3, s0, 4
	v_add_co_u32 v17, s2, s2, v0
	v_add_co_u32 v13, vcc_lo, s8, v2
	v_add_co_u32 v1, s3, s3, v1
	v_add_co_ci_u32_e64 v14, null, s9, v3, vcc_lo
	v_add_co_u32 v15, vcc_lo, s12, v2
	v_add_co_ci_u32_e64 v2, null, 0, 0, s3
	v_add_co_ci_u32_e64 v18, null, 0, 0, s2
	v_add_co_u32 v21, s2, v0, s0
	v_add_co_ci_u32_e64 v16, null, s13, v3, vcc_lo
	v_add_co_u32 v19, vcc_lo, s8, v1
	v_add_co_ci_u32_e64 v20, null, s9, v2, vcc_lo
	v_add_co_u32 v22, vcc_lo, s12, v1
	v_lshlrev_b32_e32 v1, 3, v21
	s_lshl_b32 s1, s0, 1
	v_add_co_ci_u32_e64 v23, null, s13, v2, vcc_lo
	v_add_co_u32 v25, s1, s1, v0
	v_add_co_ci_u32_e64 v26, null, 0, 0, s1
	v_add_co_u32 v27, s1, s8, v1
	v_add_co_ci_u32_e64 v28, null, s9, 0, s1
	;; [unrolled: 2-line block ×3, first 2 shown]
	v_add_co_ci_u32_e64 v30, null, s13, 0, s1
	s_lshl_b32 s22, s0, 2
	s_lshl_b32 s23, s0, 5
	s_branch .LBB41_4
.LBB41_3:                               ;   in Loop: Header=BB41_4 Depth=1
	s_or_b32 exec_lo, exec_lo, s0
	v_add_co_u32 v9, vcc_lo, v9, s23
	v_add_co_ci_u32_e64 v10, null, 0, v10, vcc_lo
	v_add_co_u32 v11, vcc_lo, v11, s23
	v_add_co_ci_u32_e64 v12, null, 0, v12, vcc_lo
	;; [unrolled: 2-line block ×4, first 2 shown]
	v_add_co_u32 v19, vcc_lo, v19, s23
	s_add_u32 s20, s20, s22
	v_add_co_ci_u32_e64 v20, null, 0, v20, vcc_lo
	v_add_co_u32 v22, vcc_lo, v22, s23
	s_addc_u32 s21, s21, 0
	v_add_co_ci_u32_e64 v23, null, 0, v23, vcc_lo
	v_add_co_u32 v27, vcc_lo, v27, s23
	v_cmp_lt_i64_e64 s0, s[20:21], s[6:7]
	v_add_co_ci_u32_e64 v28, null, 0, v28, vcc_lo
	v_add_co_u32 v29, vcc_lo, v29, s23
	v_add_co_ci_u32_e64 v30, null, 0, v30, vcc_lo
	s_and_b32 vcc_lo, exec_lo, s0
	s_cbranch_vccz .LBB41_20
.LBB41_4:                               ; =>This Inner Loop Header: Depth=1
	s_waitcnt vmcnt(0)
	v_add_co_u32 v3, s0, v0, s20
	v_add_co_ci_u32_e64 v4, null, 0, s21, s0
	v_mov_b32_e32 v1, 0
	v_mov_b32_e32 v2, 0
	v_cmp_gt_u64_e32 vcc_lo, s[18:19], v[3:4]
	v_mov_b32_e32 v3, 0
	v_mov_b32_e32 v4, 0
	s_and_saveexec_b32 s1, vcc_lo
	s_cbranch_execz .LBB41_6
; %bb.5:                                ;   in Loop: Header=BB41_4 Depth=1
	v_add_co_u32 v3, s0, v9, s14
	v_add_co_ci_u32_e64 v4, null, s15, v10, s0
	global_load_dwordx2 v[3:4], v[3:4], off
.LBB41_6:                               ;   in Loop: Header=BB41_4 Depth=1
	s_or_b32 exec_lo, exec_lo, s1
	v_add_co_u32 v5, s0, v21, s20
	v_add_co_ci_u32_e64 v6, null, s21, v24, s0
	v_cmp_gt_u64_e64 s0, s[18:19], v[5:6]
	s_and_saveexec_b32 s2, s0
	s_cbranch_execz .LBB41_8
; %bb.7:                                ;   in Loop: Header=BB41_4 Depth=1
	v_add_co_u32 v1, s1, v27, s14
	v_add_co_ci_u32_e64 v2, null, s15, v28, s1
	global_load_dwordx2 v[1:2], v[1:2], off
.LBB41_8:                               ;   in Loop: Header=BB41_4 Depth=1
	s_or_b32 exec_lo, exec_lo, s2
	v_add_co_u32 v7, s1, v25, s20
	v_add_co_ci_u32_e64 v8, null, s21, v26, s1
	v_mov_b32_e32 v5, 0
	v_mov_b32_e32 v6, 0
	v_cmp_gt_u64_e64 s1, s[18:19], v[7:8]
	v_mov_b32_e32 v7, 0
	v_mov_b32_e32 v8, 0
	s_and_saveexec_b32 s3, s1
	s_cbranch_execz .LBB41_10
; %bb.9:                                ;   in Loop: Header=BB41_4 Depth=1
	v_add_co_u32 v7, s2, v19, s14
	v_add_co_ci_u32_e64 v8, null, s15, v20, s2
	global_load_dwordx2 v[7:8], v[7:8], off
.LBB41_10:                              ;   in Loop: Header=BB41_4 Depth=1
	s_or_b32 exec_lo, exec_lo, s3
	v_add_co_u32 v31, s2, v17, s20
	v_add_co_ci_u32_e64 v32, null, s21, v18, s2
	v_cmp_gt_u64_e64 s2, s[18:19], v[31:32]
	s_and_saveexec_b32 s24, s2
	s_cbranch_execnz .LBB41_15
; %bb.11:                               ;   in Loop: Header=BB41_4 Depth=1
	s_or_b32 exec_lo, exec_lo, s24
	s_and_saveexec_b32 s3, vcc_lo
	s_cbranch_execnz .LBB41_16
.LBB41_12:                              ;   in Loop: Header=BB41_4 Depth=1
	s_or_b32 exec_lo, exec_lo, s3
	s_and_saveexec_b32 s3, s0
	s_cbranch_execnz .LBB41_17
.LBB41_13:                              ;   in Loop: Header=BB41_4 Depth=1
	s_or_b32 exec_lo, exec_lo, s3
	s_and_saveexec_b32 s0, s1
	s_cbranch_execnz .LBB41_18
.LBB41_14:                              ;   in Loop: Header=BB41_4 Depth=1
	s_or_b32 exec_lo, exec_lo, s0
	s_and_saveexec_b32 s0, s2
	s_cbranch_execz .LBB41_3
	s_branch .LBB41_19
.LBB41_15:                              ;   in Loop: Header=BB41_4 Depth=1
	v_add_co_u32 v5, s3, v13, s14
	v_add_co_ci_u32_e64 v6, null, s15, v14, s3
	global_load_dwordx2 v[5:6], v[5:6], off
	s_or_b32 exec_lo, exec_lo, s24
	s_and_saveexec_b32 s3, vcc_lo
	s_cbranch_execz .LBB41_12
.LBB41_16:                              ;   in Loop: Header=BB41_4 Depth=1
	s_waitcnt vmcnt(0)
	v_mul_f64 v[3:4], s[10:11], v[3:4]
	v_add_co_u32 v31, vcc_lo, v11, s14
	v_add_co_ci_u32_e64 v32, null, s15, v12, vcc_lo
	global_store_dwordx2 v[31:32], v[3:4], off
	s_or_b32 exec_lo, exec_lo, s3
	s_and_saveexec_b32 s3, s0
	s_cbranch_execz .LBB41_13
.LBB41_17:                              ;   in Loop: Header=BB41_4 Depth=1
	s_waitcnt vmcnt(0)
	v_mul_f64 v[1:2], s[10:11], v[1:2]
	v_add_co_u32 v3, vcc_lo, v29, s14
	v_add_co_ci_u32_e64 v4, null, s15, v30, vcc_lo
	global_store_dwordx2 v[3:4], v[1:2], off
	s_or_b32 exec_lo, exec_lo, s3
	s_and_saveexec_b32 s0, s1
	s_cbranch_execz .LBB41_14
.LBB41_18:                              ;   in Loop: Header=BB41_4 Depth=1
	s_waitcnt vmcnt(0)
	v_mul_f64 v[1:2], s[10:11], v[7:8]
	v_add_co_u32 v3, vcc_lo, v22, s14
	v_add_co_ci_u32_e64 v4, null, s15, v23, vcc_lo
	global_store_dwordx2 v[3:4], v[1:2], off
	s_or_b32 exec_lo, exec_lo, s0
	s_and_saveexec_b32 s0, s2
	s_cbranch_execz .LBB41_3
.LBB41_19:                              ;   in Loop: Header=BB41_4 Depth=1
	s_waitcnt vmcnt(0)
	v_mul_f64 v[1:2], s[10:11], v[5:6]
	v_add_co_u32 v3, vcc_lo, v15, s14
	v_add_co_ci_u32_e64 v4, null, s15, v16, vcc_lo
	global_store_dwordx2 v[3:4], v[1:2], off
	s_branch .LBB41_3
.LBB41_20:
	s_mov_b32 s0, 0
.LBB41_21:
	s_andn2_b32 vcc_lo, exec_lo, s0
	s_cbranch_vccnz .LBB41_25
; %bb.22:
	v_cmp_gt_i64_e64 s0, 0x10000, s[16:17]
	s_waitcnt vmcnt(0)
	v_mov_b32_e32 v2, 0
	v_lshlrev_b32_e32 v1, 2, v0
	s_mov_b32 s1, 0
	s_and_b32 s0, s0, exec_lo
	s_cselect_b32 s3, s17, 0
	s_cselect_b32 s2, s16, 0x10000
	s_mov_b32 s0, exec_lo
	v_cmpx_gt_i64_e64 s[2:3], v[1:2]
	s_cbranch_execz .LBB41_25
; %bb.23:
	s_load_dword s0, s[4:5], 0xe54
	v_lshlrev_b32_e32 v3, 5, v0
	v_mov_b32_e32 v1, v2
	v_add_co_u32 v2, s4, s14, v3
	v_add_co_ci_u32_e64 v3, null, s15, 0, s4
	s_waitcnt lgkmcnt(0)
	s_and_b32 s4, s0, 0xffff
	s_lshl_b32 s5, s4, 5
	s_inst_prefetch 0x1
	.p2align	6
.LBB41_24:                              ; =>This Inner Loop Header: Depth=1
	v_add_co_u32 v8, vcc_lo, s8, v2
	v_add_co_ci_u32_e64 v9, null, s9, v3, vcc_lo
	v_add_co_u32 v0, vcc_lo, v0, s4
	v_add_co_ci_u32_e64 v1, null, 0, v1, vcc_lo
	s_clause 0x1
	global_load_dwordx4 v[4:7], v[8:9], off
	global_load_dwordx4 v[8:11], v[8:9], off offset:16
	v_add_co_u32 v14, vcc_lo, s12, v2
	v_lshlrev_b64 v[12:13], 2, v[0:1]
	v_add_co_ci_u32_e64 v15, null, s13, v3, vcc_lo
	v_add_co_u32 v2, s0, v2, s5
	v_add_co_ci_u32_e64 v3, null, 0, v3, s0
	v_cmp_le_i64_e32 vcc_lo, s[2:3], v[12:13]
	s_or_b32 s1, vcc_lo, s1
	s_waitcnt vmcnt(1)
	v_mul_f64 v[4:5], s[10:11], v[4:5]
	v_mul_f64 v[6:7], s[10:11], v[6:7]
	s_waitcnt vmcnt(0)
	v_mul_f64 v[8:9], s[10:11], v[8:9]
	v_mul_f64 v[10:11], s[10:11], v[10:11]
	global_store_dwordx4 v[14:15], v[4:7], off
	global_store_dwordx4 v[14:15], v[8:11], off offset:16
	s_andn2_b32 exec_lo, exec_lo, s1
	s_cbranch_execnz .LBB41_24
.LBB41_25:
	s_inst_prefetch 0x2
	s_endpgm
	.section	.rodata,"a",@progbits
	.p2align	6, 0x0
	.amdhsa_kernel _ZN2at6native12_GLOBAL__N_125multi_tensor_apply_kernelINS1_28TensorListScalarListMetadataIdLi2EEENS1_25BinaryOpScalarListFunctorIdLi2ELi1ELi1EEEJSt10multipliesIdEEEEvT_T0_DpT1_
		.amdhsa_group_segment_fixed_size 0
		.amdhsa_private_segment_fixed_size 0
		.amdhsa_kernarg_size 3912
		.amdhsa_user_sgpr_count 6
		.amdhsa_user_sgpr_private_segment_buffer 1
		.amdhsa_user_sgpr_dispatch_ptr 0
		.amdhsa_user_sgpr_queue_ptr 0
		.amdhsa_user_sgpr_kernarg_segment_ptr 1
		.amdhsa_user_sgpr_dispatch_id 0
		.amdhsa_user_sgpr_flat_scratch_init 0
		.amdhsa_user_sgpr_private_segment_size 0
		.amdhsa_wavefront_size32 1
		.amdhsa_uses_dynamic_stack 0
		.amdhsa_system_sgpr_private_segment_wavefront_offset 0
		.amdhsa_system_sgpr_workgroup_id_x 1
		.amdhsa_system_sgpr_workgroup_id_y 0
		.amdhsa_system_sgpr_workgroup_id_z 0
		.amdhsa_system_sgpr_workgroup_info 0
		.amdhsa_system_vgpr_workitem_id 0
		.amdhsa_next_free_vgpr 33
		.amdhsa_next_free_sgpr 25
		.amdhsa_reserve_vcc 1
		.amdhsa_reserve_flat_scratch 0
		.amdhsa_float_round_mode_32 0
		.amdhsa_float_round_mode_16_64 0
		.amdhsa_float_denorm_mode_32 3
		.amdhsa_float_denorm_mode_16_64 3
		.amdhsa_dx10_clamp 1
		.amdhsa_ieee_mode 1
		.amdhsa_fp16_overflow 0
		.amdhsa_workgroup_processor_mode 1
		.amdhsa_memory_ordered 1
		.amdhsa_forward_progress 1
		.amdhsa_shared_vgpr_count 0
		.amdhsa_exception_fp_ieee_invalid_op 0
		.amdhsa_exception_fp_denorm_src 0
		.amdhsa_exception_fp_ieee_div_zero 0
		.amdhsa_exception_fp_ieee_overflow 0
		.amdhsa_exception_fp_ieee_underflow 0
		.amdhsa_exception_fp_ieee_inexact 0
		.amdhsa_exception_int_div_zero 0
	.end_amdhsa_kernel
	.section	.text._ZN2at6native12_GLOBAL__N_125multi_tensor_apply_kernelINS1_28TensorListScalarListMetadataIdLi2EEENS1_25BinaryOpScalarListFunctorIdLi2ELi1ELi1EEEJSt10multipliesIdEEEEvT_T0_DpT1_,"axG",@progbits,_ZN2at6native12_GLOBAL__N_125multi_tensor_apply_kernelINS1_28TensorListScalarListMetadataIdLi2EEENS1_25BinaryOpScalarListFunctorIdLi2ELi1ELi1EEEJSt10multipliesIdEEEEvT_T0_DpT1_,comdat
.Lfunc_end41:
	.size	_ZN2at6native12_GLOBAL__N_125multi_tensor_apply_kernelINS1_28TensorListScalarListMetadataIdLi2EEENS1_25BinaryOpScalarListFunctorIdLi2ELi1ELi1EEEJSt10multipliesIdEEEEvT_T0_DpT1_, .Lfunc_end41-_ZN2at6native12_GLOBAL__N_125multi_tensor_apply_kernelINS1_28TensorListScalarListMetadataIdLi2EEENS1_25BinaryOpScalarListFunctorIdLi2ELi1ELi1EEEJSt10multipliesIdEEEEvT_T0_DpT1_
                                        ; -- End function
	.set _ZN2at6native12_GLOBAL__N_125multi_tensor_apply_kernelINS1_28TensorListScalarListMetadataIdLi2EEENS1_25BinaryOpScalarListFunctorIdLi2ELi1ELi1EEEJSt10multipliesIdEEEEvT_T0_DpT1_.num_vgpr, 33
	.set _ZN2at6native12_GLOBAL__N_125multi_tensor_apply_kernelINS1_28TensorListScalarListMetadataIdLi2EEENS1_25BinaryOpScalarListFunctorIdLi2ELi1ELi1EEEJSt10multipliesIdEEEEvT_T0_DpT1_.num_agpr, 0
	.set _ZN2at6native12_GLOBAL__N_125multi_tensor_apply_kernelINS1_28TensorListScalarListMetadataIdLi2EEENS1_25BinaryOpScalarListFunctorIdLi2ELi1ELi1EEEJSt10multipliesIdEEEEvT_T0_DpT1_.numbered_sgpr, 25
	.set _ZN2at6native12_GLOBAL__N_125multi_tensor_apply_kernelINS1_28TensorListScalarListMetadataIdLi2EEENS1_25BinaryOpScalarListFunctorIdLi2ELi1ELi1EEEJSt10multipliesIdEEEEvT_T0_DpT1_.num_named_barrier, 0
	.set _ZN2at6native12_GLOBAL__N_125multi_tensor_apply_kernelINS1_28TensorListScalarListMetadataIdLi2EEENS1_25BinaryOpScalarListFunctorIdLi2ELi1ELi1EEEJSt10multipliesIdEEEEvT_T0_DpT1_.private_seg_size, 0
	.set _ZN2at6native12_GLOBAL__N_125multi_tensor_apply_kernelINS1_28TensorListScalarListMetadataIdLi2EEENS1_25BinaryOpScalarListFunctorIdLi2ELi1ELi1EEEJSt10multipliesIdEEEEvT_T0_DpT1_.uses_vcc, 1
	.set _ZN2at6native12_GLOBAL__N_125multi_tensor_apply_kernelINS1_28TensorListScalarListMetadataIdLi2EEENS1_25BinaryOpScalarListFunctorIdLi2ELi1ELi1EEEJSt10multipliesIdEEEEvT_T0_DpT1_.uses_flat_scratch, 0
	.set _ZN2at6native12_GLOBAL__N_125multi_tensor_apply_kernelINS1_28TensorListScalarListMetadataIdLi2EEENS1_25BinaryOpScalarListFunctorIdLi2ELi1ELi1EEEJSt10multipliesIdEEEEvT_T0_DpT1_.has_dyn_sized_stack, 0
	.set _ZN2at6native12_GLOBAL__N_125multi_tensor_apply_kernelINS1_28TensorListScalarListMetadataIdLi2EEENS1_25BinaryOpScalarListFunctorIdLi2ELi1ELi1EEEJSt10multipliesIdEEEEvT_T0_DpT1_.has_recursion, 0
	.set _ZN2at6native12_GLOBAL__N_125multi_tensor_apply_kernelINS1_28TensorListScalarListMetadataIdLi2EEENS1_25BinaryOpScalarListFunctorIdLi2ELi1ELi1EEEJSt10multipliesIdEEEEvT_T0_DpT1_.has_indirect_call, 0
	.section	.AMDGPU.csdata,"",@progbits
; Kernel info:
; codeLenInByte = 1516
; TotalNumSgprs: 27
; NumVgprs: 33
; ScratchSize: 0
; MemoryBound: 0
; FloatMode: 240
; IeeeMode: 1
; LDSByteSize: 0 bytes/workgroup (compile time only)
; SGPRBlocks: 0
; VGPRBlocks: 4
; NumSGPRsForWavesPerEU: 27
; NumVGPRsForWavesPerEU: 33
; Occupancy: 16
; WaveLimiterHint : 1
; COMPUTE_PGM_RSRC2:SCRATCH_EN: 0
; COMPUTE_PGM_RSRC2:USER_SGPR: 6
; COMPUTE_PGM_RSRC2:TRAP_HANDLER: 0
; COMPUTE_PGM_RSRC2:TGID_X_EN: 1
; COMPUTE_PGM_RSRC2:TGID_Y_EN: 0
; COMPUTE_PGM_RSRC2:TGID_Z_EN: 0
; COMPUTE_PGM_RSRC2:TIDIG_COMP_CNT: 0
	.section	.text._ZN2at6native12_GLOBAL__N_125multi_tensor_apply_kernelINS1_28TensorListScalarListMetadataIfLi2EEENS1_25BinaryOpScalarListFunctorIfLi2ELi1ELi1EEEJSt10multipliesIfEEEEvT_T0_DpT1_,"axG",@progbits,_ZN2at6native12_GLOBAL__N_125multi_tensor_apply_kernelINS1_28TensorListScalarListMetadataIfLi2EEENS1_25BinaryOpScalarListFunctorIfLi2ELi1ELi1EEEJSt10multipliesIfEEEEvT_T0_DpT1_,comdat
	.globl	_ZN2at6native12_GLOBAL__N_125multi_tensor_apply_kernelINS1_28TensorListScalarListMetadataIfLi2EEENS1_25BinaryOpScalarListFunctorIfLi2ELi1ELi1EEEJSt10multipliesIfEEEEvT_T0_DpT1_ ; -- Begin function _ZN2at6native12_GLOBAL__N_125multi_tensor_apply_kernelINS1_28TensorListScalarListMetadataIfLi2EEENS1_25BinaryOpScalarListFunctorIfLi2ELi1ELi1EEEJSt10multipliesIfEEEEvT_T0_DpT1_
	.p2align	8
	.type	_ZN2at6native12_GLOBAL__N_125multi_tensor_apply_kernelINS1_28TensorListScalarListMetadataIfLi2EEENS1_25BinaryOpScalarListFunctorIfLi2ELi1ELi1EEEJSt10multipliesIfEEEEvT_T0_DpT1_,@function
_ZN2at6native12_GLOBAL__N_125multi_tensor_apply_kernelINS1_28TensorListScalarListMetadataIfLi2EEENS1_25BinaryOpScalarListFunctorIfLi2ELi1ELi1EEEJSt10multipliesIfEEEEvT_T0_DpT1_: ; @_ZN2at6native12_GLOBAL__N_125multi_tensor_apply_kernelINS1_28TensorListScalarListMetadataIfLi2EEENS1_25BinaryOpScalarListFunctorIfLi2ELi1ELi1EEEJSt10multipliesIfEEEEvT_T0_DpT1_
; %bb.0:
	v_mov_b32_e32 v1, s6
	s_add_u32 s0, s4, s6
	s_mul_hi_u32 s1, s6, 3
	s_mul_i32 s6, s6, 3
	s_addc_u32 s2, s5, 0
	global_load_ubyte v1, v1, s[4:5] offset:1792
	s_add_u32 s0, s0, s6
	s_addc_u32 s1, s2, s1
	s_mov_b32 s15, 0
	s_load_dword s0, s[0:1], 0x840
	s_mov_b32 s17, s15
	s_waitcnt vmcnt(0)
	v_readfirstlane_b32 s1, v1
	v_lshlrev_b32_e32 v1, 2, v1
	s_lshl_b32 s10, s1, 3
	v_sub_co_u32 v1, s1, 0, v1
	v_sub_co_ci_u32_e64 v2, null, 0, 0, s1
	s_waitcnt lgkmcnt(0)
	s_ashr_i32 s1, s0, 31
	s_clause 0x2
	s_load_dwordx2 s[2:3], s[4:5], s10 offset:0x400
	s_load_dwordx2 s[6:7], s[4:5], s10 offset:0x0
	;; [unrolled: 1-line block ×3, first 2 shown]
	s_add_u32 s10, s4, s10
	s_addc_u32 s11, s5, 0
	v_add_co_u32 v1, vcc_lo, s10, v1
	v_add_co_ci_u32_e64 v2, null, s11, v2, vcc_lo
	v_readfirstlane_b32 s10, v1
	v_readfirstlane_b32 s11, v2
	s_load_dword s20, s[10:11], 0x600
	s_lshl_b64 s[10:11], s[0:1], 18
	s_lshl_b64 s[0:1], s[0:1], 16
	s_waitcnt lgkmcnt(0)
	s_add_u32 s12, s6, s10
	s_and_b32 s16, s8, 15
	s_and_b32 s14, s12, 15
	s_sub_u32 s12, s2, s0
	s_subb_u32 s13, s3, s1
	s_and_b32 s0, s2, 3
	s_mov_b32 s1, s15
	s_or_b64 s[0:1], s[16:17], s[0:1]
	s_or_b64 s[0:1], s[0:1], s[14:15]
	s_cmp_eq_u64 s[0:1], 0
	s_mov_b32 s0, -1
	s_cbranch_scc1 .LBB42_21
; %bb.1:
	v_cmp_lt_i64_e64 s0, s[12:13], 1
	s_and_b32 vcc_lo, exec_lo, s0
	s_cbranch_vccnz .LBB42_20
; %bb.2:
	s_load_dword s0, s[4:5], 0xd54
	v_cmp_gt_i64_e64 s1, 0x10000, s[12:13]
	v_lshlrev_b32_e32 v9, 2, v0
	v_cmp_gt_u64_e64 s2, 0x10000, s[12:13]
	v_mov_b32_e32 v10, 0
	s_mov_b64 s[18:19], 0
	s_and_b32 s1, s1, exec_lo
	v_add_co_u32 v3, s1, s8, v9
	v_add_co_u32 v1, s3, s6, v9
	s_cselect_b32 s15, s13, 0
	s_cselect_b32 s14, s12, 0x10000
	v_add_co_ci_u32_e64 v4, null, s9, 0, s1
	v_add_co_ci_u32_e64 v2, null, s7, 0, s3
	s_waitcnt lgkmcnt(0)
	s_and_b32 s0, s0, 0xffff
	s_and_b32 s1, s2, exec_lo
	s_cselect_b32 s17, s13, 0
	s_cselect_b32 s16, s12, 0x10000
	s_mul_i32 s2, s0, 3
	s_lshl_b32 s3, s0, 3
	v_mad_u64_u32 v[7:8], null, s0, 12, v[9:10]
	v_add_co_u32 v14, s3, s3, v9
	v_add_co_u32 v9, s2, s2, v0
	v_add_co_ci_u32_e64 v10, null, 0, 0, s2
	v_add_co_u32 v13, s2, v0, s0
	s_lshl_b32 s1, s0, 1
	v_add_co_u32 v5, vcc_lo, s6, v7
	v_lshlrev_b32_e32 v21, 2, v13
	v_add_co_ci_u32_e64 v15, null, 0, 0, s3
	v_add_co_ci_u32_e64 v6, null, s7, v8, vcc_lo
	v_add_co_u32 v7, vcc_lo, s8, v7
	v_add_co_u32 v17, s1, s1, v0
	v_add_co_ci_u32_e64 v8, null, s9, v8, vcc_lo
	v_add_co_u32 v11, vcc_lo, s6, v14
	v_add_co_ci_u32_e64 v18, null, 0, 0, s1
	v_add_co_u32 v19, s1, s6, v21
	v_add_co_ci_u32_e64 v12, null, s7, v15, vcc_lo
	v_add_co_u32 v14, vcc_lo, s8, v14
	v_add_co_ci_u32_e64 v20, null, s7, 0, s1
	v_add_co_u32 v21, s1, s8, v21
	v_add_co_ci_u32_e64 v15, null, s9, v15, vcc_lo
	v_add_co_ci_u32_e64 v16, null, 0, 0, s2
	v_add_co_ci_u32_e64 v22, null, s9, 0, s1
	s_lshl_b32 s21, s0, 2
	s_lshl_b32 s22, s0, 4
	s_branch .LBB42_4
.LBB42_3:                               ;   in Loop: Header=BB42_4 Depth=1
	s_or_b32 exec_lo, exec_lo, s0
	v_add_co_u32 v1, vcc_lo, v1, s22
	v_add_co_ci_u32_e64 v2, null, 0, v2, vcc_lo
	v_add_co_u32 v3, vcc_lo, v3, s22
	v_add_co_ci_u32_e64 v4, null, 0, v4, vcc_lo
	;; [unrolled: 2-line block ×4, first 2 shown]
	v_add_co_u32 v11, vcc_lo, v11, s22
	s_add_u32 s18, s18, s21
	v_add_co_ci_u32_e64 v12, null, 0, v12, vcc_lo
	v_add_co_u32 v14, vcc_lo, v14, s22
	s_addc_u32 s19, s19, 0
	v_add_co_ci_u32_e64 v15, null, 0, v15, vcc_lo
	v_add_co_u32 v19, vcc_lo, v19, s22
	v_cmp_lt_i64_e64 s0, s[18:19], s[14:15]
	v_add_co_ci_u32_e64 v20, null, 0, v20, vcc_lo
	v_add_co_u32 v21, vcc_lo, v21, s22
	v_add_co_ci_u32_e64 v22, null, 0, v22, vcc_lo
	s_and_b32 vcc_lo, exec_lo, s0
	s_cbranch_vccz .LBB42_20
.LBB42_4:                               ; =>This Inner Loop Header: Depth=1
	s_waitcnt vmcnt(0)
	v_add_co_u32 v23, s0, v0, s18
	v_add_co_ci_u32_e64 v24, null, 0, s19, s0
	v_cmp_gt_u64_e32 vcc_lo, s[16:17], v[23:24]
	v_mov_b32_e32 v24, 0
	s_and_saveexec_b32 s1, vcc_lo
	s_cbranch_execz .LBB42_6
; %bb.5:                                ;   in Loop: Header=BB42_4 Depth=1
	v_add_co_u32 v23, s0, v1, s10
	v_add_co_ci_u32_e64 v24, null, s11, v2, s0
	global_load_dword v24, v[23:24], off
.LBB42_6:                               ;   in Loop: Header=BB42_4 Depth=1
	s_or_b32 exec_lo, exec_lo, s1
	v_add_co_u32 v25, s0, v13, s18
	v_add_co_ci_u32_e64 v26, null, s19, v16, s0
	v_mov_b32_e32 v23, 0
	v_cmp_gt_u64_e64 s0, s[16:17], v[25:26]
	v_mov_b32_e32 v25, 0
	s_and_saveexec_b32 s2, s0
	s_cbranch_execz .LBB42_8
; %bb.7:                                ;   in Loop: Header=BB42_4 Depth=1
	v_add_co_u32 v25, s1, v19, s10
	v_add_co_ci_u32_e64 v26, null, s11, v20, s1
	global_load_dword v25, v[25:26], off
.LBB42_8:                               ;   in Loop: Header=BB42_4 Depth=1
	s_or_b32 exec_lo, exec_lo, s2
	v_add_co_u32 v26, s1, v17, s18
	v_add_co_ci_u32_e64 v27, null, s19, v18, s1
	v_cmp_gt_u64_e64 s1, s[16:17], v[26:27]
	s_and_saveexec_b32 s3, s1
	s_cbranch_execz .LBB42_10
; %bb.9:                                ;   in Loop: Header=BB42_4 Depth=1
	v_add_co_u32 v26, s2, v11, s10
	v_add_co_ci_u32_e64 v27, null, s11, v12, s2
	global_load_dword v23, v[26:27], off
.LBB42_10:                              ;   in Loop: Header=BB42_4 Depth=1
	s_or_b32 exec_lo, exec_lo, s3
	v_add_co_u32 v26, s2, v9, s18
	v_add_co_ci_u32_e64 v27, null, s19, v10, s2
	v_cmp_gt_u64_e64 s2, s[16:17], v[26:27]
	v_mov_b32_e32 v26, 0
	s_and_saveexec_b32 s23, s2
	s_cbranch_execnz .LBB42_15
; %bb.11:                               ;   in Loop: Header=BB42_4 Depth=1
	s_or_b32 exec_lo, exec_lo, s23
	s_and_saveexec_b32 s3, vcc_lo
	s_cbranch_execnz .LBB42_16
.LBB42_12:                              ;   in Loop: Header=BB42_4 Depth=1
	s_or_b32 exec_lo, exec_lo, s3
	s_and_saveexec_b32 s3, s0
	s_cbranch_execnz .LBB42_17
.LBB42_13:                              ;   in Loop: Header=BB42_4 Depth=1
	s_or_b32 exec_lo, exec_lo, s3
	s_and_saveexec_b32 s0, s1
	s_cbranch_execnz .LBB42_18
.LBB42_14:                              ;   in Loop: Header=BB42_4 Depth=1
	s_or_b32 exec_lo, exec_lo, s0
	s_and_saveexec_b32 s0, s2
	s_cbranch_execz .LBB42_3
	s_branch .LBB42_19
.LBB42_15:                              ;   in Loop: Header=BB42_4 Depth=1
	v_add_co_u32 v26, s3, v5, s10
	v_add_co_ci_u32_e64 v27, null, s11, v6, s3
	global_load_dword v26, v[26:27], off
	s_or_b32 exec_lo, exec_lo, s23
	s_and_saveexec_b32 s3, vcc_lo
	s_cbranch_execz .LBB42_12
.LBB42_16:                              ;   in Loop: Header=BB42_4 Depth=1
	v_add_co_u32 v27, vcc_lo, v3, s10
	s_waitcnt vmcnt(0)
	v_mul_f32_e32 v24, s20, v24
	v_add_co_ci_u32_e64 v28, null, s11, v4, vcc_lo
	global_store_dword v[27:28], v24, off
	s_or_b32 exec_lo, exec_lo, s3
	s_and_saveexec_b32 s3, s0
	s_cbranch_execz .LBB42_13
.LBB42_17:                              ;   in Loop: Header=BB42_4 Depth=1
	s_waitcnt vmcnt(0)
	v_add_co_u32 v24, vcc_lo, v21, s10
	v_mul_f32_e32 v27, s20, v25
	v_add_co_ci_u32_e64 v25, null, s11, v22, vcc_lo
	global_store_dword v[24:25], v27, off
	s_or_b32 exec_lo, exec_lo, s3
	s_and_saveexec_b32 s0, s1
	s_cbranch_execz .LBB42_14
.LBB42_18:                              ;   in Loop: Header=BB42_4 Depth=1
	s_waitcnt vmcnt(0)
	v_mul_f32_e32 v25, s20, v23
	v_add_co_u32 v23, vcc_lo, v14, s10
	v_add_co_ci_u32_e64 v24, null, s11, v15, vcc_lo
	global_store_dword v[23:24], v25, off
	s_or_b32 exec_lo, exec_lo, s0
	s_and_saveexec_b32 s0, s2
	s_cbranch_execz .LBB42_3
.LBB42_19:                              ;   in Loop: Header=BB42_4 Depth=1
	s_waitcnt vmcnt(0)
	v_add_co_u32 v23, vcc_lo, v7, s10
	v_mul_f32_e32 v25, s20, v26
	v_add_co_ci_u32_e64 v24, null, s11, v8, vcc_lo
	global_store_dword v[23:24], v25, off
	s_branch .LBB42_3
.LBB42_20:
	s_mov_b32 s0, 0
.LBB42_21:
	s_andn2_b32 vcc_lo, exec_lo, s0
	s_cbranch_vccnz .LBB42_25
; %bb.22:
	v_cmp_gt_i64_e64 s0, 0x10000, s[12:13]
	v_mov_b32_e32 v2, 0
	v_lshlrev_b32_e32 v1, 2, v0
	s_mov_b32 s1, 0
	s_and_b32 s0, s0, exec_lo
	s_cselect_b32 s3, s13, 0
	s_cselect_b32 s2, s12, 0x10000
	s_mov_b32 s0, exec_lo
	v_cmpx_gt_i64_e64 s[2:3], v[1:2]
	s_cbranch_execz .LBB42_25
; %bb.23:
	s_load_dword s0, s[4:5], 0xd54
	v_lshlrev_b32_e32 v3, 4, v0
	v_mov_b32_e32 v1, v2
	v_add_co_u32 v2, s4, s10, v3
	v_add_co_ci_u32_e64 v3, null, s11, 0, s4
	s_waitcnt lgkmcnt(0)
	s_and_b32 s4, s0, 0xffff
	s_lshl_b32 s5, s4, 4
	.p2align	6
.LBB42_24:                              ; =>This Inner Loop Header: Depth=1
	v_add_co_u32 v4, vcc_lo, s6, v2
	v_add_co_ci_u32_e64 v5, null, s7, v3, vcc_lo
	v_add_co_u32 v0, vcc_lo, v0, s4
	v_add_co_ci_u32_e64 v1, null, 0, v1, vcc_lo
	global_load_dwordx4 v[4:7], v[4:5], off
	v_add_co_u32 v8, vcc_lo, s8, v2
	v_lshlrev_b64 v[10:11], 2, v[0:1]
	v_add_co_ci_u32_e64 v9, null, s9, v3, vcc_lo
	v_add_co_u32 v2, vcc_lo, v2, s5
	v_add_co_ci_u32_e64 v3, null, 0, v3, vcc_lo
	v_cmp_le_i64_e64 s0, s[2:3], v[10:11]
	s_or_b32 s1, s0, s1
	s_waitcnt vmcnt(0)
	v_mul_f32_e32 v4, s20, v4
	v_mul_f32_e32 v5, s20, v5
	;; [unrolled: 1-line block ×4, first 2 shown]
	global_store_dwordx4 v[8:9], v[4:7], off
	s_andn2_b32 exec_lo, exec_lo, s1
	s_cbranch_execnz .LBB42_24
.LBB42_25:
	s_endpgm
	.section	.rodata,"a",@progbits
	.p2align	6, 0x0
	.amdhsa_kernel _ZN2at6native12_GLOBAL__N_125multi_tensor_apply_kernelINS1_28TensorListScalarListMetadataIfLi2EEENS1_25BinaryOpScalarListFunctorIfLi2ELi1ELi1EEEJSt10multipliesIfEEEEvT_T0_DpT1_
		.amdhsa_group_segment_fixed_size 0
		.amdhsa_private_segment_fixed_size 0
		.amdhsa_kernarg_size 3656
		.amdhsa_user_sgpr_count 6
		.amdhsa_user_sgpr_private_segment_buffer 1
		.amdhsa_user_sgpr_dispatch_ptr 0
		.amdhsa_user_sgpr_queue_ptr 0
		.amdhsa_user_sgpr_kernarg_segment_ptr 1
		.amdhsa_user_sgpr_dispatch_id 0
		.amdhsa_user_sgpr_flat_scratch_init 0
		.amdhsa_user_sgpr_private_segment_size 0
		.amdhsa_wavefront_size32 1
		.amdhsa_uses_dynamic_stack 0
		.amdhsa_system_sgpr_private_segment_wavefront_offset 0
		.amdhsa_system_sgpr_workgroup_id_x 1
		.amdhsa_system_sgpr_workgroup_id_y 0
		.amdhsa_system_sgpr_workgroup_id_z 0
		.amdhsa_system_sgpr_workgroup_info 0
		.amdhsa_system_vgpr_workitem_id 0
		.amdhsa_next_free_vgpr 29
		.amdhsa_next_free_sgpr 24
		.amdhsa_reserve_vcc 1
		.amdhsa_reserve_flat_scratch 0
		.amdhsa_float_round_mode_32 0
		.amdhsa_float_round_mode_16_64 0
		.amdhsa_float_denorm_mode_32 3
		.amdhsa_float_denorm_mode_16_64 3
		.amdhsa_dx10_clamp 1
		.amdhsa_ieee_mode 1
		.amdhsa_fp16_overflow 0
		.amdhsa_workgroup_processor_mode 1
		.amdhsa_memory_ordered 1
		.amdhsa_forward_progress 1
		.amdhsa_shared_vgpr_count 0
		.amdhsa_exception_fp_ieee_invalid_op 0
		.amdhsa_exception_fp_denorm_src 0
		.amdhsa_exception_fp_ieee_div_zero 0
		.amdhsa_exception_fp_ieee_overflow 0
		.amdhsa_exception_fp_ieee_underflow 0
		.amdhsa_exception_fp_ieee_inexact 0
		.amdhsa_exception_int_div_zero 0
	.end_amdhsa_kernel
	.section	.text._ZN2at6native12_GLOBAL__N_125multi_tensor_apply_kernelINS1_28TensorListScalarListMetadataIfLi2EEENS1_25BinaryOpScalarListFunctorIfLi2ELi1ELi1EEEJSt10multipliesIfEEEEvT_T0_DpT1_,"axG",@progbits,_ZN2at6native12_GLOBAL__N_125multi_tensor_apply_kernelINS1_28TensorListScalarListMetadataIfLi2EEENS1_25BinaryOpScalarListFunctorIfLi2ELi1ELi1EEEJSt10multipliesIfEEEEvT_T0_DpT1_,comdat
.Lfunc_end42:
	.size	_ZN2at6native12_GLOBAL__N_125multi_tensor_apply_kernelINS1_28TensorListScalarListMetadataIfLi2EEENS1_25BinaryOpScalarListFunctorIfLi2ELi1ELi1EEEJSt10multipliesIfEEEEvT_T0_DpT1_, .Lfunc_end42-_ZN2at6native12_GLOBAL__N_125multi_tensor_apply_kernelINS1_28TensorListScalarListMetadataIfLi2EEENS1_25BinaryOpScalarListFunctorIfLi2ELi1ELi1EEEJSt10multipliesIfEEEEvT_T0_DpT1_
                                        ; -- End function
	.set _ZN2at6native12_GLOBAL__N_125multi_tensor_apply_kernelINS1_28TensorListScalarListMetadataIfLi2EEENS1_25BinaryOpScalarListFunctorIfLi2ELi1ELi1EEEJSt10multipliesIfEEEEvT_T0_DpT1_.num_vgpr, 29
	.set _ZN2at6native12_GLOBAL__N_125multi_tensor_apply_kernelINS1_28TensorListScalarListMetadataIfLi2EEENS1_25BinaryOpScalarListFunctorIfLi2ELi1ELi1EEEJSt10multipliesIfEEEEvT_T0_DpT1_.num_agpr, 0
	.set _ZN2at6native12_GLOBAL__N_125multi_tensor_apply_kernelINS1_28TensorListScalarListMetadataIfLi2EEENS1_25BinaryOpScalarListFunctorIfLi2ELi1ELi1EEEJSt10multipliesIfEEEEvT_T0_DpT1_.numbered_sgpr, 24
	.set _ZN2at6native12_GLOBAL__N_125multi_tensor_apply_kernelINS1_28TensorListScalarListMetadataIfLi2EEENS1_25BinaryOpScalarListFunctorIfLi2ELi1ELi1EEEJSt10multipliesIfEEEEvT_T0_DpT1_.num_named_barrier, 0
	.set _ZN2at6native12_GLOBAL__N_125multi_tensor_apply_kernelINS1_28TensorListScalarListMetadataIfLi2EEENS1_25BinaryOpScalarListFunctorIfLi2ELi1ELi1EEEJSt10multipliesIfEEEEvT_T0_DpT1_.private_seg_size, 0
	.set _ZN2at6native12_GLOBAL__N_125multi_tensor_apply_kernelINS1_28TensorListScalarListMetadataIfLi2EEENS1_25BinaryOpScalarListFunctorIfLi2ELi1ELi1EEEJSt10multipliesIfEEEEvT_T0_DpT1_.uses_vcc, 1
	.set _ZN2at6native12_GLOBAL__N_125multi_tensor_apply_kernelINS1_28TensorListScalarListMetadataIfLi2EEENS1_25BinaryOpScalarListFunctorIfLi2ELi1ELi1EEEJSt10multipliesIfEEEEvT_T0_DpT1_.uses_flat_scratch, 0
	.set _ZN2at6native12_GLOBAL__N_125multi_tensor_apply_kernelINS1_28TensorListScalarListMetadataIfLi2EEENS1_25BinaryOpScalarListFunctorIfLi2ELi1ELi1EEEJSt10multipliesIfEEEEvT_T0_DpT1_.has_dyn_sized_stack, 0
	.set _ZN2at6native12_GLOBAL__N_125multi_tensor_apply_kernelINS1_28TensorListScalarListMetadataIfLi2EEENS1_25BinaryOpScalarListFunctorIfLi2ELi1ELi1EEEJSt10multipliesIfEEEEvT_T0_DpT1_.has_recursion, 0
	.set _ZN2at6native12_GLOBAL__N_125multi_tensor_apply_kernelINS1_28TensorListScalarListMetadataIfLi2EEENS1_25BinaryOpScalarListFunctorIfLi2ELi1ELi1EEEJSt10multipliesIfEEEEvT_T0_DpT1_.has_indirect_call, 0
	.section	.AMDGPU.csdata,"",@progbits
; Kernel info:
; codeLenInByte = 1476
; TotalNumSgprs: 26
; NumVgprs: 29
; ScratchSize: 0
; MemoryBound: 0
; FloatMode: 240
; IeeeMode: 1
; LDSByteSize: 0 bytes/workgroup (compile time only)
; SGPRBlocks: 0
; VGPRBlocks: 3
; NumSGPRsForWavesPerEU: 26
; NumVGPRsForWavesPerEU: 29
; Occupancy: 16
; WaveLimiterHint : 0
; COMPUTE_PGM_RSRC2:SCRATCH_EN: 0
; COMPUTE_PGM_RSRC2:USER_SGPR: 6
; COMPUTE_PGM_RSRC2:TRAP_HANDLER: 0
; COMPUTE_PGM_RSRC2:TGID_X_EN: 1
; COMPUTE_PGM_RSRC2:TGID_Y_EN: 0
; COMPUTE_PGM_RSRC2:TGID_Z_EN: 0
; COMPUTE_PGM_RSRC2:TIDIG_COMP_CNT: 0
	.section	.text._ZN2at6native12_GLOBAL__N_125multi_tensor_apply_kernelINS1_28TensorListScalarListMetadataIN3c107complexIdEELi2EEENS1_25BinaryOpScalarListFunctorIS6_Li2ELi1ELi1EEEJSt10multipliesIS6_EEEEvT_T0_DpT1_,"axG",@progbits,_ZN2at6native12_GLOBAL__N_125multi_tensor_apply_kernelINS1_28TensorListScalarListMetadataIN3c107complexIdEELi2EEENS1_25BinaryOpScalarListFunctorIS6_Li2ELi1ELi1EEEJSt10multipliesIS6_EEEEvT_T0_DpT1_,comdat
	.globl	_ZN2at6native12_GLOBAL__N_125multi_tensor_apply_kernelINS1_28TensorListScalarListMetadataIN3c107complexIdEELi2EEENS1_25BinaryOpScalarListFunctorIS6_Li2ELi1ELi1EEEJSt10multipliesIS6_EEEEvT_T0_DpT1_ ; -- Begin function _ZN2at6native12_GLOBAL__N_125multi_tensor_apply_kernelINS1_28TensorListScalarListMetadataIN3c107complexIdEELi2EEENS1_25BinaryOpScalarListFunctorIS6_Li2ELi1ELi1EEEJSt10multipliesIS6_EEEEvT_T0_DpT1_
	.p2align	8
	.type	_ZN2at6native12_GLOBAL__N_125multi_tensor_apply_kernelINS1_28TensorListScalarListMetadataIN3c107complexIdEELi2EEENS1_25BinaryOpScalarListFunctorIS6_Li2ELi1ELi1EEEJSt10multipliesIS6_EEEEvT_T0_DpT1_,@function
_ZN2at6native12_GLOBAL__N_125multi_tensor_apply_kernelINS1_28TensorListScalarListMetadataIN3c107complexIdEELi2EEENS1_25BinaryOpScalarListFunctorIS6_Li2ELi1ELi1EEEJSt10multipliesIS6_EEEEvT_T0_DpT1_: ; @_ZN2at6native12_GLOBAL__N_125multi_tensor_apply_kernelINS1_28TensorListScalarListMetadataIN3c107complexIdEELi2EEENS1_25BinaryOpScalarListFunctorIS6_Li2ELi1ELi1EEEJSt10multipliesIS6_EEEEvT_T0_DpT1_
; %bb.0:
	v_mov_b32_e32 v1, 0x800
	s_add_u32 s0, s4, s6
	s_addc_u32 s1, s5, 0
	s_mov_b32 s7, 0
	s_mov_b32 s17, s7
	global_load_ubyte v1, v1, s[0:1] offset:352
	s_lshl_b64 s[0:1], s[6:7], 2
	s_add_u32 s0, s4, s0
	s_addc_u32 s1, s5, s1
	s_load_dword s0, s[0:1], 0xaa0
	s_waitcnt lgkmcnt(0)
	s_ashr_i32 s1, s0, 31
	s_waitcnt vmcnt(0)
	v_readfirstlane_b32 s2, v1
	s_lshl_b32 s6, s2, 3
	s_clause 0x2
	s_load_dwordx2 s[2:3], s[4:5], s6 offset:0x0
	s_load_dwordx2 s[12:13], s[4:5], s6 offset:0x1e0
	;; [unrolled: 1-line block ×3, first 2 shown]
	s_add_u32 s8, s4, s6
	s_addc_u32 s9, s5, 0
	s_lshl_b64 s[20:21], s[0:1], 20
	s_load_dwordx4 s[8:11], s[8:9], s6 offset:0x5a0
	s_waitcnt lgkmcnt(0)
	s_add_u32 s18, s2, s20
	s_addc_u32 s19, s3, s21
	s_and_b32 s6, s18, 63
	s_add_u32 s20, s12, s20
	s_addc_u32 s21, s13, s21
	s_lshl_b64 s[0:1], s[0:1], 16
	s_and_b32 s16, s20, 63
	s_sub_u32 s12, s14, s0
	s_subb_u32 s13, s15, s1
	s_and_b32 s0, s14, 3
	s_mov_b32 s1, s7
	s_or_b64 s[0:1], s[16:17], s[0:1]
	s_or_b64 s[0:1], s[0:1], s[6:7]
	s_cmp_eq_u64 s[0:1], 0
	s_mov_b32 s0, -1
	s_cbranch_scc1 .LBB43_21
; %bb.1:
	v_cmp_lt_i64_e64 s0, s[12:13], 1
	s_and_b32 vcc_lo, exec_lo, s0
	s_cbranch_vccnz .LBB43_20
; %bb.2:
	s_load_dword s0, s[4:5], 0xfb4
	v_cmp_gt_i64_e64 s1, 0x10000, s[12:13]
	v_cmp_gt_u64_e64 s2, 0x10000, s[12:13]
	s_mov_b64 s[16:17], 0
	s_and_b32 s1, s1, exec_lo
	s_cselect_b32 s7, s13, 0
	s_cselect_b32 s6, s12, 0x10000
	s_waitcnt lgkmcnt(0)
	s_and_b32 s22, s0, 0xffff
	s_and_b32 s0, s2, exec_lo
	s_cselect_b32 s15, s13, 0
	s_cselect_b32 s14, s12, 0x10000
	s_lshl_b32 s23, s22, 1
	s_mul_i32 s24, s22, 3
	s_lshl_b32 s25, s22, 2
	s_branch .LBB43_4
.LBB43_3:                               ;   in Loop: Header=BB43_4 Depth=1
	s_or_b32 exec_lo, exec_lo, s0
	s_add_u32 s16, s16, s25
	s_addc_u32 s17, s17, 0
	v_cmp_lt_i64_e64 s0, s[16:17], s[6:7]
	s_and_b32 vcc_lo, exec_lo, s0
	s_cbranch_vccz .LBB43_20
.LBB43_4:                               ; =>This Inner Loop Header: Depth=1
	v_add_co_u32 v17, s0, s16, v0
	v_add_co_ci_u32_e64 v18, null, s17, 0, s0
	s_waitcnt vmcnt(0)
	v_mov_b32_e32 v3, 0
	v_mov_b32_e32 v11, 0
	;; [unrolled: 1-line block ×3, first 2 shown]
	v_cmp_gt_u64_e32 vcc_lo, s[14:15], v[17:18]
	v_mov_b32_e32 v4, 0
	v_mov_b32_e32 v12, 0
	;; [unrolled: 1-line block ×3, first 2 shown]
	s_and_saveexec_b32 s1, vcc_lo
	s_cbranch_execz .LBB43_6
; %bb.5:                                ;   in Loop: Header=BB43_4 Depth=1
	v_lshlrev_b64 v[1:2], 4, v[17:18]
	v_add_co_u32 v1, s0, s18, v1
	v_add_co_ci_u32_e64 v2, null, s19, v2, s0
	global_load_dwordx4 v[9:12], v[1:2], off
.LBB43_6:                               ;   in Loop: Header=BB43_4 Depth=1
	s_or_b32 exec_lo, exec_lo, s1
	v_add_co_u32 v19, s0, v17, s22
	v_add_co_ci_u32_e64 v20, null, 0, v18, s0
	v_mov_b32_e32 v1, 0
	v_mov_b32_e32 v2, 0
	v_cmp_gt_u64_e64 s0, s[14:15], v[19:20]
	s_and_saveexec_b32 s2, s0
	s_cbranch_execz .LBB43_8
; %bb.7:                                ;   in Loop: Header=BB43_4 Depth=1
	v_lshlrev_b64 v[1:2], 4, v[19:20]
	v_add_co_u32 v1, s1, s18, v1
	v_add_co_ci_u32_e64 v2, null, s19, v2, s1
	global_load_dwordx4 v[1:4], v[1:2], off
.LBB43_8:                               ;   in Loop: Header=BB43_4 Depth=1
	s_or_b32 exec_lo, exec_lo, s2
	v_add_co_u32 v21, s1, v17, s23
	v_add_co_ci_u32_e64 v22, null, 0, v18, s1
	v_mov_b32_e32 v7, 0
	v_mov_b32_e32 v15, 0
	;; [unrolled: 1-line block ×3, first 2 shown]
	v_cmp_gt_u64_e64 s1, s[14:15], v[21:22]
	v_mov_b32_e32 v8, 0
	v_mov_b32_e32 v16, 0
	;; [unrolled: 1-line block ×3, first 2 shown]
	s_and_saveexec_b32 s3, s1
	s_cbranch_execz .LBB43_10
; %bb.9:                                ;   in Loop: Header=BB43_4 Depth=1
	v_lshlrev_b64 v[5:6], 4, v[21:22]
	v_add_co_u32 v5, s2, s18, v5
	v_add_co_ci_u32_e64 v6, null, s19, v6, s2
	global_load_dwordx4 v[13:16], v[5:6], off
.LBB43_10:                              ;   in Loop: Header=BB43_4 Depth=1
	s_or_b32 exec_lo, exec_lo, s3
	v_add_co_u32 v23, s2, v17, s24
	v_add_co_ci_u32_e64 v24, null, 0, v18, s2
	v_mov_b32_e32 v5, 0
	v_mov_b32_e32 v6, 0
	v_cmp_gt_u64_e64 s2, s[14:15], v[23:24]
	s_and_saveexec_b32 s26, s2
	s_cbranch_execnz .LBB43_15
; %bb.11:                               ;   in Loop: Header=BB43_4 Depth=1
	s_or_b32 exec_lo, exec_lo, s26
	s_and_saveexec_b32 s3, vcc_lo
	s_cbranch_execnz .LBB43_16
.LBB43_12:                              ;   in Loop: Header=BB43_4 Depth=1
	s_or_b32 exec_lo, exec_lo, s3
	s_and_saveexec_b32 s3, s0
	s_cbranch_execnz .LBB43_17
.LBB43_13:                              ;   in Loop: Header=BB43_4 Depth=1
	s_or_b32 exec_lo, exec_lo, s3
	s_and_saveexec_b32 s0, s1
	s_cbranch_execnz .LBB43_18
.LBB43_14:                              ;   in Loop: Header=BB43_4 Depth=1
	s_or_b32 exec_lo, exec_lo, s0
	s_and_saveexec_b32 s0, s2
	s_cbranch_execz .LBB43_3
	s_branch .LBB43_19
.LBB43_15:                              ;   in Loop: Header=BB43_4 Depth=1
	v_lshlrev_b64 v[5:6], 4, v[23:24]
	v_add_co_u32 v5, s3, s18, v5
	v_add_co_ci_u32_e64 v6, null, s19, v6, s3
	global_load_dwordx4 v[5:8], v[5:6], off
	s_or_b32 exec_lo, exec_lo, s26
	s_and_saveexec_b32 s3, vcc_lo
	s_cbranch_execz .LBB43_12
.LBB43_16:                              ;   in Loop: Header=BB43_4 Depth=1
	s_waitcnt vmcnt(0)
	v_mul_f64 v[25:26], s[10:11], v[9:10]
	v_mul_f64 v[27:28], s[10:11], v[11:12]
	v_lshlrev_b64 v[17:18], 4, v[17:18]
	v_add_co_u32 v17, vcc_lo, s20, v17
	v_add_co_ci_u32_e64 v18, null, s21, v18, vcc_lo
	v_fma_f64 v[11:12], s[8:9], v[11:12], v[25:26]
	v_fma_f64 v[9:10], s[8:9], v[9:10], -v[27:28]
	global_store_dwordx4 v[17:18], v[9:12], off
	s_or_b32 exec_lo, exec_lo, s3
	s_and_saveexec_b32 s3, s0
	s_cbranch_execz .LBB43_13
.LBB43_17:                              ;   in Loop: Header=BB43_4 Depth=1
	s_waitcnt vmcnt(0)
	v_mul_f64 v[9:10], s[10:11], v[3:4]
	v_mul_f64 v[11:12], s[10:11], v[1:2]
	v_fma_f64 v[1:2], s[8:9], v[1:2], -v[9:10]
	v_fma_f64 v[3:4], s[8:9], v[3:4], v[11:12]
	v_lshlrev_b64 v[9:10], 4, v[19:20]
	v_add_co_u32 v9, vcc_lo, s20, v9
	v_add_co_ci_u32_e64 v10, null, s21, v10, vcc_lo
	global_store_dwordx4 v[9:10], v[1:4], off
	s_or_b32 exec_lo, exec_lo, s3
	s_and_saveexec_b32 s0, s1
	s_cbranch_execz .LBB43_14
.LBB43_18:                              ;   in Loop: Header=BB43_4 Depth=1
	s_waitcnt vmcnt(0)
	v_mul_f64 v[1:2], s[10:11], v[15:16]
	v_mul_f64 v[3:4], s[10:11], v[13:14]
	v_lshlrev_b64 v[9:10], 4, v[21:22]
	v_add_co_u32 v9, vcc_lo, s20, v9
	v_add_co_ci_u32_e64 v10, null, s21, v10, vcc_lo
	v_fma_f64 v[1:2], s[8:9], v[13:14], -v[1:2]
	v_fma_f64 v[3:4], s[8:9], v[15:16], v[3:4]
	global_store_dwordx4 v[9:10], v[1:4], off
	s_or_b32 exec_lo, exec_lo, s0
	s_and_saveexec_b32 s0, s2
	s_cbranch_execz .LBB43_3
.LBB43_19:                              ;   in Loop: Header=BB43_4 Depth=1
	s_waitcnt vmcnt(0)
	v_mul_f64 v[1:2], s[10:11], v[7:8]
	v_mul_f64 v[3:4], s[10:11], v[5:6]
	v_fma_f64 v[1:2], s[8:9], v[5:6], -v[1:2]
	v_fma_f64 v[3:4], s[8:9], v[7:8], v[3:4]
	v_lshlrev_b64 v[5:6], 4, v[23:24]
	v_add_co_u32 v5, vcc_lo, s20, v5
	v_add_co_ci_u32_e64 v6, null, s21, v6, vcc_lo
	global_store_dwordx4 v[5:6], v[1:4], off
	s_branch .LBB43_3
.LBB43_20:
	s_mov_b32 s0, 0
.LBB43_21:
	s_andn2_b32 vcc_lo, exec_lo, s0
	s_cbranch_vccnz .LBB43_25
; %bb.22:
	v_cmp_gt_i64_e64 s0, 0x10000, s[12:13]
	s_waitcnt vmcnt(0)
	v_mov_b32_e32 v2, 0
	v_lshlrev_b32_e32 v1, 2, v0
	s_mov_b32 s2, 0
	s_mov_b32 s3, exec_lo
	s_and_b32 s0, s0, exec_lo
	s_cselect_b32 s1, s13, 0
	s_cselect_b32 s0, s12, 0x10000
	v_cmpx_gt_i64_e64 s[0:1], v[1:2]
	s_cbranch_execz .LBB43_25
; %bb.23:
	s_load_dword s3, s[4:5], 0xfb4
	v_mov_b32_e32 v1, v2
	v_lshlrev_b32_e32 v2, 6, v0
	s_waitcnt lgkmcnt(0)
	s_and_b32 s3, s3, 0xffff
	s_lshl_b32 s4, s3, 6
.LBB43_24:                              ; =>This Inner Loop Header: Depth=1
	v_add_co_u32 v15, s5, s18, v2
	v_add_co_ci_u32_e64 v16, null, s19, 0, s5
	v_add_co_u32 v0, vcc_lo, v0, s3
	v_add_co_ci_u32_e64 v1, null, 0, v1, vcc_lo
	s_clause 0x3
	global_load_dwordx4 v[3:6], v[15:16], off
	global_load_dwordx4 v[7:10], v[15:16], off offset:16
	global_load_dwordx4 v[11:14], v[15:16], off offset:32
	;; [unrolled: 1-line block ×3, first 2 shown]
	s_waitcnt vmcnt(3)
	v_mul_f64 v[19:20], s[10:11], v[5:6]
	v_mul_f64 v[5:6], s[8:9], v[5:6]
	s_waitcnt vmcnt(2)
	v_mul_f64 v[21:22], s[10:11], v[9:10]
	v_mul_f64 v[9:10], s[8:9], v[9:10]
	s_waitcnt vmcnt(1)
	v_mul_f64 v[23:24], s[10:11], v[13:14]
	v_mul_f64 v[13:14], s[8:9], v[13:14]
	s_waitcnt vmcnt(0)
	v_mul_f64 v[25:26], s[10:11], v[17:18]
	v_mul_f64 v[27:28], s[8:9], v[17:18]
	v_fma_f64 v[17:18], s[8:9], v[3:4], -v[19:20]
	v_fma_f64 v[19:20], s[10:11], v[3:4], v[5:6]
	v_fma_f64 v[3:4], s[8:9], v[7:8], -v[21:22]
	v_fma_f64 v[5:6], s[10:11], v[7:8], v[9:10]
	;; [unrolled: 2-line block ×4, first 2 shown]
	v_lshlrev_b64 v[21:22], 2, v[0:1]
	v_add_co_u32 v15, s5, s20, v2
	s_add_u32 s20, s20, s4
	v_add_co_ci_u32_e64 v16, null, s21, 0, s5
	v_cmp_le_i64_e32 vcc_lo, s[0:1], v[21:22]
	s_addc_u32 s21, s21, 0
	s_add_u32 s18, s18, s4
	s_addc_u32 s19, s19, 0
	global_store_dwordx4 v[15:16], v[17:20], off
	global_store_dwordx4 v[15:16], v[3:6], off offset:16
	global_store_dwordx4 v[15:16], v[7:10], off offset:32
	;; [unrolled: 1-line block ×3, first 2 shown]
	s_or_b32 s2, vcc_lo, s2
	s_andn2_b32 exec_lo, exec_lo, s2
	s_cbranch_execnz .LBB43_24
.LBB43_25:
	s_endpgm
	.section	.rodata,"a",@progbits
	.p2align	6, 0x0
	.amdhsa_kernel _ZN2at6native12_GLOBAL__N_125multi_tensor_apply_kernelINS1_28TensorListScalarListMetadataIN3c107complexIdEELi2EEENS1_25BinaryOpScalarListFunctorIS6_Li2ELi1ELi1EEEJSt10multipliesIS6_EEEEvT_T0_DpT1_
		.amdhsa_group_segment_fixed_size 0
		.amdhsa_private_segment_fixed_size 0
		.amdhsa_kernarg_size 4264
		.amdhsa_user_sgpr_count 6
		.amdhsa_user_sgpr_private_segment_buffer 1
		.amdhsa_user_sgpr_dispatch_ptr 0
		.amdhsa_user_sgpr_queue_ptr 0
		.amdhsa_user_sgpr_kernarg_segment_ptr 1
		.amdhsa_user_sgpr_dispatch_id 0
		.amdhsa_user_sgpr_flat_scratch_init 0
		.amdhsa_user_sgpr_private_segment_size 0
		.amdhsa_wavefront_size32 1
		.amdhsa_uses_dynamic_stack 0
		.amdhsa_system_sgpr_private_segment_wavefront_offset 0
		.amdhsa_system_sgpr_workgroup_id_x 1
		.amdhsa_system_sgpr_workgroup_id_y 0
		.amdhsa_system_sgpr_workgroup_id_z 0
		.amdhsa_system_sgpr_workgroup_info 0
		.amdhsa_system_vgpr_workitem_id 0
		.amdhsa_next_free_vgpr 29
		.amdhsa_next_free_sgpr 27
		.amdhsa_reserve_vcc 1
		.amdhsa_reserve_flat_scratch 0
		.amdhsa_float_round_mode_32 0
		.amdhsa_float_round_mode_16_64 0
		.amdhsa_float_denorm_mode_32 3
		.amdhsa_float_denorm_mode_16_64 3
		.amdhsa_dx10_clamp 1
		.amdhsa_ieee_mode 1
		.amdhsa_fp16_overflow 0
		.amdhsa_workgroup_processor_mode 1
		.amdhsa_memory_ordered 1
		.amdhsa_forward_progress 1
		.amdhsa_shared_vgpr_count 0
		.amdhsa_exception_fp_ieee_invalid_op 0
		.amdhsa_exception_fp_denorm_src 0
		.amdhsa_exception_fp_ieee_div_zero 0
		.amdhsa_exception_fp_ieee_overflow 0
		.amdhsa_exception_fp_ieee_underflow 0
		.amdhsa_exception_fp_ieee_inexact 0
		.amdhsa_exception_int_div_zero 0
	.end_amdhsa_kernel
	.section	.text._ZN2at6native12_GLOBAL__N_125multi_tensor_apply_kernelINS1_28TensorListScalarListMetadataIN3c107complexIdEELi2EEENS1_25BinaryOpScalarListFunctorIS6_Li2ELi1ELi1EEEJSt10multipliesIS6_EEEEvT_T0_DpT1_,"axG",@progbits,_ZN2at6native12_GLOBAL__N_125multi_tensor_apply_kernelINS1_28TensorListScalarListMetadataIN3c107complexIdEELi2EEENS1_25BinaryOpScalarListFunctorIS6_Li2ELi1ELi1EEEJSt10multipliesIS6_EEEEvT_T0_DpT1_,comdat
.Lfunc_end43:
	.size	_ZN2at6native12_GLOBAL__N_125multi_tensor_apply_kernelINS1_28TensorListScalarListMetadataIN3c107complexIdEELi2EEENS1_25BinaryOpScalarListFunctorIS6_Li2ELi1ELi1EEEJSt10multipliesIS6_EEEEvT_T0_DpT1_, .Lfunc_end43-_ZN2at6native12_GLOBAL__N_125multi_tensor_apply_kernelINS1_28TensorListScalarListMetadataIN3c107complexIdEELi2EEENS1_25BinaryOpScalarListFunctorIS6_Li2ELi1ELi1EEEJSt10multipliesIS6_EEEEvT_T0_DpT1_
                                        ; -- End function
	.set _ZN2at6native12_GLOBAL__N_125multi_tensor_apply_kernelINS1_28TensorListScalarListMetadataIN3c107complexIdEELi2EEENS1_25BinaryOpScalarListFunctorIS6_Li2ELi1ELi1EEEJSt10multipliesIS6_EEEEvT_T0_DpT1_.num_vgpr, 29
	.set _ZN2at6native12_GLOBAL__N_125multi_tensor_apply_kernelINS1_28TensorListScalarListMetadataIN3c107complexIdEELi2EEENS1_25BinaryOpScalarListFunctorIS6_Li2ELi1ELi1EEEJSt10multipliesIS6_EEEEvT_T0_DpT1_.num_agpr, 0
	.set _ZN2at6native12_GLOBAL__N_125multi_tensor_apply_kernelINS1_28TensorListScalarListMetadataIN3c107complexIdEELi2EEENS1_25BinaryOpScalarListFunctorIS6_Li2ELi1ELi1EEEJSt10multipliesIS6_EEEEvT_T0_DpT1_.numbered_sgpr, 27
	.set _ZN2at6native12_GLOBAL__N_125multi_tensor_apply_kernelINS1_28TensorListScalarListMetadataIN3c107complexIdEELi2EEENS1_25BinaryOpScalarListFunctorIS6_Li2ELi1ELi1EEEJSt10multipliesIS6_EEEEvT_T0_DpT1_.num_named_barrier, 0
	.set _ZN2at6native12_GLOBAL__N_125multi_tensor_apply_kernelINS1_28TensorListScalarListMetadataIN3c107complexIdEELi2EEENS1_25BinaryOpScalarListFunctorIS6_Li2ELi1ELi1EEEJSt10multipliesIS6_EEEEvT_T0_DpT1_.private_seg_size, 0
	.set _ZN2at6native12_GLOBAL__N_125multi_tensor_apply_kernelINS1_28TensorListScalarListMetadataIN3c107complexIdEELi2EEENS1_25BinaryOpScalarListFunctorIS6_Li2ELi1ELi1EEEJSt10multipliesIS6_EEEEvT_T0_DpT1_.uses_vcc, 1
	.set _ZN2at6native12_GLOBAL__N_125multi_tensor_apply_kernelINS1_28TensorListScalarListMetadataIN3c107complexIdEELi2EEENS1_25BinaryOpScalarListFunctorIS6_Li2ELi1ELi1EEEJSt10multipliesIS6_EEEEvT_T0_DpT1_.uses_flat_scratch, 0
	.set _ZN2at6native12_GLOBAL__N_125multi_tensor_apply_kernelINS1_28TensorListScalarListMetadataIN3c107complexIdEELi2EEENS1_25BinaryOpScalarListFunctorIS6_Li2ELi1ELi1EEEJSt10multipliesIS6_EEEEvT_T0_DpT1_.has_dyn_sized_stack, 0
	.set _ZN2at6native12_GLOBAL__N_125multi_tensor_apply_kernelINS1_28TensorListScalarListMetadataIN3c107complexIdEELi2EEENS1_25BinaryOpScalarListFunctorIS6_Li2ELi1ELi1EEEJSt10multipliesIS6_EEEEvT_T0_DpT1_.has_recursion, 0
	.set _ZN2at6native12_GLOBAL__N_125multi_tensor_apply_kernelINS1_28TensorListScalarListMetadataIN3c107complexIdEELi2EEENS1_25BinaryOpScalarListFunctorIS6_Li2ELi1ELi1EEEJSt10multipliesIS6_EEEEvT_T0_DpT1_.has_indirect_call, 0
	.section	.AMDGPU.csdata,"",@progbits
; Kernel info:
; codeLenInByte = 1444
; TotalNumSgprs: 29
; NumVgprs: 29
; ScratchSize: 0
; MemoryBound: 1
; FloatMode: 240
; IeeeMode: 1
; LDSByteSize: 0 bytes/workgroup (compile time only)
; SGPRBlocks: 0
; VGPRBlocks: 3
; NumSGPRsForWavesPerEU: 29
; NumVGPRsForWavesPerEU: 29
; Occupancy: 16
; WaveLimiterHint : 0
; COMPUTE_PGM_RSRC2:SCRATCH_EN: 0
; COMPUTE_PGM_RSRC2:USER_SGPR: 6
; COMPUTE_PGM_RSRC2:TRAP_HANDLER: 0
; COMPUTE_PGM_RSRC2:TGID_X_EN: 1
; COMPUTE_PGM_RSRC2:TGID_Y_EN: 0
; COMPUTE_PGM_RSRC2:TGID_Z_EN: 0
; COMPUTE_PGM_RSRC2:TIDIG_COMP_CNT: 0
	.section	.text._ZN2at6native12_GLOBAL__N_125multi_tensor_apply_kernelINS1_28TensorListScalarListMetadataIN3c107complexIfEELi2EEENS1_25BinaryOpScalarListFunctorIS6_Li2ELi1ELi1EEEJSt10multipliesIS6_EEEEvT_T0_DpT1_,"axG",@progbits,_ZN2at6native12_GLOBAL__N_125multi_tensor_apply_kernelINS1_28TensorListScalarListMetadataIN3c107complexIfEELi2EEENS1_25BinaryOpScalarListFunctorIS6_Li2ELi1ELi1EEEJSt10multipliesIS6_EEEEvT_T0_DpT1_,comdat
	.globl	_ZN2at6native12_GLOBAL__N_125multi_tensor_apply_kernelINS1_28TensorListScalarListMetadataIN3c107complexIfEELi2EEENS1_25BinaryOpScalarListFunctorIS6_Li2ELi1ELi1EEEJSt10multipliesIS6_EEEEvT_T0_DpT1_ ; -- Begin function _ZN2at6native12_GLOBAL__N_125multi_tensor_apply_kernelINS1_28TensorListScalarListMetadataIN3c107complexIfEELi2EEENS1_25BinaryOpScalarListFunctorIS6_Li2ELi1ELi1EEEJSt10multipliesIS6_EEEEvT_T0_DpT1_
	.p2align	8
	.type	_ZN2at6native12_GLOBAL__N_125multi_tensor_apply_kernelINS1_28TensorListScalarListMetadataIN3c107complexIfEELi2EEENS1_25BinaryOpScalarListFunctorIS6_Li2ELi1ELi1EEEJSt10multipliesIS6_EEEEvT_T0_DpT1_,@function
_ZN2at6native12_GLOBAL__N_125multi_tensor_apply_kernelINS1_28TensorListScalarListMetadataIN3c107complexIfEELi2EEENS1_25BinaryOpScalarListFunctorIS6_Li2ELi1ELi1EEEJSt10multipliesIS6_EEEEvT_T0_DpT1_: ; @_ZN2at6native12_GLOBAL__N_125multi_tensor_apply_kernelINS1_28TensorListScalarListMetadataIN3c107complexIfEELi2EEENS1_25BinaryOpScalarListFunctorIS6_Li2ELi1ELi1EEEJSt10multipliesIS6_EEEEvT_T0_DpT1_
; %bb.0:
	s_add_u32 s6, s6, s9
	s_addc_u32 s7, s7, 0
	s_setreg_b32 hwreg(HW_REG_FLAT_SCR_LO), s6
	s_setreg_b32 hwreg(HW_REG_FLAT_SCR_HI), s7
	s_add_u32 s0, s0, s9
	v_mov_b32_e32 v1, 0x800
	s_addc_u32 s1, s1, 0
	s_add_u32 s6, s4, s8
	s_addc_u32 s7, s5, 0
	s_mov_b32 s9, 0
	global_load_ubyte v1, v1, s[6:7]
	s_lshl_b64 s[6:7], s[8:9], 2
	s_mov_b32 s25, s9
	s_add_u32 s6, s4, s6
	s_addc_u32 s7, s5, s7
	s_load_dword s6, s[6:7], 0x940
	s_waitcnt vmcnt(0)
	v_readfirstlane_b32 s7, v1
	s_lshl_b32 s7, s7, 3
	s_clause 0x3
	s_load_dwordx2 s[12:13], s[4:5], s7 offset:0x0
	s_load_dwordx2 s[10:11], s[4:5], s7 offset:0x600
	;; [unrolled: 1-line block ×4, first 2 shown]
	s_waitcnt lgkmcnt(0)
	s_ashr_i32 s7, s6, 31
	s_lshl_b64 s[18:19], s[6:7], 19
	s_add_u32 s20, s12, s18
	s_addc_u32 s21, s13, s19
	s_and_b32 s8, s20, 31
	s_add_u32 s22, s14, s18
	s_addc_u32 s23, s15, s19
	s_lshl_b64 s[6:7], s[6:7], 16
	s_and_b32 s24, s22, 31
	s_sub_u32 s12, s16, s6
	s_subb_u32 s13, s17, s7
	s_and_b32 s6, s16, 3
	s_mov_b32 s7, s9
	s_or_b64 s[6:7], s[24:25], s[6:7]
	s_or_b64 s[6:7], s[6:7], s[8:9]
	s_cmp_eq_u64 s[6:7], 0
	s_mov_b32 s6, -1
	s_cbranch_scc1 .LBB44_19
; %bb.1:
	v_cmp_lt_i64_e64 s6, s[12:13], 1
	s_and_b32 vcc_lo, exec_lo, s6
	s_cbranch_vccnz .LBB44_18
; %bb.2:
	s_load_dword s6, s[4:5], 0xe54
	v_cmp_gt_i64_e64 s7, 0x10000, s[12:13]
	s_mov_b64 s[8:9], src_private_base
	v_cmp_gt_u64_e64 s8, 0x10000, s[12:13]
	v_mov_b32_e32 v15, 0
	s_mov_b64 s[18:19], 0
	s_and_b32 s7, s7, exec_lo
	s_cselect_b32 s15, s13, 0
	s_cselect_b32 s14, s12, 0x10000
	s_waitcnt lgkmcnt(0)
	s_and_b32 s24, s6, 0xffff
	s_and_b32 s6, s8, exec_lo
	s_cselect_b32 s17, s13, 0
	s_cselect_b32 s16, s12, 0x10000
	s_lshl_b32 s25, s24, 1
	s_mul_i32 s26, s24, 3
	s_lshl_b32 s27, s24, 2
	s_branch .LBB44_4
.LBB44_3:                               ;   in Loop: Header=BB44_4 Depth=1
	s_or_b32 exec_lo, exec_lo, s6
	s_add_u32 s18, s18, s27
	s_addc_u32 s19, s19, 0
	v_cmp_lt_i64_e64 s6, s[18:19], s[14:15]
	s_and_b32 vcc_lo, exec_lo, s6
	s_cbranch_vccz .LBB44_18
.LBB44_4:                               ; =>This Inner Loop Header: Depth=1
	v_add_co_u32 v5, s6, s18, v0
	v_add_co_ci_u32_e64 v6, null, s19, 0, s6
	v_mov_b32_e32 v4, 0
	v_mov_b32_e32 v3, 0
	v_cmp_gt_u64_e32 vcc_lo, s[16:17], v[5:6]
	s_and_saveexec_b32 s7, vcc_lo
	s_cbranch_execz .LBB44_6
; %bb.5:                                ;   in Loop: Header=BB44_4 Depth=1
	v_lshlrev_b64 v[1:2], 3, v[5:6]
	v_add_co_u32 v1, s6, s20, v1
	v_add_co_ci_u32_e64 v2, null, s21, v2, s6
	global_load_dwordx2 v[3:4], v[1:2], off
.LBB44_6:                               ;   in Loop: Header=BB44_4 Depth=1
	s_or_b32 exec_lo, exec_lo, s7
	v_add_co_u32 v1, s6, v5, s24
	v_add_co_ci_u32_e64 v2, null, 0, v6, s6
	v_mov_b32_e32 v10, 0
	v_mov_b32_e32 v9, 0
	v_cmp_gt_u64_e64 s6, s[16:17], v[1:2]
	s_and_saveexec_b32 s8, s6
	s_cbranch_execz .LBB44_8
; %bb.7:                                ;   in Loop: Header=BB44_4 Depth=1
	v_lshlrev_b64 v[7:8], 3, v[1:2]
	v_add_co_u32 v7, s7, s20, v7
	v_add_co_ci_u32_e64 v8, null, s21, v8, s7
	global_load_dwordx2 v[9:10], v[7:8], off
.LBB44_8:                               ;   in Loop: Header=BB44_4 Depth=1
	s_or_b32 exec_lo, exec_lo, s8
	v_add_co_u32 v7, s7, v5, s25
	v_add_co_ci_u32_e64 v8, null, 0, v6, s7
	v_mov_b32_e32 v13, 0
	v_mov_b32_e32 v14, 0
	v_cmp_gt_u64_e64 s7, s[16:17], v[7:8]
	s_and_saveexec_b32 s28, s7
	s_cbranch_execz .LBB44_10
; %bb.9:                                ;   in Loop: Header=BB44_4 Depth=1
	v_lshlrev_b64 v[11:12], 3, v[7:8]
	v_add_co_u32 v11, s8, s20, v11
	v_add_co_ci_u32_e64 v12, null, s21, v12, s8
	global_load_dwordx2 v[13:14], v[11:12], off
.LBB44_10:                              ;   in Loop: Header=BB44_4 Depth=1
	s_or_b32 exec_lo, exec_lo, s28
	v_add_co_u32 v16, s8, v5, s26
	v_add_co_ci_u32_e64 v17, null, 0, v6, s8
	buffer_store_dword v15, off, s[0:3], 0
	buffer_store_dword v15, off, s[0:3], 0 offset:4
	v_lshlrev_b64 v[11:12], 3, v[16:17]
	v_add_co_u32 v18, s8, s20, v11
	v_add_co_ci_u32_e64 v19, null, s21, v12, s8
	v_cmp_gt_u64_e64 s8, s[16:17], v[16:17]
	v_cndmask_b32_e64 v17, s9, v19, s8
	v_cndmask_b32_e64 v16, 0, v18, s8
	flat_load_dwordx2 v[16:17], v[16:17]
	s_waitcnt vmcnt(0) lgkmcnt(0)
	v_mul_f32_e32 v18, s11, v17
	v_mul_f32_e32 v17, s10, v17
	v_fma_f32 v18, s10, v16, -v18
	v_fmac_f32_e32 v17, s11, v16
	buffer_store_dword v18, off, s[0:3], 0
	buffer_store_dword v17, off, s[0:3], 0 offset:4
	s_and_saveexec_b32 s28, vcc_lo
	s_cbranch_execnz .LBB44_14
; %bb.11:                               ;   in Loop: Header=BB44_4 Depth=1
	s_or_b32 exec_lo, exec_lo, s28
	s_and_saveexec_b32 s28, s6
	s_cbranch_execnz .LBB44_15
.LBB44_12:                              ;   in Loop: Header=BB44_4 Depth=1
	s_or_b32 exec_lo, exec_lo, s28
	s_and_saveexec_b32 s6, s7
	s_cbranch_execnz .LBB44_16
.LBB44_13:                              ;   in Loop: Header=BB44_4 Depth=1
	s_or_b32 exec_lo, exec_lo, s6
	s_and_saveexec_b32 s6, s8
	s_cbranch_execz .LBB44_3
	s_branch .LBB44_17
.LBB44_14:                              ;   in Loop: Header=BB44_4 Depth=1
	v_lshlrev_b64 v[5:6], 3, v[5:6]
	v_mul_f32_e32 v16, s11, v4
	v_mul_f32_e32 v17, s11, v3
	v_fma_f32 v16, v3, s10, -v16
	v_add_co_u32 v5, vcc_lo, s22, v5
	v_add_co_ci_u32_e64 v6, null, s23, v6, vcc_lo
	v_fmac_f32_e32 v17, s10, v4
	global_store_dwordx2 v[5:6], v[16:17], off
	s_or_b32 exec_lo, exec_lo, s28
	s_and_saveexec_b32 s28, s6
	s_cbranch_execz .LBB44_12
.LBB44_15:                              ;   in Loop: Header=BB44_4 Depth=1
	v_lshlrev_b64 v[4:5], 3, v[1:2]
	v_mul_f32_e32 v6, s11, v10
	v_mul_f32_e32 v3, s11, v9
	v_fma_f32 v2, v9, s10, -v6
	v_add_co_u32 v4, vcc_lo, s22, v4
	v_fmac_f32_e32 v3, s10, v10
	v_add_co_ci_u32_e64 v5, null, s23, v5, vcc_lo
	global_store_dwordx2 v[4:5], v[2:3], off
	s_or_b32 exec_lo, exec_lo, s28
	s_and_saveexec_b32 s6, s7
	s_cbranch_execz .LBB44_13
.LBB44_16:                              ;   in Loop: Header=BB44_4 Depth=1
	v_lshlrev_b64 v[3:4], 3, v[7:8]
	v_mul_f32_e32 v1, s11, v14
	v_mul_f32_e32 v2, s10, v14
	v_fma_f32 v1, s10, v13, -v1
	v_add_co_u32 v3, vcc_lo, s22, v3
	v_fmac_f32_e32 v2, s11, v13
	v_add_co_ci_u32_e64 v4, null, s23, v4, vcc_lo
	global_store_dwordx2 v[3:4], v[1:2], off
	s_or_b32 exec_lo, exec_lo, s6
	s_and_saveexec_b32 s6, s8
	s_cbranch_execz .LBB44_3
.LBB44_17:                              ;   in Loop: Header=BB44_4 Depth=1
	s_clause 0x1
	buffer_load_dword v1, off, s[0:3], 0
	buffer_load_dword v2, off, s[0:3], 0 offset:4
	v_add_co_u32 v3, vcc_lo, s22, v11
	v_add_co_ci_u32_e64 v4, null, s23, v12, vcc_lo
	s_waitcnt vmcnt(0)
	global_store_dwordx2 v[3:4], v[1:2], off
	s_branch .LBB44_3
.LBB44_18:
	s_mov_b32 s6, 0
.LBB44_19:
	s_andn2_b32 vcc_lo, exec_lo, s6
	s_cbranch_vccnz .LBB44_23
; %bb.20:
	v_cmp_gt_i64_e64 s6, 0x10000, s[12:13]
	v_mov_b32_e32 v2, 0
	v_lshlrev_b32_e32 v1, 2, v0
	s_mov_b32 s8, 0
	s_mov_b32 s9, exec_lo
	s_and_b32 s6, s6, exec_lo
	s_cselect_b32 s7, s13, 0
	s_cselect_b32 s6, s12, 0x10000
	v_cmpx_gt_i64_e64 s[6:7], v[1:2]
	s_cbranch_execz .LBB44_23
; %bb.21:
	s_load_dword s4, s[4:5], 0xe54
	v_mov_b32_e32 v1, v2
	v_lshlrev_b32_e32 v2, 5, v0
	s_waitcnt lgkmcnt(0)
	s_and_b32 s4, s4, 0xffff
	s_lshl_b32 s5, s4, 5
.LBB44_22:                              ; =>This Inner Loop Header: Depth=1
	v_add_co_u32 v7, s9, s20, v2
	v_add_co_ci_u32_e64 v8, null, s21, 0, s9
	v_add_co_u32 v0, vcc_lo, v0, s4
	v_add_co_ci_u32_e64 v1, null, 0, v1, vcc_lo
	s_clause 0x1
	global_load_dwordx4 v[3:6], v[7:8], off
	global_load_dwordx4 v[7:10], v[7:8], off offset:16
	v_add_co_u32 v14, s9, s22, v2
	v_lshlrev_b64 v[11:12], 2, v[0:1]
	s_add_u32 s22, s22, s5
	v_add_co_ci_u32_e64 v15, null, s23, 0, s9
	s_addc_u32 s23, s23, 0
	s_add_u32 s20, s20, s5
	v_cmp_le_i64_e32 vcc_lo, s[6:7], v[11:12]
	s_addc_u32 s21, s21, 0
	s_or_b32 s8, vcc_lo, s8
	s_waitcnt vmcnt(1)
	v_mul_f32_e32 v12, s11, v4
	v_mul_f32_e32 v11, s10, v4
	;; [unrolled: 1-line block ×4, first 2 shown]
	s_waitcnt vmcnt(0)
	v_mul_f32_e32 v17, s11, v8
	v_mul_f32_e32 v4, s10, v8
	;; [unrolled: 1-line block ×4, first 2 shown]
	v_fma_f32 v10, v3, s10, -v12
	v_fmac_f32_e32 v11, s11, v3
	v_fma_f32 v12, v5, s10, -v16
	v_fmac_f32_e32 v13, s11, v5
	;; [unrolled: 2-line block ×4, first 2 shown]
	buffer_store_dword v5, off, s[0:3], 0
	buffer_store_dword v6, off, s[0:3], 0 offset:4
	global_store_dwordx4 v[14:15], v[10:13], off
	global_store_dwordx4 v[14:15], v[3:6], off offset:16
	s_andn2_b32 exec_lo, exec_lo, s8
	s_cbranch_execnz .LBB44_22
.LBB44_23:
	s_endpgm
	.section	.rodata,"a",@progbits
	.p2align	6, 0x0
	.amdhsa_kernel _ZN2at6native12_GLOBAL__N_125multi_tensor_apply_kernelINS1_28TensorListScalarListMetadataIN3c107complexIfEELi2EEENS1_25BinaryOpScalarListFunctorIS6_Li2ELi1ELi1EEEJSt10multipliesIS6_EEEEvT_T0_DpT1_
		.amdhsa_group_segment_fixed_size 0
		.amdhsa_private_segment_fixed_size 16
		.amdhsa_kernarg_size 3912
		.amdhsa_user_sgpr_count 8
		.amdhsa_user_sgpr_private_segment_buffer 1
		.amdhsa_user_sgpr_dispatch_ptr 0
		.amdhsa_user_sgpr_queue_ptr 0
		.amdhsa_user_sgpr_kernarg_segment_ptr 1
		.amdhsa_user_sgpr_dispatch_id 0
		.amdhsa_user_sgpr_flat_scratch_init 1
		.amdhsa_user_sgpr_private_segment_size 0
		.amdhsa_wavefront_size32 1
		.amdhsa_uses_dynamic_stack 0
		.amdhsa_system_sgpr_private_segment_wavefront_offset 1
		.amdhsa_system_sgpr_workgroup_id_x 1
		.amdhsa_system_sgpr_workgroup_id_y 0
		.amdhsa_system_sgpr_workgroup_id_z 0
		.amdhsa_system_sgpr_workgroup_info 0
		.amdhsa_system_vgpr_workitem_id 0
		.amdhsa_next_free_vgpr 20
		.amdhsa_next_free_sgpr 29
		.amdhsa_reserve_vcc 1
		.amdhsa_reserve_flat_scratch 1
		.amdhsa_float_round_mode_32 0
		.amdhsa_float_round_mode_16_64 0
		.amdhsa_float_denorm_mode_32 3
		.amdhsa_float_denorm_mode_16_64 3
		.amdhsa_dx10_clamp 1
		.amdhsa_ieee_mode 1
		.amdhsa_fp16_overflow 0
		.amdhsa_workgroup_processor_mode 1
		.amdhsa_memory_ordered 1
		.amdhsa_forward_progress 1
		.amdhsa_shared_vgpr_count 0
		.amdhsa_exception_fp_ieee_invalid_op 0
		.amdhsa_exception_fp_denorm_src 0
		.amdhsa_exception_fp_ieee_div_zero 0
		.amdhsa_exception_fp_ieee_overflow 0
		.amdhsa_exception_fp_ieee_underflow 0
		.amdhsa_exception_fp_ieee_inexact 0
		.amdhsa_exception_int_div_zero 0
	.end_amdhsa_kernel
	.section	.text._ZN2at6native12_GLOBAL__N_125multi_tensor_apply_kernelINS1_28TensorListScalarListMetadataIN3c107complexIfEELi2EEENS1_25BinaryOpScalarListFunctorIS6_Li2ELi1ELi1EEEJSt10multipliesIS6_EEEEvT_T0_DpT1_,"axG",@progbits,_ZN2at6native12_GLOBAL__N_125multi_tensor_apply_kernelINS1_28TensorListScalarListMetadataIN3c107complexIfEELi2EEENS1_25BinaryOpScalarListFunctorIS6_Li2ELi1ELi1EEEJSt10multipliesIS6_EEEEvT_T0_DpT1_,comdat
.Lfunc_end44:
	.size	_ZN2at6native12_GLOBAL__N_125multi_tensor_apply_kernelINS1_28TensorListScalarListMetadataIN3c107complexIfEELi2EEENS1_25BinaryOpScalarListFunctorIS6_Li2ELi1ELi1EEEJSt10multipliesIS6_EEEEvT_T0_DpT1_, .Lfunc_end44-_ZN2at6native12_GLOBAL__N_125multi_tensor_apply_kernelINS1_28TensorListScalarListMetadataIN3c107complexIfEELi2EEENS1_25BinaryOpScalarListFunctorIS6_Li2ELi1ELi1EEEJSt10multipliesIS6_EEEEvT_T0_DpT1_
                                        ; -- End function
	.set _ZN2at6native12_GLOBAL__N_125multi_tensor_apply_kernelINS1_28TensorListScalarListMetadataIN3c107complexIfEELi2EEENS1_25BinaryOpScalarListFunctorIS6_Li2ELi1ELi1EEEJSt10multipliesIS6_EEEEvT_T0_DpT1_.num_vgpr, 20
	.set _ZN2at6native12_GLOBAL__N_125multi_tensor_apply_kernelINS1_28TensorListScalarListMetadataIN3c107complexIfEELi2EEENS1_25BinaryOpScalarListFunctorIS6_Li2ELi1ELi1EEEJSt10multipliesIS6_EEEEvT_T0_DpT1_.num_agpr, 0
	.set _ZN2at6native12_GLOBAL__N_125multi_tensor_apply_kernelINS1_28TensorListScalarListMetadataIN3c107complexIfEELi2EEENS1_25BinaryOpScalarListFunctorIS6_Li2ELi1ELi1EEEJSt10multipliesIS6_EEEEvT_T0_DpT1_.numbered_sgpr, 29
	.set _ZN2at6native12_GLOBAL__N_125multi_tensor_apply_kernelINS1_28TensorListScalarListMetadataIN3c107complexIfEELi2EEENS1_25BinaryOpScalarListFunctorIS6_Li2ELi1ELi1EEEJSt10multipliesIS6_EEEEvT_T0_DpT1_.num_named_barrier, 0
	.set _ZN2at6native12_GLOBAL__N_125multi_tensor_apply_kernelINS1_28TensorListScalarListMetadataIN3c107complexIfEELi2EEENS1_25BinaryOpScalarListFunctorIS6_Li2ELi1ELi1EEEJSt10multipliesIS6_EEEEvT_T0_DpT1_.private_seg_size, 16
	.set _ZN2at6native12_GLOBAL__N_125multi_tensor_apply_kernelINS1_28TensorListScalarListMetadataIN3c107complexIfEELi2EEENS1_25BinaryOpScalarListFunctorIS6_Li2ELi1ELi1EEEJSt10multipliesIS6_EEEEvT_T0_DpT1_.uses_vcc, 1
	.set _ZN2at6native12_GLOBAL__N_125multi_tensor_apply_kernelINS1_28TensorListScalarListMetadataIN3c107complexIfEELi2EEENS1_25BinaryOpScalarListFunctorIS6_Li2ELi1ELi1EEEJSt10multipliesIS6_EEEEvT_T0_DpT1_.uses_flat_scratch, 1
	.set _ZN2at6native12_GLOBAL__N_125multi_tensor_apply_kernelINS1_28TensorListScalarListMetadataIN3c107complexIfEELi2EEENS1_25BinaryOpScalarListFunctorIS6_Li2ELi1ELi1EEEJSt10multipliesIS6_EEEEvT_T0_DpT1_.has_dyn_sized_stack, 0
	.set _ZN2at6native12_GLOBAL__N_125multi_tensor_apply_kernelINS1_28TensorListScalarListMetadataIN3c107complexIfEELi2EEENS1_25BinaryOpScalarListFunctorIS6_Li2ELi1ELi1EEEJSt10multipliesIS6_EEEEvT_T0_DpT1_.has_recursion, 0
	.set _ZN2at6native12_GLOBAL__N_125multi_tensor_apply_kernelINS1_28TensorListScalarListMetadataIN3c107complexIfEELi2EEENS1_25BinaryOpScalarListFunctorIS6_Li2ELi1ELi1EEEJSt10multipliesIS6_EEEEvT_T0_DpT1_.has_indirect_call, 0
	.section	.AMDGPU.csdata,"",@progbits
; Kernel info:
; codeLenInByte = 1324
; TotalNumSgprs: 31
; NumVgprs: 20
; ScratchSize: 16
; MemoryBound: 0
; FloatMode: 240
; IeeeMode: 1
; LDSByteSize: 0 bytes/workgroup (compile time only)
; SGPRBlocks: 0
; VGPRBlocks: 2
; NumSGPRsForWavesPerEU: 31
; NumVGPRsForWavesPerEU: 20
; Occupancy: 16
; WaveLimiterHint : 1
; COMPUTE_PGM_RSRC2:SCRATCH_EN: 1
; COMPUTE_PGM_RSRC2:USER_SGPR: 8
; COMPUTE_PGM_RSRC2:TRAP_HANDLER: 0
; COMPUTE_PGM_RSRC2:TGID_X_EN: 1
; COMPUTE_PGM_RSRC2:TGID_Y_EN: 0
; COMPUTE_PGM_RSRC2:TGID_Z_EN: 0
; COMPUTE_PGM_RSRC2:TIDIG_COMP_CNT: 0
	.section	.text._ZN2at6native12_GLOBAL__N_125multi_tensor_apply_kernelINS1_28TensorListScalarListMetadataIbLi2EEENS1_25BinaryOpScalarListFunctorIbLi2ELi1ELi1EEEJSt10multipliesIbEEEEvT_T0_DpT1_,"axG",@progbits,_ZN2at6native12_GLOBAL__N_125multi_tensor_apply_kernelINS1_28TensorListScalarListMetadataIbLi2EEENS1_25BinaryOpScalarListFunctorIbLi2ELi1ELi1EEEJSt10multipliesIbEEEEvT_T0_DpT1_,comdat
	.globl	_ZN2at6native12_GLOBAL__N_125multi_tensor_apply_kernelINS1_28TensorListScalarListMetadataIbLi2EEENS1_25BinaryOpScalarListFunctorIbLi2ELi1ELi1EEEJSt10multipliesIbEEEEvT_T0_DpT1_ ; -- Begin function _ZN2at6native12_GLOBAL__N_125multi_tensor_apply_kernelINS1_28TensorListScalarListMetadataIbLi2EEENS1_25BinaryOpScalarListFunctorIbLi2ELi1ELi1EEEJSt10multipliesIbEEEEvT_T0_DpT1_
	.p2align	8
	.type	_ZN2at6native12_GLOBAL__N_125multi_tensor_apply_kernelINS1_28TensorListScalarListMetadataIbLi2EEENS1_25BinaryOpScalarListFunctorIbLi2ELi1ELi1EEEJSt10multipliesIbEEEEvT_T0_DpT1_,@function
_ZN2at6native12_GLOBAL__N_125multi_tensor_apply_kernelINS1_28TensorListScalarListMetadataIbLi2EEENS1_25BinaryOpScalarListFunctorIbLi2ELi1ELi1EEEJSt10multipliesIbEEEEvT_T0_DpT1_: ; @_ZN2at6native12_GLOBAL__N_125multi_tensor_apply_kernelINS1_28TensorListScalarListMetadataIbLi2EEENS1_25BinaryOpScalarListFunctorIbLi2ELi1ELi1EEEJSt10multipliesIbEEEEvT_T0_DpT1_
; %bb.0:
	v_mov_b32_e32 v1, s6
	s_mul_hi_u32 s1, s6, 3
	global_load_ubyte v3, v1, s[4:5] offset:1600
	s_waitcnt vmcnt(0)
	v_add_co_u32 v1, s0, s4, v3
	v_add_co_ci_u32_e64 v2, null, s5, 0, s0
	s_add_u32 s0, s4, s6
	s_mul_i32 s6, s6, 3
	s_addc_u32 s2, s5, 0
	global_load_ubyte v1, v[1:2], off offset:1536
	s_add_u32 s0, s0, s6
	s_addc_u32 s1, s2, s1
	v_readfirstlane_b32 s2, v3
	s_load_dword s0, s[0:1], 0x780
	s_lshl_b32 s1, s2, 3
	s_clause 0x2
	s_load_dwordx2 s[6:7], s[4:5], s1 offset:0x0
	s_load_dwordx2 s[2:3], s[4:5], s1 offset:0x400
	;; [unrolled: 1-line block ×3, first 2 shown]
	s_waitcnt lgkmcnt(0)
	s_ashr_i32 s1, s0, 31
	s_lshl_b64 s[10:11], s[0:1], 16
	s_add_u32 s0, s6, s10
	s_waitcnt vmcnt(0)
	v_readfirstlane_b32 s12, v1
	s_bitcmp1_b32 s12, 0
	s_cselect_b32 s20, -1, 0
	s_sub_u32 s12, s2, s10
	s_subb_u32 s13, s3, s11
	s_or_b32 s1, s2, s8
	s_or_b32 s0, s1, s0
	s_and_b32 s0, s0, 3
	s_cmp_eq_u32 s0, 0
	s_mov_b32 s0, -1
	s_cbranch_scc1 .LBB45_21
; %bb.1:
	v_cmp_lt_i64_e64 s0, s[12:13], 1
	s_and_b32 vcc_lo, exec_lo, s0
	s_cbranch_vccnz .LBB45_20
; %bb.2:
	s_load_dword s0, s[4:5], 0xc94
	v_cmp_gt_i64_e64 s1, 0x10000, s[12:13]
	v_add_co_u32 v15, s2, s10, v0
	v_add_co_ci_u32_e64 v16, null, s11, 0, s2
	v_cmp_gt_u64_e64 s2, 0x10000, s[12:13]
	s_and_b32 s1, s1, exec_lo
	s_cselect_b32 s15, s13, 0
	s_cselect_b32 s14, s12, 0x10000
	v_add_co_u32 v1, vcc_lo, s6, v15
	v_add_co_ci_u32_e64 v2, null, s7, v16, vcc_lo
	v_add_co_u32 v3, vcc_lo, s8, v15
	v_add_co_ci_u32_e64 v4, null, s9, v16, vcc_lo
	s_waitcnt lgkmcnt(0)
	s_and_b32 s0, s0, 0xffff
	s_and_b32 s1, s2, exec_lo
	s_mul_i32 s2, s0, 3
	s_cselect_b32 s17, s13, 0
	s_cselect_b32 s16, s12, 0x10000
	s_lshl_b32 s1, s0, 1
	s_lshl_b32 s21, s0, 2
	s_add_u32 s3, s10, s2
	s_addc_u32 s18, s11, 0
	v_add_co_u32 v7, s3, s3, v0
	v_add_co_ci_u32_e64 v8, null, s18, 0, s3
	s_add_u32 s3, s10, s1
	s_addc_u32 s18, s11, 0
	v_add_co_u32 v13, s3, s3, v0
	v_add_co_u32 v5, vcc_lo, s6, v7
	v_add_co_ci_u32_e64 v14, null, s18, 0, s3
	v_add_co_ci_u32_e64 v6, null, s7, v8, vcc_lo
	v_add_co_u32 v7, vcc_lo, s8, v7
	v_add_co_ci_u32_e64 v8, null, s9, v8, vcc_lo
	v_add_co_u32 v11, vcc_lo, s6, v13
	;; [unrolled: 2-line block ×4, first 2 shown]
	v_add_co_ci_u32_e64 v20, null, 0, v16, vcc_lo
	v_add_co_u32 v9, s2, s2, v0
	v_add_co_u32 v17, vcc_lo, s6, v19
	v_add_co_u32 v15, s1, s1, v0
	v_add_co_ci_u32_e64 v18, null, s7, v20, vcc_lo
	v_add_co_u32 v19, vcc_lo, s8, v19
	v_add_co_u32 v21, s0, v0, s0
	v_add_co_ci_u32_e64 v10, null, 0, 0, s2
	v_add_co_ci_u32_e64 v16, null, 0, 0, s1
	v_add_co_ci_u32_e64 v20, null, s9, v20, vcc_lo
	v_add_co_ci_u32_e64 v22, null, 0, 0, s0
	s_mov_b64 s[18:19], 0
	s_branch .LBB45_4
.LBB45_3:                               ;   in Loop: Header=BB45_4 Depth=1
	s_or_b32 exec_lo, exec_lo, s0
	s_add_u32 s18, s18, s21
	s_addc_u32 s19, s19, 0
	v_cmp_lt_i64_e64 s0, s[18:19], s[14:15]
	s_and_b32 vcc_lo, exec_lo, s0
	s_cbranch_vccz .LBB45_20
.LBB45_4:                               ; =>This Inner Loop Header: Depth=1
	v_add_co_u32 v23, s0, v0, s18
	v_add_co_ci_u32_e64 v24, null, 0, s19, s0
	s_mov_b32 s23, 0
	v_cmp_gt_u64_e32 vcc_lo, s[16:17], v[23:24]
	s_and_saveexec_b32 s1, vcc_lo
	s_cbranch_execz .LBB45_6
; %bb.5:                                ;   in Loop: Header=BB45_4 Depth=1
	v_add_co_u32 v23, s0, v1, s18
	v_add_co_ci_u32_e64 v24, null, s19, v2, s0
	global_load_ubyte v23, v[23:24], off
	s_waitcnt vmcnt(0)
	v_cmp_ne_u16_e64 s0, 0, v23
	s_and_b32 s23, s0, exec_lo
.LBB45_6:                               ;   in Loop: Header=BB45_4 Depth=1
	s_or_b32 exec_lo, exec_lo, s1
	v_add_co_u32 v23, s0, v21, s18
	v_add_co_ci_u32_e64 v24, null, s19, v22, s0
	s_mov_b32 s22, 0
	s_mov_b32 s24, 0
	v_cmp_gt_u64_e64 s0, s[16:17], v[23:24]
	s_and_saveexec_b32 s2, s0
	s_cbranch_execz .LBB45_8
; %bb.7:                                ;   in Loop: Header=BB45_4 Depth=1
	v_add_co_u32 v23, s1, v17, s18
	v_add_co_ci_u32_e64 v24, null, s19, v18, s1
	global_load_ubyte v23, v[23:24], off
	s_waitcnt vmcnt(0)
	v_cmp_ne_u16_e64 s1, 0, v23
	s_and_b32 s24, s1, exec_lo
.LBB45_8:                               ;   in Loop: Header=BB45_4 Depth=1
	s_or_b32 exec_lo, exec_lo, s2
	v_add_co_u32 v23, s1, v15, s18
	v_add_co_ci_u32_e64 v24, null, s19, v16, s1
	v_cmp_gt_u64_e64 s1, s[16:17], v[23:24]
	s_and_saveexec_b32 s3, s1
	s_cbranch_execz .LBB45_10
; %bb.9:                                ;   in Loop: Header=BB45_4 Depth=1
	v_add_co_u32 v23, s2, v11, s18
	v_add_co_ci_u32_e64 v24, null, s19, v12, s2
	global_load_ubyte v23, v[23:24], off
	s_waitcnt vmcnt(0)
	v_cmp_ne_u16_e64 s2, 0, v23
	s_and_b32 s22, s2, exec_lo
.LBB45_10:                              ;   in Loop: Header=BB45_4 Depth=1
	s_or_b32 exec_lo, exec_lo, s3
	v_add_co_u32 v23, s2, v9, s18
	v_add_co_ci_u32_e64 v24, null, s19, v10, s2
	s_mov_b32 s3, 0
	v_cmp_gt_u64_e64 s2, s[16:17], v[23:24]
	s_and_saveexec_b32 s25, s2
	s_cbranch_execnz .LBB45_15
; %bb.11:                               ;   in Loop: Header=BB45_4 Depth=1
	s_or_b32 exec_lo, exec_lo, s25
	s_and_saveexec_b32 s25, vcc_lo
	s_cbranch_execnz .LBB45_16
.LBB45_12:                              ;   in Loop: Header=BB45_4 Depth=1
	s_or_b32 exec_lo, exec_lo, s25
	s_and_saveexec_b32 s23, s0
	s_cbranch_execnz .LBB45_17
.LBB45_13:                              ;   in Loop: Header=BB45_4 Depth=1
	s_or_b32 exec_lo, exec_lo, s23
	s_and_saveexec_b32 s0, s1
	s_cbranch_execnz .LBB45_18
.LBB45_14:                              ;   in Loop: Header=BB45_4 Depth=1
	s_or_b32 exec_lo, exec_lo, s0
	s_and_saveexec_b32 s0, s2
	s_cbranch_execz .LBB45_3
	s_branch .LBB45_19
.LBB45_15:                              ;   in Loop: Header=BB45_4 Depth=1
	v_add_co_u32 v23, s3, v5, s18
	v_add_co_ci_u32_e64 v24, null, s19, v6, s3
	global_load_ubyte v23, v[23:24], off
	s_waitcnt vmcnt(0)
	v_cmp_ne_u16_e64 s3, 0, v23
	s_and_b32 s3, s3, exec_lo
	s_or_b32 exec_lo, exec_lo, s25
	s_and_saveexec_b32 s25, vcc_lo
	s_cbranch_execz .LBB45_12
.LBB45_16:                              ;   in Loop: Header=BB45_4 Depth=1
	s_and_b32 s23, s23, s20
	v_add_co_u32 v23, vcc_lo, v3, s18
	v_cndmask_b32_e64 v25, 0, 1, s23
	v_add_co_ci_u32_e64 v24, null, s19, v4, vcc_lo
	global_store_byte v[23:24], v25, off
	s_or_b32 exec_lo, exec_lo, s25
	s_and_saveexec_b32 s23, s0
	s_cbranch_execz .LBB45_13
.LBB45_17:                              ;   in Loop: Header=BB45_4 Depth=1
	s_and_b32 s0, s24, s20
	v_add_co_u32 v23, vcc_lo, v19, s18
	v_cndmask_b32_e64 v25, 0, 1, s0
	v_add_co_ci_u32_e64 v24, null, s19, v20, vcc_lo
	global_store_byte v[23:24], v25, off
	s_or_b32 exec_lo, exec_lo, s23
	s_and_saveexec_b32 s0, s1
	s_cbranch_execz .LBB45_14
.LBB45_18:                              ;   in Loop: Header=BB45_4 Depth=1
	s_and_b32 s1, s22, s20
	v_add_co_u32 v23, vcc_lo, v13, s18
	v_cndmask_b32_e64 v25, 0, 1, s1
	v_add_co_ci_u32_e64 v24, null, s19, v14, vcc_lo
	global_store_byte v[23:24], v25, off
	s_or_b32 exec_lo, exec_lo, s0
	s_and_saveexec_b32 s0, s2
	s_cbranch_execz .LBB45_3
.LBB45_19:                              ;   in Loop: Header=BB45_4 Depth=1
	s_and_b32 s1, s3, s20
	v_add_co_u32 v23, vcc_lo, v7, s18
	v_cndmask_b32_e64 v25, 0, 1, s1
	v_add_co_ci_u32_e64 v24, null, s19, v8, vcc_lo
	global_store_byte v[23:24], v25, off
	s_branch .LBB45_3
.LBB45_20:
	s_mov_b32 s0, 0
.LBB45_21:
	s_andn2_b32 vcc_lo, exec_lo, s0
	s_cbranch_vccnz .LBB45_25
; %bb.22:
	v_cmp_gt_i64_e64 s0, 0x10000, s[12:13]
	v_mov_b32_e32 v3, 0
	v_lshlrev_b32_e32 v2, 2, v0
	s_mov_b32 s3, 0
	s_and_b32 s0, s0, exec_lo
	s_cselect_b32 s13, s13, 0
	s_cselect_b32 s12, s12, 0x10000
	s_mov_b32 s0, exec_lo
	v_cmpx_gt_i64_e64 s[12:13], v[2:3]
	s_cbranch_execz .LBB45_25
; %bb.23:
	s_load_dword s0, s[4:5], 0xc94
	v_add_co_u32 v2, s1, s10, v2
	v_mov_b32_e32 v1, v3
	v_add_co_ci_u32_e64 v4, null, s11, 0, s1
	s_waitcnt lgkmcnt(0)
	s_and_b32 s4, s0, 0xffff
	s_lshl_b32 s5, s4, 2
.LBB45_24:                              ; =>This Inner Loop Header: Depth=1
	v_add_co_u32 v5, vcc_lo, s6, v2
	v_add_co_ci_u32_e64 v6, null, s7, v4, vcc_lo
	v_add_co_u32 v0, vcc_lo, v0, s4
	v_add_co_ci_u32_e64 v1, null, 0, v1, vcc_lo
	global_load_dword v6, v[5:6], off
	v_add_co_u32 v5, vcc_lo, s8, v2
	v_lshlrev_b64 v[7:8], 2, v[0:1]
	s_waitcnt vmcnt(0)
	v_and_b32_e32 v9, 0xff00, v6
	v_cmp_ne_u32_sdwa s2, v6, v3 src0_sel:BYTE_0 src1_sel:DWORD
	v_cmp_lt_u32_e64 s0, 0xffffff, v6
	v_and_b32_e32 v10, 0xff0000, v6
	v_cmp_ne_u32_e64 s1, 0, v9
	s_and_b32 s2, s2, s20
	s_and_b32 s0, s0, s20
	v_cndmask_b32_e64 v9, 0, 1, s2
	v_cmp_ne_u32_e64 s2, 0, v10
	v_cndmask_b32_e64 v6, 0, 1, s0
	s_and_b32 s0, s1, s20
	v_cndmask_b32_e64 v10, 0, 1, s0
	s_and_b32 s0, s2, s20
	v_lshlrev_b16 v12, 8, v6
	v_cndmask_b32_e64 v11, 0, 1, s0
	v_add_co_ci_u32_e64 v6, null, s9, v4, vcc_lo
	v_lshlrev_b16 v10, 8, v10
	v_cmp_le_i64_e32 vcc_lo, s[12:13], v[7:8]
	v_or_b32_sdwa v11, v11, v12 dst_sel:WORD_1 dst_unused:UNUSED_PAD src0_sel:DWORD src1_sel:DWORD
	v_add_co_u32 v2, s0, v2, s5
	v_or_b32_e32 v9, v9, v10
	v_add_co_ci_u32_e64 v4, null, 0, v4, s0
	s_or_b32 s3, vcc_lo, s3
	v_or_b32_sdwa v7, v9, v11 dst_sel:DWORD dst_unused:UNUSED_PAD src0_sel:WORD_0 src1_sel:DWORD
	global_store_dword v[5:6], v7, off
	s_andn2_b32 exec_lo, exec_lo, s3
	s_cbranch_execnz .LBB45_24
.LBB45_25:
	s_endpgm
	.section	.rodata,"a",@progbits
	.p2align	6, 0x0
	.amdhsa_kernel _ZN2at6native12_GLOBAL__N_125multi_tensor_apply_kernelINS1_28TensorListScalarListMetadataIbLi2EEENS1_25BinaryOpScalarListFunctorIbLi2ELi1ELi1EEEJSt10multipliesIbEEEEvT_T0_DpT1_
		.amdhsa_group_segment_fixed_size 0
		.amdhsa_private_segment_fixed_size 0
		.amdhsa_kernarg_size 3464
		.amdhsa_user_sgpr_count 6
		.amdhsa_user_sgpr_private_segment_buffer 1
		.amdhsa_user_sgpr_dispatch_ptr 0
		.amdhsa_user_sgpr_queue_ptr 0
		.amdhsa_user_sgpr_kernarg_segment_ptr 1
		.amdhsa_user_sgpr_dispatch_id 0
		.amdhsa_user_sgpr_flat_scratch_init 0
		.amdhsa_user_sgpr_private_segment_size 0
		.amdhsa_wavefront_size32 1
		.amdhsa_uses_dynamic_stack 0
		.amdhsa_system_sgpr_private_segment_wavefront_offset 0
		.amdhsa_system_sgpr_workgroup_id_x 1
		.amdhsa_system_sgpr_workgroup_id_y 0
		.amdhsa_system_sgpr_workgroup_id_z 0
		.amdhsa_system_sgpr_workgroup_info 0
		.amdhsa_system_vgpr_workitem_id 0
		.amdhsa_next_free_vgpr 26
		.amdhsa_next_free_sgpr 26
		.amdhsa_reserve_vcc 1
		.amdhsa_reserve_flat_scratch 0
		.amdhsa_float_round_mode_32 0
		.amdhsa_float_round_mode_16_64 0
		.amdhsa_float_denorm_mode_32 3
		.amdhsa_float_denorm_mode_16_64 3
		.amdhsa_dx10_clamp 1
		.amdhsa_ieee_mode 1
		.amdhsa_fp16_overflow 0
		.amdhsa_workgroup_processor_mode 1
		.amdhsa_memory_ordered 1
		.amdhsa_forward_progress 1
		.amdhsa_shared_vgpr_count 0
		.amdhsa_exception_fp_ieee_invalid_op 0
		.amdhsa_exception_fp_denorm_src 0
		.amdhsa_exception_fp_ieee_div_zero 0
		.amdhsa_exception_fp_ieee_overflow 0
		.amdhsa_exception_fp_ieee_underflow 0
		.amdhsa_exception_fp_ieee_inexact 0
		.amdhsa_exception_int_div_zero 0
	.end_amdhsa_kernel
	.section	.text._ZN2at6native12_GLOBAL__N_125multi_tensor_apply_kernelINS1_28TensorListScalarListMetadataIbLi2EEENS1_25BinaryOpScalarListFunctorIbLi2ELi1ELi1EEEJSt10multipliesIbEEEEvT_T0_DpT1_,"axG",@progbits,_ZN2at6native12_GLOBAL__N_125multi_tensor_apply_kernelINS1_28TensorListScalarListMetadataIbLi2EEENS1_25BinaryOpScalarListFunctorIbLi2ELi1ELi1EEEJSt10multipliesIbEEEEvT_T0_DpT1_,comdat
.Lfunc_end45:
	.size	_ZN2at6native12_GLOBAL__N_125multi_tensor_apply_kernelINS1_28TensorListScalarListMetadataIbLi2EEENS1_25BinaryOpScalarListFunctorIbLi2ELi1ELi1EEEJSt10multipliesIbEEEEvT_T0_DpT1_, .Lfunc_end45-_ZN2at6native12_GLOBAL__N_125multi_tensor_apply_kernelINS1_28TensorListScalarListMetadataIbLi2EEENS1_25BinaryOpScalarListFunctorIbLi2ELi1ELi1EEEJSt10multipliesIbEEEEvT_T0_DpT1_
                                        ; -- End function
	.set _ZN2at6native12_GLOBAL__N_125multi_tensor_apply_kernelINS1_28TensorListScalarListMetadataIbLi2EEENS1_25BinaryOpScalarListFunctorIbLi2ELi1ELi1EEEJSt10multipliesIbEEEEvT_T0_DpT1_.num_vgpr, 26
	.set _ZN2at6native12_GLOBAL__N_125multi_tensor_apply_kernelINS1_28TensorListScalarListMetadataIbLi2EEENS1_25BinaryOpScalarListFunctorIbLi2ELi1ELi1EEEJSt10multipliesIbEEEEvT_T0_DpT1_.num_agpr, 0
	.set _ZN2at6native12_GLOBAL__N_125multi_tensor_apply_kernelINS1_28TensorListScalarListMetadataIbLi2EEENS1_25BinaryOpScalarListFunctorIbLi2ELi1ELi1EEEJSt10multipliesIbEEEEvT_T0_DpT1_.numbered_sgpr, 26
	.set _ZN2at6native12_GLOBAL__N_125multi_tensor_apply_kernelINS1_28TensorListScalarListMetadataIbLi2EEENS1_25BinaryOpScalarListFunctorIbLi2ELi1ELi1EEEJSt10multipliesIbEEEEvT_T0_DpT1_.num_named_barrier, 0
	.set _ZN2at6native12_GLOBAL__N_125multi_tensor_apply_kernelINS1_28TensorListScalarListMetadataIbLi2EEENS1_25BinaryOpScalarListFunctorIbLi2ELi1ELi1EEEJSt10multipliesIbEEEEvT_T0_DpT1_.private_seg_size, 0
	.set _ZN2at6native12_GLOBAL__N_125multi_tensor_apply_kernelINS1_28TensorListScalarListMetadataIbLi2EEENS1_25BinaryOpScalarListFunctorIbLi2ELi1ELi1EEEJSt10multipliesIbEEEEvT_T0_DpT1_.uses_vcc, 1
	.set _ZN2at6native12_GLOBAL__N_125multi_tensor_apply_kernelINS1_28TensorListScalarListMetadataIbLi2EEENS1_25BinaryOpScalarListFunctorIbLi2ELi1ELi1EEEJSt10multipliesIbEEEEvT_T0_DpT1_.uses_flat_scratch, 0
	.set _ZN2at6native12_GLOBAL__N_125multi_tensor_apply_kernelINS1_28TensorListScalarListMetadataIbLi2EEENS1_25BinaryOpScalarListFunctorIbLi2ELi1ELi1EEEJSt10multipliesIbEEEEvT_T0_DpT1_.has_dyn_sized_stack, 0
	.set _ZN2at6native12_GLOBAL__N_125multi_tensor_apply_kernelINS1_28TensorListScalarListMetadataIbLi2EEENS1_25BinaryOpScalarListFunctorIbLi2ELi1ELi1EEEJSt10multipliesIbEEEEvT_T0_DpT1_.has_recursion, 0
	.set _ZN2at6native12_GLOBAL__N_125multi_tensor_apply_kernelINS1_28TensorListScalarListMetadataIbLi2EEENS1_25BinaryOpScalarListFunctorIbLi2ELi1ELi1EEEJSt10multipliesIbEEEEvT_T0_DpT1_.has_indirect_call, 0
	.section	.AMDGPU.csdata,"",@progbits
; Kernel info:
; codeLenInByte = 1488
; TotalNumSgprs: 28
; NumVgprs: 26
; ScratchSize: 0
; MemoryBound: 0
; FloatMode: 240
; IeeeMode: 1
; LDSByteSize: 0 bytes/workgroup (compile time only)
; SGPRBlocks: 0
; VGPRBlocks: 3
; NumSGPRsForWavesPerEU: 28
; NumVGPRsForWavesPerEU: 26
; Occupancy: 16
; WaveLimiterHint : 0
; COMPUTE_PGM_RSRC2:SCRATCH_EN: 0
; COMPUTE_PGM_RSRC2:USER_SGPR: 6
; COMPUTE_PGM_RSRC2:TRAP_HANDLER: 0
; COMPUTE_PGM_RSRC2:TGID_X_EN: 1
; COMPUTE_PGM_RSRC2:TGID_Y_EN: 0
; COMPUTE_PGM_RSRC2:TGID_Z_EN: 0
; COMPUTE_PGM_RSRC2:TIDIG_COMP_CNT: 0
	.section	.text._ZN2at6native12_GLOBAL__N_125multi_tensor_apply_kernelINS1_28TensorListScalarListMetadataIfLi2EEENS1_25BinaryOpScalarListFunctorIN3c104HalfELi2ELi1ELi1EEEJSt10multipliesIfEEEEvT_T0_DpT1_,"axG",@progbits,_ZN2at6native12_GLOBAL__N_125multi_tensor_apply_kernelINS1_28TensorListScalarListMetadataIfLi2EEENS1_25BinaryOpScalarListFunctorIN3c104HalfELi2ELi1ELi1EEEJSt10multipliesIfEEEEvT_T0_DpT1_,comdat
	.globl	_ZN2at6native12_GLOBAL__N_125multi_tensor_apply_kernelINS1_28TensorListScalarListMetadataIfLi2EEENS1_25BinaryOpScalarListFunctorIN3c104HalfELi2ELi1ELi1EEEJSt10multipliesIfEEEEvT_T0_DpT1_ ; -- Begin function _ZN2at6native12_GLOBAL__N_125multi_tensor_apply_kernelINS1_28TensorListScalarListMetadataIfLi2EEENS1_25BinaryOpScalarListFunctorIN3c104HalfELi2ELi1ELi1EEEJSt10multipliesIfEEEEvT_T0_DpT1_
	.p2align	8
	.type	_ZN2at6native12_GLOBAL__N_125multi_tensor_apply_kernelINS1_28TensorListScalarListMetadataIfLi2EEENS1_25BinaryOpScalarListFunctorIN3c104HalfELi2ELi1ELi1EEEJSt10multipliesIfEEEEvT_T0_DpT1_,@function
_ZN2at6native12_GLOBAL__N_125multi_tensor_apply_kernelINS1_28TensorListScalarListMetadataIfLi2EEENS1_25BinaryOpScalarListFunctorIN3c104HalfELi2ELi1ELi1EEEJSt10multipliesIfEEEEvT_T0_DpT1_: ; @_ZN2at6native12_GLOBAL__N_125multi_tensor_apply_kernelINS1_28TensorListScalarListMetadataIfLi2EEENS1_25BinaryOpScalarListFunctorIN3c104HalfELi2ELi1ELi1EEEJSt10multipliesIfEEEEvT_T0_DpT1_
; %bb.0:
	v_mov_b32_e32 v1, s6
	s_add_u32 s0, s4, s6
	s_mul_hi_u32 s1, s6, 3
	s_mul_i32 s6, s6, 3
	s_addc_u32 s2, s5, 0
	global_load_ubyte v1, v1, s[4:5] offset:1792
	s_add_u32 s0, s0, s6
	s_addc_u32 s1, s2, s1
	s_mov_b32 s15, 0
	s_load_dword s0, s[0:1], 0x840
	s_mov_b32 s17, s15
	s_waitcnt vmcnt(0)
	v_readfirstlane_b32 s1, v1
	v_lshlrev_b32_e32 v1, 2, v1
	s_lshl_b32 s10, s1, 3
	v_sub_co_u32 v1, s1, 0, v1
	v_sub_co_ci_u32_e64 v2, null, 0, 0, s1
	s_waitcnt lgkmcnt(0)
	s_ashr_i32 s1, s0, 31
	s_clause 0x2
	s_load_dwordx2 s[2:3], s[4:5], s10 offset:0x400
	s_load_dwordx2 s[6:7], s[4:5], s10 offset:0x0
	;; [unrolled: 1-line block ×3, first 2 shown]
	s_add_u32 s10, s4, s10
	s_addc_u32 s11, s5, 0
	v_add_co_u32 v1, vcc_lo, s10, v1
	v_add_co_ci_u32_e64 v2, null, s11, v2, vcc_lo
	v_readfirstlane_b32 s10, v1
	v_readfirstlane_b32 s11, v2
	s_load_dword s20, s[10:11], 0x600
	s_lshl_b64 s[10:11], s[0:1], 17
	s_lshl_b64 s[0:1], s[0:1], 16
	s_waitcnt lgkmcnt(0)
	s_add_u32 s12, s6, s10
	s_and_b32 s16, s8, 7
	s_and_b32 s14, s12, 7
	s_sub_u32 s12, s2, s0
	s_subb_u32 s13, s3, s1
	s_and_b32 s0, s2, 3
	s_mov_b32 s1, s15
	s_or_b64 s[0:1], s[16:17], s[0:1]
	s_or_b64 s[0:1], s[0:1], s[14:15]
	s_cmp_eq_u64 s[0:1], 0
	s_mov_b32 s0, -1
	s_cbranch_scc1 .LBB46_21
; %bb.1:
	v_cmp_lt_i64_e64 s0, s[12:13], 1
	s_and_b32 vcc_lo, exec_lo, s0
	s_cbranch_vccnz .LBB46_20
; %bb.2:
	s_load_dword s0, s[4:5], 0xd54
	v_cmp_gt_i64_e64 s1, 0x10000, s[12:13]
	v_lshlrev_b32_e32 v9, 1, v0
	v_cmp_gt_u64_e64 s2, 0x10000, s[12:13]
	v_mov_b32_e32 v10, 0
	s_mov_b64 s[18:19], 0
	s_and_b32 s1, s1, exec_lo
	v_add_co_u32 v1, s3, s6, v9
	s_cselect_b32 s15, s13, 0
	s_cselect_b32 s14, s12, 0x10000
	v_add_co_ci_u32_e64 v2, null, s7, 0, s3
	v_add_co_u32 v3, s3, s8, v9
	v_add_co_ci_u32_e64 v4, null, s9, 0, s3
	s_waitcnt lgkmcnt(0)
	s_and_b32 s0, s0, 0xffff
	s_and_b32 s1, s2, exec_lo
	s_cselect_b32 s17, s13, 0
	s_cselect_b32 s16, s12, 0x10000
	s_mul_i32 s2, s0, 3
	s_lshl_b32 s21, s0, 2
	v_mad_u64_u32 v[7:8], null, s0, 6, v[9:10]
	v_add_co_u32 v14, s3, s21, v9
	v_add_co_u32 v9, s2, s2, v0
	v_add_co_ci_u32_e64 v10, null, 0, 0, s2
	v_add_co_u32 v13, s2, v0, s0
	s_lshl_b32 s1, s0, 1
	v_add_co_u32 v5, vcc_lo, s6, v7
	v_lshlrev_b32_e32 v21, 1, v13
	v_add_co_ci_u32_e64 v15, null, 0, 0, s3
	v_add_co_ci_u32_e64 v6, null, s7, v8, vcc_lo
	v_add_co_u32 v7, vcc_lo, s8, v7
	v_add_co_u32 v17, s1, s1, v0
	v_add_co_ci_u32_e64 v8, null, s9, v8, vcc_lo
	v_add_co_u32 v11, vcc_lo, s6, v14
	v_add_co_ci_u32_e64 v18, null, 0, 0, s1
	v_add_co_u32 v19, s1, s6, v21
	v_add_co_ci_u32_e64 v12, null, s7, v15, vcc_lo
	v_add_co_u32 v14, vcc_lo, s8, v14
	v_add_co_ci_u32_e64 v20, null, s7, 0, s1
	v_add_co_u32 v21, s1, s8, v21
	v_add_co_ci_u32_e64 v15, null, s9, v15, vcc_lo
	v_add_co_ci_u32_e64 v16, null, 0, 0, s2
	v_add_co_ci_u32_e64 v22, null, s9, 0, s1
	s_lshl_b32 s22, s0, 3
	s_branch .LBB46_4
.LBB46_3:                               ;   in Loop: Header=BB46_4 Depth=1
	s_or_b32 exec_lo, exec_lo, s0
	v_add_co_u32 v1, vcc_lo, v1, s22
	v_add_co_ci_u32_e64 v2, null, 0, v2, vcc_lo
	v_add_co_u32 v3, vcc_lo, v3, s22
	v_add_co_ci_u32_e64 v4, null, 0, v4, vcc_lo
	;; [unrolled: 2-line block ×4, first 2 shown]
	v_add_co_u32 v11, vcc_lo, v11, s22
	s_add_u32 s18, s18, s21
	v_add_co_ci_u32_e64 v12, null, 0, v12, vcc_lo
	v_add_co_u32 v14, vcc_lo, v14, s22
	s_addc_u32 s19, s19, 0
	v_add_co_ci_u32_e64 v15, null, 0, v15, vcc_lo
	v_add_co_u32 v19, vcc_lo, v19, s22
	v_cmp_lt_i64_e64 s0, s[18:19], s[14:15]
	v_add_co_ci_u32_e64 v20, null, 0, v20, vcc_lo
	v_add_co_u32 v21, vcc_lo, v21, s22
	v_add_co_ci_u32_e64 v22, null, 0, v22, vcc_lo
	s_and_b32 vcc_lo, exec_lo, s0
	s_cbranch_vccz .LBB46_20
.LBB46_4:                               ; =>This Inner Loop Header: Depth=1
	v_add_co_u32 v23, s0, v0, s18
	v_add_co_ci_u32_e64 v24, null, 0, s19, s0
	v_cmp_gt_u64_e32 vcc_lo, s[16:17], v[23:24]
	v_mov_b32_e32 v24, 0
	s_and_saveexec_b32 s1, vcc_lo
	s_cbranch_execz .LBB46_6
; %bb.5:                                ;   in Loop: Header=BB46_4 Depth=1
	v_add_co_u32 v23, s0, v1, s10
	v_add_co_ci_u32_e64 v24, null, s11, v2, s0
	global_load_ushort v23, v[23:24], off
	s_waitcnt vmcnt(0)
	v_cvt_f32_f16_e32 v24, v23
.LBB46_6:                               ;   in Loop: Header=BB46_4 Depth=1
	s_or_b32 exec_lo, exec_lo, s1
	v_add_co_u32 v25, s0, v13, s18
	v_add_co_ci_u32_e64 v26, null, s19, v16, s0
	v_mov_b32_e32 v23, 0
	v_cmp_gt_u64_e64 s0, s[16:17], v[25:26]
	v_mov_b32_e32 v25, 0
	s_and_saveexec_b32 s2, s0
	s_cbranch_execz .LBB46_8
; %bb.7:                                ;   in Loop: Header=BB46_4 Depth=1
	v_add_co_u32 v25, s1, v19, s10
	v_add_co_ci_u32_e64 v26, null, s11, v20, s1
	global_load_ushort v25, v[25:26], off
	s_waitcnt vmcnt(0)
	v_cvt_f32_f16_e32 v25, v25
.LBB46_8:                               ;   in Loop: Header=BB46_4 Depth=1
	s_or_b32 exec_lo, exec_lo, s2
	v_add_co_u32 v26, s1, v17, s18
	v_add_co_ci_u32_e64 v27, null, s19, v18, s1
	v_cmp_gt_u64_e64 s1, s[16:17], v[26:27]
	s_and_saveexec_b32 s3, s1
	s_cbranch_execz .LBB46_10
; %bb.9:                                ;   in Loop: Header=BB46_4 Depth=1
	v_add_co_u32 v26, s2, v11, s10
	v_add_co_ci_u32_e64 v27, null, s11, v12, s2
	global_load_ushort v23, v[26:27], off
	s_waitcnt vmcnt(0)
	v_cvt_f32_f16_e32 v23, v23
.LBB46_10:                              ;   in Loop: Header=BB46_4 Depth=1
	s_or_b32 exec_lo, exec_lo, s3
	v_add_co_u32 v26, s2, v9, s18
	v_add_co_ci_u32_e64 v27, null, s19, v10, s2
	v_cmp_gt_u64_e64 s2, s[16:17], v[26:27]
	v_mov_b32_e32 v26, 0
	s_and_saveexec_b32 s23, s2
	s_cbranch_execnz .LBB46_15
; %bb.11:                               ;   in Loop: Header=BB46_4 Depth=1
	s_or_b32 exec_lo, exec_lo, s23
	s_and_saveexec_b32 s3, vcc_lo
	s_cbranch_execnz .LBB46_16
.LBB46_12:                              ;   in Loop: Header=BB46_4 Depth=1
	s_or_b32 exec_lo, exec_lo, s3
	s_and_saveexec_b32 s3, s0
	s_cbranch_execnz .LBB46_17
.LBB46_13:                              ;   in Loop: Header=BB46_4 Depth=1
	s_or_b32 exec_lo, exec_lo, s3
	s_and_saveexec_b32 s0, s1
	s_cbranch_execnz .LBB46_18
.LBB46_14:                              ;   in Loop: Header=BB46_4 Depth=1
	s_or_b32 exec_lo, exec_lo, s0
	s_and_saveexec_b32 s0, s2
	s_cbranch_execz .LBB46_3
	s_branch .LBB46_19
.LBB46_15:                              ;   in Loop: Header=BB46_4 Depth=1
	v_add_co_u32 v26, s3, v5, s10
	v_add_co_ci_u32_e64 v27, null, s11, v6, s3
	global_load_ushort v26, v[26:27], off
	s_waitcnt vmcnt(0)
	v_cvt_f32_f16_e32 v26, v26
	s_or_b32 exec_lo, exec_lo, s23
	s_and_saveexec_b32 s3, vcc_lo
	s_cbranch_execz .LBB46_12
.LBB46_16:                              ;   in Loop: Header=BB46_4 Depth=1
	v_add_co_u32 v27, vcc_lo, v3, s10
	v_fma_mixlo_f16 v24, s20, v24, 0
	v_add_co_ci_u32_e64 v28, null, s11, v4, vcc_lo
	global_store_short v[27:28], v24, off
	s_or_b32 exec_lo, exec_lo, s3
	s_and_saveexec_b32 s3, s0
	s_cbranch_execz .LBB46_13
.LBB46_17:                              ;   in Loop: Header=BB46_4 Depth=1
	v_add_co_u32 v24, vcc_lo, v21, s10
	v_fma_mixlo_f16 v27, s20, v25, 0
	v_add_co_ci_u32_e64 v25, null, s11, v22, vcc_lo
	global_store_short v[24:25], v27, off
	s_or_b32 exec_lo, exec_lo, s3
	s_and_saveexec_b32 s0, s1
	s_cbranch_execz .LBB46_14
.LBB46_18:                              ;   in Loop: Header=BB46_4 Depth=1
	v_fma_mixlo_f16 v25, s20, v23, 0
	v_add_co_u32 v23, vcc_lo, v14, s10
	v_add_co_ci_u32_e64 v24, null, s11, v15, vcc_lo
	global_store_short v[23:24], v25, off
	s_or_b32 exec_lo, exec_lo, s0
	s_and_saveexec_b32 s0, s2
	s_cbranch_execz .LBB46_3
.LBB46_19:                              ;   in Loop: Header=BB46_4 Depth=1
	v_add_co_u32 v23, vcc_lo, v7, s10
	v_fma_mixlo_f16 v25, s20, v26, 0
	v_add_co_ci_u32_e64 v24, null, s11, v8, vcc_lo
	global_store_short v[23:24], v25, off
	s_branch .LBB46_3
.LBB46_20:
	s_mov_b32 s0, 0
.LBB46_21:
	s_andn2_b32 vcc_lo, exec_lo, s0
	s_cbranch_vccnz .LBB46_25
; %bb.22:
	v_cmp_gt_i64_e64 s0, 0x10000, s[12:13]
	v_mov_b32_e32 v2, 0
	v_lshlrev_b32_e32 v1, 2, v0
	s_mov_b32 s1, 0
	s_and_b32 s0, s0, exec_lo
	s_cselect_b32 s3, s13, 0
	s_cselect_b32 s2, s12, 0x10000
	s_mov_b32 s0, exec_lo
	v_cmpx_gt_i64_e64 s[2:3], v[1:2]
	s_cbranch_execz .LBB46_25
; %bb.23:
	s_load_dword s0, s[4:5], 0xd54
	v_lshlrev_b32_e32 v3, 3, v0
	v_mov_b32_e32 v1, v2
	s_mov_b32 s5, s20
	v_add_co_u32 v2, s4, s10, v3
	v_add_co_ci_u32_e64 v3, null, s11, 0, s4
	s_waitcnt lgkmcnt(0)
	s_and_b32 s4, s0, 0xffff
	s_lshl_b32 s10, s4, 3
	s_inst_prefetch 0x1
	.p2align	6
.LBB46_24:                              ; =>This Inner Loop Header: Depth=1
	v_add_co_u32 v4, vcc_lo, s6, v2
	v_add_co_ci_u32_e64 v5, null, s7, v3, vcc_lo
	v_add_co_u32 v0, vcc_lo, v0, s4
	v_add_co_ci_u32_e64 v1, null, 0, v1, vcc_lo
	global_load_dwordx2 v[4:5], v[4:5], off
	v_add_co_u32 v6, vcc_lo, s8, v2
	v_lshlrev_b64 v[8:9], 2, v[0:1]
	v_add_co_ci_u32_e64 v7, null, s9, v3, vcc_lo
	v_add_co_u32 v2, vcc_lo, v2, s10
	v_add_co_ci_u32_e64 v3, null, 0, v3, vcc_lo
	v_cmp_le_i64_e64 s0, s[2:3], v[8:9]
	s_or_b32 s1, s0, s1
	s_waitcnt vmcnt(0)
	v_fma_mixlo_f16 v11, s5, v5, 0 op_sel_hi:[0,1,0]
	v_fma_mixlo_f16 v10, s20, v4, 0 op_sel_hi:[0,1,0]
	v_fma_mixhi_f16 v11, s20, v5, 0 op_sel:[0,1,0] op_sel_hi:[0,1,0]
	v_fma_mixhi_f16 v10, s20, v4, 0 op_sel:[0,1,0] op_sel_hi:[0,1,0]
	global_store_dwordx2 v[6:7], v[10:11], off
	s_andn2_b32 exec_lo, exec_lo, s1
	s_cbranch_execnz .LBB46_24
.LBB46_25:
	s_inst_prefetch 0x2
	s_endpgm
	.section	.rodata,"a",@progbits
	.p2align	6, 0x0
	.amdhsa_kernel _ZN2at6native12_GLOBAL__N_125multi_tensor_apply_kernelINS1_28TensorListScalarListMetadataIfLi2EEENS1_25BinaryOpScalarListFunctorIN3c104HalfELi2ELi1ELi1EEEJSt10multipliesIfEEEEvT_T0_DpT1_
		.amdhsa_group_segment_fixed_size 0
		.amdhsa_private_segment_fixed_size 0
		.amdhsa_kernarg_size 3656
		.amdhsa_user_sgpr_count 6
		.amdhsa_user_sgpr_private_segment_buffer 1
		.amdhsa_user_sgpr_dispatch_ptr 0
		.amdhsa_user_sgpr_queue_ptr 0
		.amdhsa_user_sgpr_kernarg_segment_ptr 1
		.amdhsa_user_sgpr_dispatch_id 0
		.amdhsa_user_sgpr_flat_scratch_init 0
		.amdhsa_user_sgpr_private_segment_size 0
		.amdhsa_wavefront_size32 1
		.amdhsa_uses_dynamic_stack 0
		.amdhsa_system_sgpr_private_segment_wavefront_offset 0
		.amdhsa_system_sgpr_workgroup_id_x 1
		.amdhsa_system_sgpr_workgroup_id_y 0
		.amdhsa_system_sgpr_workgroup_id_z 0
		.amdhsa_system_sgpr_workgroup_info 0
		.amdhsa_system_vgpr_workitem_id 0
		.amdhsa_next_free_vgpr 29
		.amdhsa_next_free_sgpr 24
		.amdhsa_reserve_vcc 1
		.amdhsa_reserve_flat_scratch 0
		.amdhsa_float_round_mode_32 0
		.amdhsa_float_round_mode_16_64 0
		.amdhsa_float_denorm_mode_32 3
		.amdhsa_float_denorm_mode_16_64 3
		.amdhsa_dx10_clamp 1
		.amdhsa_ieee_mode 1
		.amdhsa_fp16_overflow 0
		.amdhsa_workgroup_processor_mode 1
		.amdhsa_memory_ordered 1
		.amdhsa_forward_progress 1
		.amdhsa_shared_vgpr_count 0
		.amdhsa_exception_fp_ieee_invalid_op 0
		.amdhsa_exception_fp_denorm_src 0
		.amdhsa_exception_fp_ieee_div_zero 0
		.amdhsa_exception_fp_ieee_overflow 0
		.amdhsa_exception_fp_ieee_underflow 0
		.amdhsa_exception_fp_ieee_inexact 0
		.amdhsa_exception_int_div_zero 0
	.end_amdhsa_kernel
	.section	.text._ZN2at6native12_GLOBAL__N_125multi_tensor_apply_kernelINS1_28TensorListScalarListMetadataIfLi2EEENS1_25BinaryOpScalarListFunctorIN3c104HalfELi2ELi1ELi1EEEJSt10multipliesIfEEEEvT_T0_DpT1_,"axG",@progbits,_ZN2at6native12_GLOBAL__N_125multi_tensor_apply_kernelINS1_28TensorListScalarListMetadataIfLi2EEENS1_25BinaryOpScalarListFunctorIN3c104HalfELi2ELi1ELi1EEEJSt10multipliesIfEEEEvT_T0_DpT1_,comdat
.Lfunc_end46:
	.size	_ZN2at6native12_GLOBAL__N_125multi_tensor_apply_kernelINS1_28TensorListScalarListMetadataIfLi2EEENS1_25BinaryOpScalarListFunctorIN3c104HalfELi2ELi1ELi1EEEJSt10multipliesIfEEEEvT_T0_DpT1_, .Lfunc_end46-_ZN2at6native12_GLOBAL__N_125multi_tensor_apply_kernelINS1_28TensorListScalarListMetadataIfLi2EEENS1_25BinaryOpScalarListFunctorIN3c104HalfELi2ELi1ELi1EEEJSt10multipliesIfEEEEvT_T0_DpT1_
                                        ; -- End function
	.set _ZN2at6native12_GLOBAL__N_125multi_tensor_apply_kernelINS1_28TensorListScalarListMetadataIfLi2EEENS1_25BinaryOpScalarListFunctorIN3c104HalfELi2ELi1ELi1EEEJSt10multipliesIfEEEEvT_T0_DpT1_.num_vgpr, 29
	.set _ZN2at6native12_GLOBAL__N_125multi_tensor_apply_kernelINS1_28TensorListScalarListMetadataIfLi2EEENS1_25BinaryOpScalarListFunctorIN3c104HalfELi2ELi1ELi1EEEJSt10multipliesIfEEEEvT_T0_DpT1_.num_agpr, 0
	.set _ZN2at6native12_GLOBAL__N_125multi_tensor_apply_kernelINS1_28TensorListScalarListMetadataIfLi2EEENS1_25BinaryOpScalarListFunctorIN3c104HalfELi2ELi1ELi1EEEJSt10multipliesIfEEEEvT_T0_DpT1_.numbered_sgpr, 24
	.set _ZN2at6native12_GLOBAL__N_125multi_tensor_apply_kernelINS1_28TensorListScalarListMetadataIfLi2EEENS1_25BinaryOpScalarListFunctorIN3c104HalfELi2ELi1ELi1EEEJSt10multipliesIfEEEEvT_T0_DpT1_.num_named_barrier, 0
	.set _ZN2at6native12_GLOBAL__N_125multi_tensor_apply_kernelINS1_28TensorListScalarListMetadataIfLi2EEENS1_25BinaryOpScalarListFunctorIN3c104HalfELi2ELi1ELi1EEEJSt10multipliesIfEEEEvT_T0_DpT1_.private_seg_size, 0
	.set _ZN2at6native12_GLOBAL__N_125multi_tensor_apply_kernelINS1_28TensorListScalarListMetadataIfLi2EEENS1_25BinaryOpScalarListFunctorIN3c104HalfELi2ELi1ELi1EEEJSt10multipliesIfEEEEvT_T0_DpT1_.uses_vcc, 1
	.set _ZN2at6native12_GLOBAL__N_125multi_tensor_apply_kernelINS1_28TensorListScalarListMetadataIfLi2EEENS1_25BinaryOpScalarListFunctorIN3c104HalfELi2ELi1ELi1EEEJSt10multipliesIfEEEEvT_T0_DpT1_.uses_flat_scratch, 0
	.set _ZN2at6native12_GLOBAL__N_125multi_tensor_apply_kernelINS1_28TensorListScalarListMetadataIfLi2EEENS1_25BinaryOpScalarListFunctorIN3c104HalfELi2ELi1ELi1EEEJSt10multipliesIfEEEEvT_T0_DpT1_.has_dyn_sized_stack, 0
	.set _ZN2at6native12_GLOBAL__N_125multi_tensor_apply_kernelINS1_28TensorListScalarListMetadataIfLi2EEENS1_25BinaryOpScalarListFunctorIN3c104HalfELi2ELi1ELi1EEEJSt10multipliesIfEEEEvT_T0_DpT1_.has_recursion, 0
	.set _ZN2at6native12_GLOBAL__N_125multi_tensor_apply_kernelINS1_28TensorListScalarListMetadataIfLi2EEENS1_25BinaryOpScalarListFunctorIN3c104HalfELi2ELi1ELi1EEEJSt10multipliesIfEEEEvT_T0_DpT1_.has_indirect_call, 0
	.section	.AMDGPU.csdata,"",@progbits
; Kernel info:
; codeLenInByte = 1496
; TotalNumSgprs: 26
; NumVgprs: 29
; ScratchSize: 0
; MemoryBound: 0
; FloatMode: 240
; IeeeMode: 1
; LDSByteSize: 0 bytes/workgroup (compile time only)
; SGPRBlocks: 0
; VGPRBlocks: 3
; NumSGPRsForWavesPerEU: 26
; NumVGPRsForWavesPerEU: 29
; Occupancy: 16
; WaveLimiterHint : 0
; COMPUTE_PGM_RSRC2:SCRATCH_EN: 0
; COMPUTE_PGM_RSRC2:USER_SGPR: 6
; COMPUTE_PGM_RSRC2:TRAP_HANDLER: 0
; COMPUTE_PGM_RSRC2:TGID_X_EN: 1
; COMPUTE_PGM_RSRC2:TGID_Y_EN: 0
; COMPUTE_PGM_RSRC2:TGID_Z_EN: 0
; COMPUTE_PGM_RSRC2:TIDIG_COMP_CNT: 0
	.section	.text._ZN2at6native12_GLOBAL__N_125multi_tensor_apply_kernelINS1_28TensorListScalarListMetadataIfLi2EEENS1_25BinaryOpScalarListFunctorIN3c108BFloat16ELi2ELi1ELi1EEEJSt10multipliesIfEEEEvT_T0_DpT1_,"axG",@progbits,_ZN2at6native12_GLOBAL__N_125multi_tensor_apply_kernelINS1_28TensorListScalarListMetadataIfLi2EEENS1_25BinaryOpScalarListFunctorIN3c108BFloat16ELi2ELi1ELi1EEEJSt10multipliesIfEEEEvT_T0_DpT1_,comdat
	.globl	_ZN2at6native12_GLOBAL__N_125multi_tensor_apply_kernelINS1_28TensorListScalarListMetadataIfLi2EEENS1_25BinaryOpScalarListFunctorIN3c108BFloat16ELi2ELi1ELi1EEEJSt10multipliesIfEEEEvT_T0_DpT1_ ; -- Begin function _ZN2at6native12_GLOBAL__N_125multi_tensor_apply_kernelINS1_28TensorListScalarListMetadataIfLi2EEENS1_25BinaryOpScalarListFunctorIN3c108BFloat16ELi2ELi1ELi1EEEJSt10multipliesIfEEEEvT_T0_DpT1_
	.p2align	8
	.type	_ZN2at6native12_GLOBAL__N_125multi_tensor_apply_kernelINS1_28TensorListScalarListMetadataIfLi2EEENS1_25BinaryOpScalarListFunctorIN3c108BFloat16ELi2ELi1ELi1EEEJSt10multipliesIfEEEEvT_T0_DpT1_,@function
_ZN2at6native12_GLOBAL__N_125multi_tensor_apply_kernelINS1_28TensorListScalarListMetadataIfLi2EEENS1_25BinaryOpScalarListFunctorIN3c108BFloat16ELi2ELi1ELi1EEEJSt10multipliesIfEEEEvT_T0_DpT1_: ; @_ZN2at6native12_GLOBAL__N_125multi_tensor_apply_kernelINS1_28TensorListScalarListMetadataIfLi2EEENS1_25BinaryOpScalarListFunctorIN3c108BFloat16ELi2ELi1ELi1EEEJSt10multipliesIfEEEEvT_T0_DpT1_
; %bb.0:
	v_mov_b32_e32 v1, s6
	s_add_u32 s0, s4, s6
	s_mul_hi_u32 s1, s6, 3
	s_mul_i32 s6, s6, 3
	s_addc_u32 s2, s5, 0
	global_load_ubyte v1, v1, s[4:5] offset:1792
	s_add_u32 s0, s0, s6
	s_addc_u32 s1, s2, s1
	s_mov_b32 s15, 0
	s_load_dword s0, s[0:1], 0x840
	s_mov_b32 s17, s15
	s_waitcnt vmcnt(0)
	v_readfirstlane_b32 s1, v1
	v_lshlrev_b32_e32 v1, 2, v1
	s_lshl_b32 s10, s1, 3
	v_sub_co_u32 v1, s1, 0, v1
	v_sub_co_ci_u32_e64 v2, null, 0, 0, s1
	s_waitcnt lgkmcnt(0)
	s_ashr_i32 s1, s0, 31
	s_clause 0x2
	s_load_dwordx2 s[2:3], s[4:5], s10 offset:0x400
	s_load_dwordx2 s[6:7], s[4:5], s10 offset:0x0
	;; [unrolled: 1-line block ×3, first 2 shown]
	s_add_u32 s10, s4, s10
	s_addc_u32 s11, s5, 0
	v_add_co_u32 v1, vcc_lo, s10, v1
	v_add_co_ci_u32_e64 v2, null, s11, v2, vcc_lo
	v_readfirstlane_b32 s10, v1
	v_readfirstlane_b32 s11, v2
	s_load_dword s20, s[10:11], 0x600
	s_lshl_b64 s[10:11], s[0:1], 17
	s_lshl_b64 s[0:1], s[0:1], 16
	s_waitcnt lgkmcnt(0)
	s_add_u32 s12, s6, s10
	s_and_b32 s16, s8, 7
	s_and_b32 s14, s12, 7
	s_sub_u32 s12, s2, s0
	s_subb_u32 s13, s3, s1
	s_and_b32 s0, s2, 3
	s_mov_b32 s1, s15
	s_or_b64 s[0:1], s[16:17], s[0:1]
	s_or_b64 s[0:1], s[0:1], s[14:15]
	s_cmp_eq_u64 s[0:1], 0
	s_mov_b32 s0, -1
	s_cbranch_scc1 .LBB47_21
; %bb.1:
	v_cmp_lt_i64_e64 s0, s[12:13], 1
	s_and_b32 vcc_lo, exec_lo, s0
	s_cbranch_vccnz .LBB47_20
; %bb.2:
	s_load_dword s0, s[4:5], 0xd54
	v_cmp_gt_i64_e64 s1, 0x10000, s[12:13]
	v_lshlrev_b32_e32 v9, 1, v0
	v_cmp_gt_u64_e64 s2, 0x10000, s[12:13]
	v_mov_b32_e32 v10, 0
	v_mov_b32_e32 v23, 0x7fc0
	s_mov_b64 s[18:19], 0
	s_and_b32 s1, s1, exec_lo
	v_add_co_u32 v1, s3, s6, v9
	s_cselect_b32 s15, s13, 0
	s_cselect_b32 s14, s12, 0x10000
	v_add_co_ci_u32_e64 v2, null, s7, 0, s3
	v_add_co_u32 v3, s3, s8, v9
	v_add_co_ci_u32_e64 v4, null, s9, 0, s3
	s_waitcnt lgkmcnt(0)
	s_and_b32 s0, s0, 0xffff
	s_and_b32 s1, s2, exec_lo
	s_cselect_b32 s17, s13, 0
	s_cselect_b32 s16, s12, 0x10000
	s_mul_i32 s2, s0, 3
	s_lshl_b32 s21, s0, 2
	v_mad_u64_u32 v[7:8], null, s0, 6, v[9:10]
	v_add_co_u32 v14, s3, s21, v9
	v_add_co_u32 v9, s2, s2, v0
	v_add_co_ci_u32_e64 v10, null, 0, 0, s2
	v_add_co_u32 v13, s2, v0, s0
	s_lshl_b32 s1, s0, 1
	v_add_co_u32 v5, vcc_lo, s6, v7
	v_lshlrev_b32_e32 v21, 1, v13
	v_add_co_ci_u32_e64 v15, null, 0, 0, s3
	v_add_co_ci_u32_e64 v6, null, s7, v8, vcc_lo
	v_add_co_u32 v7, vcc_lo, s8, v7
	v_add_co_u32 v17, s1, s1, v0
	v_add_co_ci_u32_e64 v8, null, s9, v8, vcc_lo
	v_add_co_u32 v11, vcc_lo, s6, v14
	v_add_co_ci_u32_e64 v18, null, 0, 0, s1
	v_add_co_u32 v19, s1, s6, v21
	v_add_co_ci_u32_e64 v12, null, s7, v15, vcc_lo
	v_add_co_u32 v14, vcc_lo, s8, v14
	v_add_co_ci_u32_e64 v20, null, s7, 0, s1
	v_add_co_u32 v21, s1, s8, v21
	v_add_co_ci_u32_e64 v15, null, s9, v15, vcc_lo
	v_add_co_ci_u32_e64 v16, null, 0, 0, s2
	v_add_co_ci_u32_e64 v22, null, s9, 0, s1
	s_lshl_b32 s22, s0, 3
	s_branch .LBB47_4
.LBB47_3:                               ;   in Loop: Header=BB47_4 Depth=1
	s_or_b32 exec_lo, exec_lo, s0
	v_add_co_u32 v1, vcc_lo, v1, s22
	v_add_co_ci_u32_e64 v2, null, 0, v2, vcc_lo
	v_add_co_u32 v3, vcc_lo, v3, s22
	v_add_co_ci_u32_e64 v4, null, 0, v4, vcc_lo
	v_add_co_u32 v5, vcc_lo, v5, s22
	v_add_co_ci_u32_e64 v6, null, 0, v6, vcc_lo
	v_add_co_u32 v7, vcc_lo, v7, s22
	v_add_co_ci_u32_e64 v8, null, 0, v8, vcc_lo
	v_add_co_u32 v11, vcc_lo, v11, s22
	s_add_u32 s18, s18, s21
	v_add_co_ci_u32_e64 v12, null, 0, v12, vcc_lo
	v_add_co_u32 v14, vcc_lo, v14, s22
	s_addc_u32 s19, s19, 0
	v_add_co_ci_u32_e64 v15, null, 0, v15, vcc_lo
	v_add_co_u32 v19, vcc_lo, v19, s22
	v_cmp_lt_i64_e64 s0, s[18:19], s[14:15]
	v_add_co_ci_u32_e64 v20, null, 0, v20, vcc_lo
	v_add_co_u32 v21, vcc_lo, v21, s22
	v_add_co_ci_u32_e64 v22, null, 0, v22, vcc_lo
	s_and_b32 vcc_lo, exec_lo, s0
	s_cbranch_vccz .LBB47_20
.LBB47_4:                               ; =>This Inner Loop Header: Depth=1
	v_add_co_u32 v24, s0, v0, s18
	v_add_co_ci_u32_e64 v25, null, 0, s19, s0
	v_cmp_gt_u64_e32 vcc_lo, s[16:17], v[24:25]
	v_mov_b32_e32 v25, 0
	s_and_saveexec_b32 s1, vcc_lo
	s_cbranch_execz .LBB47_6
; %bb.5:                                ;   in Loop: Header=BB47_4 Depth=1
	v_add_co_u32 v24, s0, v1, s10
	v_add_co_ci_u32_e64 v25, null, s11, v2, s0
	global_load_ushort v24, v[24:25], off
	s_waitcnt vmcnt(0)
	v_lshlrev_b32_e32 v25, 16, v24
.LBB47_6:                               ;   in Loop: Header=BB47_4 Depth=1
	s_or_b32 exec_lo, exec_lo, s1
	v_add_co_u32 v26, s0, v13, s18
	v_add_co_ci_u32_e64 v27, null, s19, v16, s0
	v_mov_b32_e32 v24, 0
	v_cmp_gt_u64_e64 s0, s[16:17], v[26:27]
	v_mov_b32_e32 v26, 0
	s_and_saveexec_b32 s2, s0
	s_cbranch_execz .LBB47_8
; %bb.7:                                ;   in Loop: Header=BB47_4 Depth=1
	v_add_co_u32 v26, s1, v19, s10
	v_add_co_ci_u32_e64 v27, null, s11, v20, s1
	global_load_ushort v26, v[26:27], off
	s_waitcnt vmcnt(0)
	v_lshlrev_b32_e32 v26, 16, v26
.LBB47_8:                               ;   in Loop: Header=BB47_4 Depth=1
	s_or_b32 exec_lo, exec_lo, s2
	v_add_co_u32 v27, s1, v17, s18
	v_add_co_ci_u32_e64 v28, null, s19, v18, s1
	v_cmp_gt_u64_e64 s1, s[16:17], v[27:28]
	s_and_saveexec_b32 s3, s1
	s_cbranch_execz .LBB47_10
; %bb.9:                                ;   in Loop: Header=BB47_4 Depth=1
	v_add_co_u32 v27, s2, v11, s10
	v_add_co_ci_u32_e64 v28, null, s11, v12, s2
	global_load_ushort v24, v[27:28], off
	s_waitcnt vmcnt(0)
	v_lshlrev_b32_e32 v24, 16, v24
.LBB47_10:                              ;   in Loop: Header=BB47_4 Depth=1
	s_or_b32 exec_lo, exec_lo, s3
	v_add_co_u32 v27, s2, v9, s18
	v_add_co_ci_u32_e64 v28, null, s19, v10, s2
	v_cmp_gt_u64_e64 s2, s[16:17], v[27:28]
	v_mov_b32_e32 v27, 0
	s_and_saveexec_b32 s23, s2
	s_cbranch_execnz .LBB47_15
; %bb.11:                               ;   in Loop: Header=BB47_4 Depth=1
	s_or_b32 exec_lo, exec_lo, s23
	s_and_saveexec_b32 s23, vcc_lo
	s_cbranch_execnz .LBB47_16
.LBB47_12:                              ;   in Loop: Header=BB47_4 Depth=1
	s_or_b32 exec_lo, exec_lo, s23
	s_and_saveexec_b32 s3, s0
	s_cbranch_execnz .LBB47_17
.LBB47_13:                              ;   in Loop: Header=BB47_4 Depth=1
	s_or_b32 exec_lo, exec_lo, s3
	s_and_saveexec_b32 s0, s1
	s_cbranch_execnz .LBB47_18
.LBB47_14:                              ;   in Loop: Header=BB47_4 Depth=1
	s_or_b32 exec_lo, exec_lo, s0
	s_and_saveexec_b32 s0, s2
	s_cbranch_execz .LBB47_3
	s_branch .LBB47_19
.LBB47_15:                              ;   in Loop: Header=BB47_4 Depth=1
	v_add_co_u32 v27, s3, v5, s10
	v_add_co_ci_u32_e64 v28, null, s11, v6, s3
	global_load_ushort v27, v[27:28], off
	s_waitcnt vmcnt(0)
	v_lshlrev_b32_e32 v27, 16, v27
	s_or_b32 exec_lo, exec_lo, s23
	s_and_saveexec_b32 s23, vcc_lo
	s_cbranch_execz .LBB47_12
.LBB47_16:                              ;   in Loop: Header=BB47_4 Depth=1
	v_mul_f32_e32 v25, s20, v25
	v_bfe_u32 v28, v25, 16, 1
	v_cmp_o_f32_e32 vcc_lo, v25, v25
	v_add3_u32 v25, v25, v28, 0x7fff
	v_add_co_u32 v28, s3, v3, s10
	v_add_co_ci_u32_e64 v29, null, s11, v4, s3
	v_cndmask_b32_sdwa v25, v23, v25, vcc_lo dst_sel:DWORD dst_unused:UNUSED_PAD src0_sel:DWORD src1_sel:WORD_1
	global_store_short v[28:29], v25, off
	s_or_b32 exec_lo, exec_lo, s23
	s_and_saveexec_b32 s3, s0
	s_cbranch_execz .LBB47_13
.LBB47_17:                              ;   in Loop: Header=BB47_4 Depth=1
	v_mul_f32_e32 v25, s20, v26
	v_bfe_u32 v26, v25, 16, 1
	v_cmp_o_f32_e32 vcc_lo, v25, v25
	v_add3_u32 v25, v25, v26, 0x7fff
	v_cndmask_b32_sdwa v28, v23, v25, vcc_lo dst_sel:DWORD dst_unused:UNUSED_PAD src0_sel:DWORD src1_sel:WORD_1
	v_add_co_u32 v25, vcc_lo, v21, s10
	v_add_co_ci_u32_e64 v26, null, s11, v22, vcc_lo
	global_store_short v[25:26], v28, off
	s_or_b32 exec_lo, exec_lo, s3
	s_and_saveexec_b32 s0, s1
	s_cbranch_execz .LBB47_14
.LBB47_18:                              ;   in Loop: Header=BB47_4 Depth=1
	v_mul_f32_e32 v24, s20, v24
	v_bfe_u32 v25, v24, 16, 1
	v_cmp_o_f32_e32 vcc_lo, v24, v24
	v_add3_u32 v24, v24, v25, 0x7fff
	v_cndmask_b32_sdwa v26, v23, v24, vcc_lo dst_sel:DWORD dst_unused:UNUSED_PAD src0_sel:DWORD src1_sel:WORD_1
	v_add_co_u32 v24, vcc_lo, v14, s10
	v_add_co_ci_u32_e64 v25, null, s11, v15, vcc_lo
	global_store_short v[24:25], v26, off
	s_or_b32 exec_lo, exec_lo, s0
	s_and_saveexec_b32 s0, s2
	s_cbranch_execz .LBB47_3
.LBB47_19:                              ;   in Loop: Header=BB47_4 Depth=1
	v_mul_f32_e32 v24, s20, v27
	v_bfe_u32 v25, v24, 16, 1
	v_cmp_o_f32_e32 vcc_lo, v24, v24
	v_add3_u32 v24, v24, v25, 0x7fff
	v_cndmask_b32_sdwa v26, v23, v24, vcc_lo dst_sel:DWORD dst_unused:UNUSED_PAD src0_sel:DWORD src1_sel:WORD_1
	v_add_co_u32 v24, vcc_lo, v7, s10
	v_add_co_ci_u32_e64 v25, null, s11, v8, vcc_lo
	global_store_short v[24:25], v26, off
	s_branch .LBB47_3
.LBB47_20:
	s_mov_b32 s0, 0
.LBB47_21:
	s_andn2_b32 vcc_lo, exec_lo, s0
	s_cbranch_vccnz .LBB47_25
; %bb.22:
	v_cmp_gt_i64_e64 s0, 0x10000, s[12:13]
	v_mov_b32_e32 v2, 0
	v_lshlrev_b32_e32 v1, 2, v0
	s_and_b32 s0, s0, exec_lo
	s_cselect_b32 s3, s13, 0
	s_cselect_b32 s2, s12, 0x10000
	s_mov_b32 s12, 0
	s_mov_b32 s0, exec_lo
	v_cmpx_gt_i64_e64 s[2:3], v[1:2]
	s_cbranch_execz .LBB47_25
; %bb.23:
	s_load_dword s0, s[4:5], 0xd54
	v_lshlrev_b32_e32 v3, 3, v0
	v_mov_b32_e32 v1, v2
	v_add_co_u32 v2, s1, s10, v3
	v_add_co_ci_u32_e64 v3, null, s11, 0, s1
	s_waitcnt lgkmcnt(0)
	s_and_b32 s4, s0, 0xffff
	s_lshl_b32 s5, s4, 3
.LBB47_24:                              ; =>This Inner Loop Header: Depth=1
	v_add_co_u32 v4, vcc_lo, s6, v2
	v_add_co_ci_u32_e64 v5, null, s7, v3, vcc_lo
	v_add_co_u32 v0, vcc_lo, v0, s4
	v_add_co_ci_u32_e64 v1, null, 0, v1, vcc_lo
	global_load_dwordx2 v[4:5], v[4:5], off
	v_add_co_u32 v6, vcc_lo, s8, v2
	v_add_co_ci_u32_e64 v7, null, s9, v3, vcc_lo
	v_lshlrev_b64 v[8:9], 2, v[0:1]
	s_waitcnt vmcnt(0)
	v_lshlrev_b32_e32 v10, 16, v4
	v_and_b32_e32 v11, 0xffff0000, v4
	v_alignbit_b32 v4, v5, v4, 16
	v_and_b32_e32 v5, 0xffff0000, v5
	v_mul_f32_e32 v10, s20, v10
	v_mul_f32_e32 v11, s20, v11
	v_and_b32_e32 v4, 0xffff0000, v4
	v_mul_f32_e32 v5, s20, v5
	v_bfe_u32 v12, v10, 16, 1
	v_bfe_u32 v13, v11, 16, 1
	v_mul_f32_e32 v4, s20, v4
	v_bfe_u32 v14, v5, 16, 1
	v_cmp_o_f32_e32 vcc_lo, v5, v5
	v_add3_u32 v12, v10, v12, 0x7fff
	v_add3_u32 v13, v11, v13, 0x7fff
	v_bfe_u32 v15, v4, 16, 1
	v_add3_u32 v14, v5, v14, 0x7fff
	v_cmp_o_f32_e64 s0, v11, v11
	v_lshrrev_b32_e32 v12, 16, v12
	v_and_b32_e32 v13, 0xffff0000, v13
	v_add3_u32 v15, v4, v15, 0x7fff
	v_and_b32_e32 v14, 0xffff0000, v14
	v_cmp_o_f32_e64 s1, v10, v10
	v_cndmask_b32_e64 v10, 0x7fc00000, v13, s0
	v_lshrrev_b32_e32 v5, 16, v15
	v_cmp_le_i64_e64 s0, s[2:3], v[8:9]
	v_cndmask_b32_e64 v11, 0x7fc0, v12, s1
	v_cndmask_b32_e32 v12, 0x7fc00000, v14, vcc_lo
	v_cmp_o_f32_e32 vcc_lo, v4, v4
	v_or_b32_e32 v10, v11, v10
	s_or_b32 s12, s0, s12
	v_cndmask_b32_e32 v4, 0x7fc0, v5, vcc_lo
	v_add_co_u32 v2, vcc_lo, v2, s5
	v_add_co_ci_u32_e64 v3, null, 0, v3, vcc_lo
	v_or3_b32 v5, 0, v4, v12
	v_or3_b32 v4, v10, 0, 0
	global_store_dwordx2 v[6:7], v[4:5], off
	s_andn2_b32 exec_lo, exec_lo, s12
	s_cbranch_execnz .LBB47_24
.LBB47_25:
	s_endpgm
	.section	.rodata,"a",@progbits
	.p2align	6, 0x0
	.amdhsa_kernel _ZN2at6native12_GLOBAL__N_125multi_tensor_apply_kernelINS1_28TensorListScalarListMetadataIfLi2EEENS1_25BinaryOpScalarListFunctorIN3c108BFloat16ELi2ELi1ELi1EEEJSt10multipliesIfEEEEvT_T0_DpT1_
		.amdhsa_group_segment_fixed_size 0
		.amdhsa_private_segment_fixed_size 0
		.amdhsa_kernarg_size 3656
		.amdhsa_user_sgpr_count 6
		.amdhsa_user_sgpr_private_segment_buffer 1
		.amdhsa_user_sgpr_dispatch_ptr 0
		.amdhsa_user_sgpr_queue_ptr 0
		.amdhsa_user_sgpr_kernarg_segment_ptr 1
		.amdhsa_user_sgpr_dispatch_id 0
		.amdhsa_user_sgpr_flat_scratch_init 0
		.amdhsa_user_sgpr_private_segment_size 0
		.amdhsa_wavefront_size32 1
		.amdhsa_uses_dynamic_stack 0
		.amdhsa_system_sgpr_private_segment_wavefront_offset 0
		.amdhsa_system_sgpr_workgroup_id_x 1
		.amdhsa_system_sgpr_workgroup_id_y 0
		.amdhsa_system_sgpr_workgroup_id_z 0
		.amdhsa_system_sgpr_workgroup_info 0
		.amdhsa_system_vgpr_workitem_id 0
		.amdhsa_next_free_vgpr 30
		.amdhsa_next_free_sgpr 24
		.amdhsa_reserve_vcc 1
		.amdhsa_reserve_flat_scratch 0
		.amdhsa_float_round_mode_32 0
		.amdhsa_float_round_mode_16_64 0
		.amdhsa_float_denorm_mode_32 3
		.amdhsa_float_denorm_mode_16_64 3
		.amdhsa_dx10_clamp 1
		.amdhsa_ieee_mode 1
		.amdhsa_fp16_overflow 0
		.amdhsa_workgroup_processor_mode 1
		.amdhsa_memory_ordered 1
		.amdhsa_forward_progress 1
		.amdhsa_shared_vgpr_count 0
		.amdhsa_exception_fp_ieee_invalid_op 0
		.amdhsa_exception_fp_denorm_src 0
		.amdhsa_exception_fp_ieee_div_zero 0
		.amdhsa_exception_fp_ieee_overflow 0
		.amdhsa_exception_fp_ieee_underflow 0
		.amdhsa_exception_fp_ieee_inexact 0
		.amdhsa_exception_int_div_zero 0
	.end_amdhsa_kernel
	.section	.text._ZN2at6native12_GLOBAL__N_125multi_tensor_apply_kernelINS1_28TensorListScalarListMetadataIfLi2EEENS1_25BinaryOpScalarListFunctorIN3c108BFloat16ELi2ELi1ELi1EEEJSt10multipliesIfEEEEvT_T0_DpT1_,"axG",@progbits,_ZN2at6native12_GLOBAL__N_125multi_tensor_apply_kernelINS1_28TensorListScalarListMetadataIfLi2EEENS1_25BinaryOpScalarListFunctorIN3c108BFloat16ELi2ELi1ELi1EEEJSt10multipliesIfEEEEvT_T0_DpT1_,comdat
.Lfunc_end47:
	.size	_ZN2at6native12_GLOBAL__N_125multi_tensor_apply_kernelINS1_28TensorListScalarListMetadataIfLi2EEENS1_25BinaryOpScalarListFunctorIN3c108BFloat16ELi2ELi1ELi1EEEJSt10multipliesIfEEEEvT_T0_DpT1_, .Lfunc_end47-_ZN2at6native12_GLOBAL__N_125multi_tensor_apply_kernelINS1_28TensorListScalarListMetadataIfLi2EEENS1_25BinaryOpScalarListFunctorIN3c108BFloat16ELi2ELi1ELi1EEEJSt10multipliesIfEEEEvT_T0_DpT1_
                                        ; -- End function
	.set _ZN2at6native12_GLOBAL__N_125multi_tensor_apply_kernelINS1_28TensorListScalarListMetadataIfLi2EEENS1_25BinaryOpScalarListFunctorIN3c108BFloat16ELi2ELi1ELi1EEEJSt10multipliesIfEEEEvT_T0_DpT1_.num_vgpr, 30
	.set _ZN2at6native12_GLOBAL__N_125multi_tensor_apply_kernelINS1_28TensorListScalarListMetadataIfLi2EEENS1_25BinaryOpScalarListFunctorIN3c108BFloat16ELi2ELi1ELi1EEEJSt10multipliesIfEEEEvT_T0_DpT1_.num_agpr, 0
	.set _ZN2at6native12_GLOBAL__N_125multi_tensor_apply_kernelINS1_28TensorListScalarListMetadataIfLi2EEENS1_25BinaryOpScalarListFunctorIN3c108BFloat16ELi2ELi1ELi1EEEJSt10multipliesIfEEEEvT_T0_DpT1_.numbered_sgpr, 24
	.set _ZN2at6native12_GLOBAL__N_125multi_tensor_apply_kernelINS1_28TensorListScalarListMetadataIfLi2EEENS1_25BinaryOpScalarListFunctorIN3c108BFloat16ELi2ELi1ELi1EEEJSt10multipliesIfEEEEvT_T0_DpT1_.num_named_barrier, 0
	.set _ZN2at6native12_GLOBAL__N_125multi_tensor_apply_kernelINS1_28TensorListScalarListMetadataIfLi2EEENS1_25BinaryOpScalarListFunctorIN3c108BFloat16ELi2ELi1ELi1EEEJSt10multipliesIfEEEEvT_T0_DpT1_.private_seg_size, 0
	.set _ZN2at6native12_GLOBAL__N_125multi_tensor_apply_kernelINS1_28TensorListScalarListMetadataIfLi2EEENS1_25BinaryOpScalarListFunctorIN3c108BFloat16ELi2ELi1ELi1EEEJSt10multipliesIfEEEEvT_T0_DpT1_.uses_vcc, 1
	.set _ZN2at6native12_GLOBAL__N_125multi_tensor_apply_kernelINS1_28TensorListScalarListMetadataIfLi2EEENS1_25BinaryOpScalarListFunctorIN3c108BFloat16ELi2ELi1ELi1EEEJSt10multipliesIfEEEEvT_T0_DpT1_.uses_flat_scratch, 0
	.set _ZN2at6native12_GLOBAL__N_125multi_tensor_apply_kernelINS1_28TensorListScalarListMetadataIfLi2EEENS1_25BinaryOpScalarListFunctorIN3c108BFloat16ELi2ELi1ELi1EEEJSt10multipliesIfEEEEvT_T0_DpT1_.has_dyn_sized_stack, 0
	.set _ZN2at6native12_GLOBAL__N_125multi_tensor_apply_kernelINS1_28TensorListScalarListMetadataIfLi2EEENS1_25BinaryOpScalarListFunctorIN3c108BFloat16ELi2ELi1ELi1EEEJSt10multipliesIfEEEEvT_T0_DpT1_.has_recursion, 0
	.set _ZN2at6native12_GLOBAL__N_125multi_tensor_apply_kernelINS1_28TensorListScalarListMetadataIfLi2EEENS1_25BinaryOpScalarListFunctorIN3c108BFloat16ELi2ELi1ELi1EEEJSt10multipliesIfEEEEvT_T0_DpT1_.has_indirect_call, 0
	.section	.AMDGPU.csdata,"",@progbits
; Kernel info:
; codeLenInByte = 1808
; TotalNumSgprs: 26
; NumVgprs: 30
; ScratchSize: 0
; MemoryBound: 0
; FloatMode: 240
; IeeeMode: 1
; LDSByteSize: 0 bytes/workgroup (compile time only)
; SGPRBlocks: 0
; VGPRBlocks: 3
; NumSGPRsForWavesPerEU: 26
; NumVGPRsForWavesPerEU: 30
; Occupancy: 16
; WaveLimiterHint : 0
; COMPUTE_PGM_RSRC2:SCRATCH_EN: 0
; COMPUTE_PGM_RSRC2:USER_SGPR: 6
; COMPUTE_PGM_RSRC2:TRAP_HANDLER: 0
; COMPUTE_PGM_RSRC2:TGID_X_EN: 1
; COMPUTE_PGM_RSRC2:TGID_Y_EN: 0
; COMPUTE_PGM_RSRC2:TGID_Z_EN: 0
; COMPUTE_PGM_RSRC2:TIDIG_COMP_CNT: 0
	.section	.text._ZN2at6native12_GLOBAL__N_125multi_tensor_apply_kernelINS1_28TensorListScalarListMetadataIhLi1EEENS1_25BinaryOpScalarListFunctorIhLi1ELi1ELi0EEEJSt7dividesIhEEEEvT_T0_DpT1_,"axG",@progbits,_ZN2at6native12_GLOBAL__N_125multi_tensor_apply_kernelINS1_28TensorListScalarListMetadataIhLi1EEENS1_25BinaryOpScalarListFunctorIhLi1ELi1ELi0EEEJSt7dividesIhEEEEvT_T0_DpT1_,comdat
	.globl	_ZN2at6native12_GLOBAL__N_125multi_tensor_apply_kernelINS1_28TensorListScalarListMetadataIhLi1EEENS1_25BinaryOpScalarListFunctorIhLi1ELi1ELi0EEEJSt7dividesIhEEEEvT_T0_DpT1_ ; -- Begin function _ZN2at6native12_GLOBAL__N_125multi_tensor_apply_kernelINS1_28TensorListScalarListMetadataIhLi1EEENS1_25BinaryOpScalarListFunctorIhLi1ELi1ELi0EEEJSt7dividesIhEEEEvT_T0_DpT1_
	.p2align	8
	.type	_ZN2at6native12_GLOBAL__N_125multi_tensor_apply_kernelINS1_28TensorListScalarListMetadataIhLi1EEENS1_25BinaryOpScalarListFunctorIhLi1ELi1ELi0EEEJSt7dividesIhEEEEvT_T0_DpT1_,@function
_ZN2at6native12_GLOBAL__N_125multi_tensor_apply_kernelINS1_28TensorListScalarListMetadataIhLi1EEENS1_25BinaryOpScalarListFunctorIhLi1ELi1ELi0EEEJSt7dividesIhEEEEvT_T0_DpT1_: ; @_ZN2at6native12_GLOBAL__N_125multi_tensor_apply_kernelINS1_28TensorListScalarListMetadataIhLi1EEENS1_25BinaryOpScalarListFunctorIhLi1ELi1ELi0EEEJSt7dividesIhEEEEvT_T0_DpT1_
; %bb.0:
	v_mov_b32_e32 v1, s6
	s_mul_i32 s2, s6, 3
	s_mul_hi_u32 s3, s6, 3
	global_load_ubyte v3, v1, s[4:5] offset:1632
	s_waitcnt vmcnt(0)
	v_add_co_u32 v1, s0, s4, v3
	v_add_co_ci_u32_e64 v2, null, s5, 0, s0
	s_add_u32 s0, s4, s6
	s_addc_u32 s1, s5, 0
	s_add_u32 s0, s0, s2
	global_load_ubyte v1, v[1:2], off offset:1536
	v_readfirstlane_b32 s2, v3
	s_addc_u32 s1, s1, s3
	s_load_dword s0, s[0:1], 0x7a0
	s_lshl_b32 s1, s2, 3
	s_clause 0x1
	s_load_dwordx2 s[2:3], s[4:5], s1 offset:0x300
	s_load_dwordx2 s[6:7], s[4:5], s1 offset:0x0
	s_waitcnt lgkmcnt(0)
	s_ashr_i32 s1, s0, 31
	s_lshl_b64 s[8:9], s[0:1], 16
	s_sub_u32 s10, s2, s8
	s_subb_u32 s11, s3, s9
	s_or_b32 s0, s2, s6
	s_and_b32 s0, s0, 3
	s_cmp_eq_u32 s0, 0
	s_cbranch_scc1 .LBB48_21
; %bb.1:
	v_cmp_lt_i64_e64 s0, s[10:11], 1
	s_and_b32 vcc_lo, exec_lo, s0
	s_cbranch_vccnz .LBB48_20
; %bb.2:
	s_load_dword s0, s[4:5], 0xcb4
	v_cmp_gt_i64_e64 s1, 0x10000, s[10:11]
	v_cmp_gt_u64_e64 s2, 0x10000, s[10:11]
	v_add_co_u32 v14, s3, s8, v0
	v_add_co_ci_u32_e64 v15, null, s9, 0, s3
	s_and_b32 s1, s1, exec_lo
	s_cselect_b32 s13, s11, 0
	s_cselect_b32 s12, s10, 0x10000
	s_waitcnt vmcnt(0)
	v_cvt_f32_ubyte0_e32 v2, v1
	v_add_co_u32 v4, vcc_lo, s6, v14
	v_add_co_ci_u32_e64 v5, null, s7, v15, vcc_lo
	v_rcp_iflag_f32_e32 v3, v2
	s_waitcnt lgkmcnt(0)
	s_and_b32 s0, s0, 0xffff
	s_and_b32 s1, s2, exec_lo
	s_mul_i32 s2, s0, 3
	s_cselect_b32 s15, s11, 0
	s_cselect_b32 s14, s10, 0x10000
	s_lshl_b32 s1, s0, 1
	s_lshl_b32 s18, s0, 2
	s_add_u32 s3, s8, s2
	s_addc_u32 s16, s9, 0
	s_add_u32 s3, s6, s3
	v_add_co_u32 v8, s2, s2, v0
	s_addc_u32 s16, s7, s16
	v_add_co_u32 v6, s3, s3, v0
	v_add_co_ci_u32_e64 v9, null, 0, 0, s2
	s_add_u32 s2, s8, s1
	v_add_co_ci_u32_e64 v7, null, s16, 0, s3
	s_addc_u32 s3, s9, 0
	s_add_u32 s2, s6, s2
	v_add_co_u32 v12, s1, s1, v0
	s_addc_u32 s3, s7, s3
	v_add_co_u32 v10, s2, s2, v0
	v_add_co_ci_u32_e64 v13, null, 0, 0, s1
	s_add_u32 s1, s6, s0
	v_add_co_ci_u32_e64 v11, null, s3, 0, s2
	s_addc_u32 s2, s7, 0
	v_add_co_u32 v14, vcc_lo, s1, v14
	v_add_co_u32 v16, s0, v0, s0
	v_add_co_ci_u32_e64 v15, null, s2, v15, vcc_lo
	v_add_co_ci_u32_e64 v17, null, 0, 0, s0
	s_mov_b64 s[16:17], 0
	s_branch .LBB48_4
.LBB48_3:                               ;   in Loop: Header=BB48_4 Depth=1
	s_or_b32 exec_lo, exec_lo, s0
	s_add_u32 s16, s16, s18
	s_addc_u32 s17, s17, 0
	v_cmp_lt_i64_e64 s0, s[16:17], s[12:13]
	s_and_b32 vcc_lo, exec_lo, s0
	s_cbranch_vccz .LBB48_20
.LBB48_4:                               ; =>This Inner Loop Header: Depth=1
	s_waitcnt vmcnt(0)
	v_add_co_u32 v18, s0, v0, s16
	v_add_co_ci_u32_e64 v19, null, 0, s17, s0
	v_cmp_gt_u64_e64 s0, s[14:15], v[18:19]
	v_mov_b32_e32 v19, 0
	s_and_saveexec_b32 s1, s0
	s_cbranch_execz .LBB48_6
; %bb.5:                                ;   in Loop: Header=BB48_4 Depth=1
	v_add_co_u32 v18, vcc_lo, v4, s16
	v_add_co_ci_u32_e64 v19, null, s17, v5, vcc_lo
	global_load_ubyte v19, v[18:19], off
.LBB48_6:                               ;   in Loop: Header=BB48_4 Depth=1
	s_or_b32 exec_lo, exec_lo, s1
	v_add_co_u32 v20, vcc_lo, v16, s16
	v_add_co_ci_u32_e64 v21, null, s17, v17, vcc_lo
	v_mov_b32_e32 v18, 0
	v_cmp_gt_u64_e32 vcc_lo, s[14:15], v[20:21]
	v_mov_b32_e32 v20, 0
	s_and_saveexec_b32 s2, vcc_lo
	s_cbranch_execz .LBB48_8
; %bb.7:                                ;   in Loop: Header=BB48_4 Depth=1
	v_add_co_u32 v20, s1, v14, s16
	v_add_co_ci_u32_e64 v21, null, s17, v15, s1
	global_load_ubyte v20, v[20:21], off
.LBB48_8:                               ;   in Loop: Header=BB48_4 Depth=1
	s_or_b32 exec_lo, exec_lo, s2
	v_add_co_u32 v21, s1, v12, s16
	v_add_co_ci_u32_e64 v22, null, s17, v13, s1
	v_cmp_gt_u64_e64 s1, s[14:15], v[21:22]
	s_and_saveexec_b32 s3, s1
	s_cbranch_execz .LBB48_10
; %bb.9:                                ;   in Loop: Header=BB48_4 Depth=1
	v_add_co_u32 v21, s2, v10, s16
	v_add_co_ci_u32_e64 v22, null, s17, v11, s2
	global_load_ubyte v18, v[21:22], off
.LBB48_10:                              ;   in Loop: Header=BB48_4 Depth=1
	s_or_b32 exec_lo, exec_lo, s3
	v_add_co_u32 v21, s2, v8, s16
	v_add_co_ci_u32_e64 v22, null, s17, v9, s2
	v_cmp_gt_u64_e64 s2, s[14:15], v[21:22]
	v_mov_b32_e32 v21, 0
	s_and_saveexec_b32 s19, s2
	s_cbranch_execnz .LBB48_15
; %bb.11:                               ;   in Loop: Header=BB48_4 Depth=1
	s_or_b32 exec_lo, exec_lo, s19
	s_and_saveexec_b32 s3, s0
	s_cbranch_execnz .LBB48_16
.LBB48_12:                              ;   in Loop: Header=BB48_4 Depth=1
	s_or_b32 exec_lo, exec_lo, s3
	s_and_saveexec_b32 s0, vcc_lo
	s_cbranch_execnz .LBB48_17
.LBB48_13:                              ;   in Loop: Header=BB48_4 Depth=1
	s_or_b32 exec_lo, exec_lo, s0
	s_and_saveexec_b32 s0, s1
	s_cbranch_execnz .LBB48_18
.LBB48_14:                              ;   in Loop: Header=BB48_4 Depth=1
	s_or_b32 exec_lo, exec_lo, s0
	s_and_saveexec_b32 s0, s2
	s_cbranch_execz .LBB48_3
	s_branch .LBB48_19
.LBB48_15:                              ;   in Loop: Header=BB48_4 Depth=1
	v_add_co_u32 v21, s3, v6, s16
	v_add_co_ci_u32_e64 v22, null, s17, v7, s3
	global_load_ubyte v21, v[21:22], off
	s_or_b32 exec_lo, exec_lo, s19
	s_and_saveexec_b32 s3, s0
	s_cbranch_execz .LBB48_12
.LBB48_16:                              ;   in Loop: Header=BB48_4 Depth=1
	s_waitcnt vmcnt(0)
	v_cvt_f32_ubyte0_e32 v19, v19
	v_mul_f32_e32 v22, v19, v3
	v_trunc_f32_e32 v22, v22
	v_fma_f32 v19, -v22, v2, v19
	v_cvt_u32_f32_e32 v24, v22
	v_add_co_u32 v22, s0, v4, s16
	v_add_co_ci_u32_e64 v23, null, s17, v5, s0
	v_cmp_ge_f32_e64 s0, |v19|, v2
	v_add_co_ci_u32_e64 v19, null, 0, v24, s0
	global_store_byte v[22:23], v19, off
	s_or_b32 exec_lo, exec_lo, s3
	s_and_saveexec_b32 s0, vcc_lo
	s_cbranch_execz .LBB48_13
.LBB48_17:                              ;   in Loop: Header=BB48_4 Depth=1
	s_waitcnt vmcnt(0)
	v_cvt_f32_ubyte0_e32 v19, v20
	v_mul_f32_e32 v20, v19, v3
	v_trunc_f32_e32 v20, v20
	v_fma_f32 v19, -v20, v2, v19
	v_cvt_u32_f32_e32 v20, v20
	v_cmp_ge_f32_e64 vcc_lo, |v19|, v2
	v_add_co_ci_u32_e64 v22, null, 0, v20, vcc_lo
	v_add_co_u32 v19, vcc_lo, v14, s16
	v_add_co_ci_u32_e64 v20, null, s17, v15, vcc_lo
	global_store_byte v[19:20], v22, off
	s_or_b32 exec_lo, exec_lo, s0
	s_and_saveexec_b32 s0, s1
	s_cbranch_execz .LBB48_14
.LBB48_18:                              ;   in Loop: Header=BB48_4 Depth=1
	s_waitcnt vmcnt(0)
	v_cvt_f32_ubyte0_e32 v18, v18
	v_mul_f32_e32 v19, v18, v3
	v_trunc_f32_e32 v19, v19
	v_fma_f32 v18, -v19, v2, v18
	v_cvt_u32_f32_e32 v19, v19
	v_cmp_ge_f32_e64 vcc_lo, |v18|, v2
	v_add_co_ci_u32_e64 v20, null, 0, v19, vcc_lo
	v_add_co_u32 v18, vcc_lo, v10, s16
	v_add_co_ci_u32_e64 v19, null, s17, v11, vcc_lo
	global_store_byte v[18:19], v20, off
	s_or_b32 exec_lo, exec_lo, s0
	s_and_saveexec_b32 s0, s2
	s_cbranch_execz .LBB48_3
.LBB48_19:                              ;   in Loop: Header=BB48_4 Depth=1
	s_waitcnt vmcnt(0)
	v_cvt_f32_ubyte0_e32 v18, v21
	v_mul_f32_e32 v19, v18, v3
	v_trunc_f32_e32 v19, v19
	v_fma_f32 v18, -v19, v2, v18
	v_cvt_u32_f32_e32 v19, v19
	v_cmp_ge_f32_e64 vcc_lo, |v18|, v2
	v_add_co_ci_u32_e64 v20, null, 0, v19, vcc_lo
	v_add_co_u32 v18, vcc_lo, v6, s16
	v_add_co_ci_u32_e64 v19, null, s17, v7, vcc_lo
	global_store_byte v[18:19], v20, off
	s_branch .LBB48_3
.LBB48_20:
	s_cbranch_execz .LBB48_22
	s_branch .LBB48_25
.LBB48_21:
.LBB48_22:
	v_cmp_gt_i64_e64 s0, 0x10000, s[10:11]
	v_mov_b32_e32 v3, 0
	v_lshlrev_b32_e32 v2, 2, v0
	s_mov_b32 s1, 0
	s_and_b32 s0, s0, exec_lo
	s_cselect_b32 s3, s11, 0
	s_cselect_b32 s2, s10, 0x10000
	s_mov_b32 s0, exec_lo
	v_cmpx_gt_i64_e64 s[2:3], v[2:3]
	s_cbranch_execz .LBB48_25
; %bb.23:
	s_load_dword s0, s[4:5], 0xcb4
	s_waitcnt vmcnt(0)
	v_cvt_f32_ubyte0_e32 v4, v1
	v_mov_b32_e32 v1, v3
	v_rcp_iflag_f32_e32 v5, v4
	s_waitcnt lgkmcnt(0)
	s_and_b32 s4, s0, 0xffff
	s_add_u32 s0, s6, s8
	s_addc_u32 s5, s7, s9
	v_add_co_u32 v2, s0, s0, v2
	v_add_co_ci_u32_e64 v3, null, s5, 0, s0
	s_lshl_b32 s5, s4, 2
.LBB48_24:                              ; =>This Inner Loop Header: Depth=1
	global_load_dword v6, v[2:3], off
	s_waitcnt vmcnt(0)
	v_cvt_f32_ubyte0_e32 v7, v6
	v_cvt_f32_ubyte1_e32 v8, v6
	v_cvt_f32_ubyte2_e32 v9, v6
	v_cvt_f32_ubyte3_e32 v6, v6
	v_mul_f32_e32 v10, v7, v5
	v_mul_f32_e32 v11, v8, v5
	;; [unrolled: 1-line block ×4, first 2 shown]
	v_trunc_f32_e32 v10, v10
	v_trunc_f32_e32 v11, v11
	v_trunc_f32_e32 v12, v12
	v_trunc_f32_e32 v13, v13
	v_fma_f32 v7, -v10, v4, v7
	v_cvt_u32_f32_e32 v10, v10
	v_fma_f32 v8, -v11, v4, v8
	v_cvt_u32_f32_e32 v11, v11
	v_fma_f32 v6, -v13, v4, v6
	v_cmp_ge_f32_e64 vcc_lo, |v7|, v4
	v_fma_f32 v9, -v12, v4, v9
	v_cvt_u32_f32_e32 v13, v13
	v_cvt_u32_f32_e32 v12, v12
	v_add_co_ci_u32_e64 v7, null, 0, v10, vcc_lo
	v_cmp_ge_f32_e64 vcc_lo, |v8|, v4
	v_add_co_ci_u32_e64 v8, null, 0, v11, vcc_lo
	v_cmp_ge_f32_e64 vcc_lo, |v6|, v4
	v_lshlrev_b16 v8, 8, v8
	v_add_co_ci_u32_e64 v6, null, 0, v13, vcc_lo
	v_cmp_ge_f32_e64 vcc_lo, |v9|, v4
	v_or_b32_sdwa v8, v7, v8 dst_sel:DWORD dst_unused:UNUSED_PAD src0_sel:BYTE_0 src1_sel:DWORD
	v_lshlrev_b16 v6, 8, v6
	v_add_co_ci_u32_e64 v9, null, 0, v12, vcc_lo
	v_add_co_u32 v0, vcc_lo, v0, s4
	v_add_co_ci_u32_e64 v1, null, 0, v1, vcc_lo
	v_or_b32_sdwa v9, v9, v6 dst_sel:WORD_1 dst_unused:UNUSED_PAD src0_sel:BYTE_0 src1_sel:DWORD
	v_lshlrev_b64 v[6:7], 2, v[0:1]
	v_or_b32_sdwa v8, v8, v9 dst_sel:DWORD dst_unused:UNUSED_PAD src0_sel:WORD_0 src1_sel:DWORD
	v_cmp_le_i64_e32 vcc_lo, s[2:3], v[6:7]
	global_store_dword v[2:3], v8, off
	v_add_co_u32 v2, s0, v2, s5
	v_add_co_ci_u32_e64 v3, null, 0, v3, s0
	s_or_b32 s1, vcc_lo, s1
	s_andn2_b32 exec_lo, exec_lo, s1
	s_cbranch_execnz .LBB48_24
.LBB48_25:
	s_endpgm
	.section	.rodata,"a",@progbits
	.p2align	6, 0x0
	.amdhsa_kernel _ZN2at6native12_GLOBAL__N_125multi_tensor_apply_kernelINS1_28TensorListScalarListMetadataIhLi1EEENS1_25BinaryOpScalarListFunctorIhLi1ELi1ELi0EEEJSt7dividesIhEEEEvT_T0_DpT1_
		.amdhsa_group_segment_fixed_size 0
		.amdhsa_private_segment_fixed_size 0
		.amdhsa_kernarg_size 3496
		.amdhsa_user_sgpr_count 6
		.amdhsa_user_sgpr_private_segment_buffer 1
		.amdhsa_user_sgpr_dispatch_ptr 0
		.amdhsa_user_sgpr_queue_ptr 0
		.amdhsa_user_sgpr_kernarg_segment_ptr 1
		.amdhsa_user_sgpr_dispatch_id 0
		.amdhsa_user_sgpr_flat_scratch_init 0
		.amdhsa_user_sgpr_private_segment_size 0
		.amdhsa_wavefront_size32 1
		.amdhsa_uses_dynamic_stack 0
		.amdhsa_system_sgpr_private_segment_wavefront_offset 0
		.amdhsa_system_sgpr_workgroup_id_x 1
		.amdhsa_system_sgpr_workgroup_id_y 0
		.amdhsa_system_sgpr_workgroup_id_z 0
		.amdhsa_system_sgpr_workgroup_info 0
		.amdhsa_system_vgpr_workitem_id 0
		.amdhsa_next_free_vgpr 25
		.amdhsa_next_free_sgpr 20
		.amdhsa_reserve_vcc 1
		.amdhsa_reserve_flat_scratch 0
		.amdhsa_float_round_mode_32 0
		.amdhsa_float_round_mode_16_64 0
		.amdhsa_float_denorm_mode_32 3
		.amdhsa_float_denorm_mode_16_64 3
		.amdhsa_dx10_clamp 1
		.amdhsa_ieee_mode 1
		.amdhsa_fp16_overflow 0
		.amdhsa_workgroup_processor_mode 1
		.amdhsa_memory_ordered 1
		.amdhsa_forward_progress 1
		.amdhsa_shared_vgpr_count 0
		.amdhsa_exception_fp_ieee_invalid_op 0
		.amdhsa_exception_fp_denorm_src 0
		.amdhsa_exception_fp_ieee_div_zero 0
		.amdhsa_exception_fp_ieee_overflow 0
		.amdhsa_exception_fp_ieee_underflow 0
		.amdhsa_exception_fp_ieee_inexact 0
		.amdhsa_exception_int_div_zero 0
	.end_amdhsa_kernel
	.section	.text._ZN2at6native12_GLOBAL__N_125multi_tensor_apply_kernelINS1_28TensorListScalarListMetadataIhLi1EEENS1_25BinaryOpScalarListFunctorIhLi1ELi1ELi0EEEJSt7dividesIhEEEEvT_T0_DpT1_,"axG",@progbits,_ZN2at6native12_GLOBAL__N_125multi_tensor_apply_kernelINS1_28TensorListScalarListMetadataIhLi1EEENS1_25BinaryOpScalarListFunctorIhLi1ELi1ELi0EEEJSt7dividesIhEEEEvT_T0_DpT1_,comdat
.Lfunc_end48:
	.size	_ZN2at6native12_GLOBAL__N_125multi_tensor_apply_kernelINS1_28TensorListScalarListMetadataIhLi1EEENS1_25BinaryOpScalarListFunctorIhLi1ELi1ELi0EEEJSt7dividesIhEEEEvT_T0_DpT1_, .Lfunc_end48-_ZN2at6native12_GLOBAL__N_125multi_tensor_apply_kernelINS1_28TensorListScalarListMetadataIhLi1EEENS1_25BinaryOpScalarListFunctorIhLi1ELi1ELi0EEEJSt7dividesIhEEEEvT_T0_DpT1_
                                        ; -- End function
	.set _ZN2at6native12_GLOBAL__N_125multi_tensor_apply_kernelINS1_28TensorListScalarListMetadataIhLi1EEENS1_25BinaryOpScalarListFunctorIhLi1ELi1ELi0EEEJSt7dividesIhEEEEvT_T0_DpT1_.num_vgpr, 25
	.set _ZN2at6native12_GLOBAL__N_125multi_tensor_apply_kernelINS1_28TensorListScalarListMetadataIhLi1EEENS1_25BinaryOpScalarListFunctorIhLi1ELi1ELi0EEEJSt7dividesIhEEEEvT_T0_DpT1_.num_agpr, 0
	.set _ZN2at6native12_GLOBAL__N_125multi_tensor_apply_kernelINS1_28TensorListScalarListMetadataIhLi1EEENS1_25BinaryOpScalarListFunctorIhLi1ELi1ELi0EEEJSt7dividesIhEEEEvT_T0_DpT1_.numbered_sgpr, 20
	.set _ZN2at6native12_GLOBAL__N_125multi_tensor_apply_kernelINS1_28TensorListScalarListMetadataIhLi1EEENS1_25BinaryOpScalarListFunctorIhLi1ELi1ELi0EEEJSt7dividesIhEEEEvT_T0_DpT1_.num_named_barrier, 0
	.set _ZN2at6native12_GLOBAL__N_125multi_tensor_apply_kernelINS1_28TensorListScalarListMetadataIhLi1EEENS1_25BinaryOpScalarListFunctorIhLi1ELi1ELi0EEEJSt7dividesIhEEEEvT_T0_DpT1_.private_seg_size, 0
	.set _ZN2at6native12_GLOBAL__N_125multi_tensor_apply_kernelINS1_28TensorListScalarListMetadataIhLi1EEENS1_25BinaryOpScalarListFunctorIhLi1ELi1ELi0EEEJSt7dividesIhEEEEvT_T0_DpT1_.uses_vcc, 1
	.set _ZN2at6native12_GLOBAL__N_125multi_tensor_apply_kernelINS1_28TensorListScalarListMetadataIhLi1EEENS1_25BinaryOpScalarListFunctorIhLi1ELi1ELi0EEEJSt7dividesIhEEEEvT_T0_DpT1_.uses_flat_scratch, 0
	.set _ZN2at6native12_GLOBAL__N_125multi_tensor_apply_kernelINS1_28TensorListScalarListMetadataIhLi1EEENS1_25BinaryOpScalarListFunctorIhLi1ELi1ELi0EEEJSt7dividesIhEEEEvT_T0_DpT1_.has_dyn_sized_stack, 0
	.set _ZN2at6native12_GLOBAL__N_125multi_tensor_apply_kernelINS1_28TensorListScalarListMetadataIhLi1EEENS1_25BinaryOpScalarListFunctorIhLi1ELi1ELi0EEEJSt7dividesIhEEEEvT_T0_DpT1_.has_recursion, 0
	.set _ZN2at6native12_GLOBAL__N_125multi_tensor_apply_kernelINS1_28TensorListScalarListMetadataIhLi1EEENS1_25BinaryOpScalarListFunctorIhLi1ELi1ELi0EEEJSt7dividesIhEEEEvT_T0_DpT1_.has_indirect_call, 0
	.section	.AMDGPU.csdata,"",@progbits
; Kernel info:
; codeLenInByte = 1492
; TotalNumSgprs: 22
; NumVgprs: 25
; ScratchSize: 0
; MemoryBound: 0
; FloatMode: 240
; IeeeMode: 1
; LDSByteSize: 0 bytes/workgroup (compile time only)
; SGPRBlocks: 0
; VGPRBlocks: 3
; NumSGPRsForWavesPerEU: 22
; NumVGPRsForWavesPerEU: 25
; Occupancy: 16
; WaveLimiterHint : 0
; COMPUTE_PGM_RSRC2:SCRATCH_EN: 0
; COMPUTE_PGM_RSRC2:USER_SGPR: 6
; COMPUTE_PGM_RSRC2:TRAP_HANDLER: 0
; COMPUTE_PGM_RSRC2:TGID_X_EN: 1
; COMPUTE_PGM_RSRC2:TGID_Y_EN: 0
; COMPUTE_PGM_RSRC2:TGID_Z_EN: 0
; COMPUTE_PGM_RSRC2:TIDIG_COMP_CNT: 0
	.section	.text._ZN2at6native12_GLOBAL__N_125multi_tensor_apply_kernelINS1_28TensorListScalarListMetadataIaLi1EEENS1_25BinaryOpScalarListFunctorIaLi1ELi1ELi0EEEJSt7dividesIaEEEEvT_T0_DpT1_,"axG",@progbits,_ZN2at6native12_GLOBAL__N_125multi_tensor_apply_kernelINS1_28TensorListScalarListMetadataIaLi1EEENS1_25BinaryOpScalarListFunctorIaLi1ELi1ELi0EEEJSt7dividesIaEEEEvT_T0_DpT1_,comdat
	.globl	_ZN2at6native12_GLOBAL__N_125multi_tensor_apply_kernelINS1_28TensorListScalarListMetadataIaLi1EEENS1_25BinaryOpScalarListFunctorIaLi1ELi1ELi0EEEJSt7dividesIaEEEEvT_T0_DpT1_ ; -- Begin function _ZN2at6native12_GLOBAL__N_125multi_tensor_apply_kernelINS1_28TensorListScalarListMetadataIaLi1EEENS1_25BinaryOpScalarListFunctorIaLi1ELi1ELi0EEEJSt7dividesIaEEEEvT_T0_DpT1_
	.p2align	8
	.type	_ZN2at6native12_GLOBAL__N_125multi_tensor_apply_kernelINS1_28TensorListScalarListMetadataIaLi1EEENS1_25BinaryOpScalarListFunctorIaLi1ELi1ELi0EEEJSt7dividesIaEEEEvT_T0_DpT1_,@function
_ZN2at6native12_GLOBAL__N_125multi_tensor_apply_kernelINS1_28TensorListScalarListMetadataIaLi1EEENS1_25BinaryOpScalarListFunctorIaLi1ELi1ELi0EEEJSt7dividesIaEEEEvT_T0_DpT1_: ; @_ZN2at6native12_GLOBAL__N_125multi_tensor_apply_kernelINS1_28TensorListScalarListMetadataIaLi1EEENS1_25BinaryOpScalarListFunctorIaLi1ELi1ELi0EEEJSt7dividesIaEEEEvT_T0_DpT1_
; %bb.0:
	v_mov_b32_e32 v1, s6
	s_mul_i32 s2, s6, 3
	s_mul_hi_u32 s3, s6, 3
	global_load_ubyte v3, v1, s[4:5] offset:1632
	s_waitcnt vmcnt(0)
	v_add_co_u32 v1, s0, s4, v3
	v_add_co_ci_u32_e64 v2, null, s5, 0, s0
	s_add_u32 s0, s4, s6
	s_addc_u32 s1, s5, 0
	s_add_u32 s0, s0, s2
	global_load_ubyte v4, v[1:2], off offset:1536
	v_readfirstlane_b32 s2, v3
	s_addc_u32 s1, s1, s3
	s_load_dword s0, s[0:1], 0x7a0
	s_lshl_b32 s1, s2, 3
	s_clause 0x1
	s_load_dwordx2 s[2:3], s[4:5], s1 offset:0x300
	s_load_dwordx2 s[6:7], s[4:5], s1 offset:0x0
	s_waitcnt lgkmcnt(0)
	s_ashr_i32 s1, s0, 31
	s_lshl_b64 s[8:9], s[0:1], 16
	s_sub_u32 s10, s2, s8
	s_subb_u32 s11, s3, s9
	s_or_b32 s0, s2, s6
	s_and_b32 s0, s0, 3
	s_cmp_eq_u32 s0, 0
	s_cbranch_scc1 .LBB49_21
; %bb.1:
	v_cmp_lt_i64_e64 s0, s[10:11], 1
	s_and_b32 vcc_lo, exec_lo, s0
	s_cbranch_vccnz .LBB49_20
; %bb.2:
	s_load_dword s0, s[4:5], 0xcb4
	v_cmp_gt_i64_e64 s1, 0x10000, s[10:11]
	v_cmp_gt_u64_e64 s2, 0x10000, s[10:11]
	v_add_co_u32 v14, s3, s8, v0
	v_add_co_ci_u32_e64 v15, null, s9, 0, s3
	s_and_b32 s1, s1, exec_lo
	s_cselect_b32 s13, s11, 0
	s_cselect_b32 s12, s10, 0x10000
	s_waitcnt vmcnt(0)
	v_cvt_f32_i32_sdwa v1, sext(v4) dst_sel:DWORD dst_unused:UNUSED_PAD src0_sel:BYTE_0
	v_add_co_u32 v3, vcc_lo, s6, v14
	v_add_co_ci_u32_e64 v5, null, s7, v15, vcc_lo
	v_rcp_iflag_f32_e32 v2, v1
	s_waitcnt lgkmcnt(0)
	s_and_b32 s0, s0, 0xffff
	s_and_b32 s1, s2, exec_lo
	s_mul_i32 s2, s0, 3
	s_cselect_b32 s15, s11, 0
	s_cselect_b32 s14, s10, 0x10000
	s_lshl_b32 s1, s0, 1
	s_lshl_b32 s18, s0, 2
	s_add_u32 s3, s8, s2
	s_addc_u32 s16, s9, 0
	s_add_u32 s3, s6, s3
	v_add_co_u32 v8, s2, s2, v0
	s_addc_u32 s16, s7, s16
	v_add_co_u32 v6, s3, s3, v0
	v_add_co_ci_u32_e64 v9, null, 0, 0, s2
	s_add_u32 s2, s8, s1
	v_add_co_ci_u32_e64 v7, null, s16, 0, s3
	s_addc_u32 s3, s9, 0
	s_add_u32 s2, s6, s2
	v_add_co_u32 v12, s1, s1, v0
	s_addc_u32 s3, s7, s3
	v_add_co_u32 v10, s2, s2, v0
	v_add_co_ci_u32_e64 v13, null, 0, 0, s1
	s_add_u32 s1, s6, s0
	v_add_co_ci_u32_e64 v11, null, s3, 0, s2
	s_addc_u32 s2, s7, 0
	v_add_co_u32 v14, vcc_lo, s1, v14
	v_add_co_u32 v16, s0, v0, s0
	v_add_co_ci_u32_e64 v15, null, s2, v15, vcc_lo
	v_add_co_ci_u32_e64 v17, null, 0, 0, s0
	s_mov_b64 s[16:17], 0
	s_branch .LBB49_4
.LBB49_3:                               ;   in Loop: Header=BB49_4 Depth=1
	s_or_b32 exec_lo, exec_lo, s0
	s_add_u32 s16, s16, s18
	s_addc_u32 s17, s17, 0
	v_cmp_lt_i64_e64 s0, s[16:17], s[12:13]
	s_and_b32 vcc_lo, exec_lo, s0
	s_cbranch_vccz .LBB49_20
.LBB49_4:                               ; =>This Inner Loop Header: Depth=1
	s_waitcnt vmcnt(0)
	v_add_co_u32 v18, s0, v0, s16
	v_add_co_ci_u32_e64 v19, null, 0, s17, s0
	v_mov_b32_e32 v21, 0
	v_cmp_gt_u64_e64 s2, s[14:15], v[18:19]
	s_and_saveexec_b32 s0, s2
	s_cbranch_execz .LBB49_6
; %bb.5:                                ;   in Loop: Header=BB49_4 Depth=1
	v_add_co_u32 v18, vcc_lo, v3, s16
	v_add_co_ci_u32_e64 v19, null, s17, v5, vcc_lo
	global_load_ubyte v21, v[18:19], off
.LBB49_6:                               ;   in Loop: Header=BB49_4 Depth=1
	s_or_b32 exec_lo, exec_lo, s0
	v_add_co_u32 v18, vcc_lo, v16, s16
	v_add_co_ci_u32_e64 v19, null, s17, v17, vcc_lo
	v_mov_b32_e32 v20, 0
	v_cmp_gt_u64_e64 s1, s[14:15], v[18:19]
	v_mov_b32_e32 v18, 0
	s_and_saveexec_b32 s0, s1
	s_cbranch_execz .LBB49_8
; %bb.7:                                ;   in Loop: Header=BB49_4 Depth=1
	v_add_co_u32 v19, vcc_lo, v14, s16
	v_add_co_ci_u32_e64 v20, null, s17, v15, vcc_lo
	global_load_ubyte v20, v[19:20], off
.LBB49_8:                               ;   in Loop: Header=BB49_4 Depth=1
	s_or_b32 exec_lo, exec_lo, s0
	v_add_co_u32 v22, vcc_lo, v12, s16
	v_add_co_ci_u32_e64 v23, null, s17, v13, vcc_lo
	v_cmp_gt_u64_e64 s0, s[14:15], v[22:23]
	s_and_saveexec_b32 s3, s0
	s_cbranch_execz .LBB49_10
; %bb.9:                                ;   in Loop: Header=BB49_4 Depth=1
	v_add_co_u32 v18, vcc_lo, v10, s16
	v_add_co_ci_u32_e64 v19, null, s17, v11, vcc_lo
	global_load_ubyte v18, v[18:19], off
.LBB49_10:                              ;   in Loop: Header=BB49_4 Depth=1
	s_or_b32 exec_lo, exec_lo, s3
	v_add_co_u32 v22, vcc_lo, v8, s16
	v_add_co_ci_u32_e64 v23, null, s17, v9, vcc_lo
	v_mov_b32_e32 v19, 0
	v_cmp_gt_u64_e32 vcc_lo, s[14:15], v[22:23]
	s_and_saveexec_b32 s19, vcc_lo
	s_cbranch_execnz .LBB49_15
; %bb.11:                               ;   in Loop: Header=BB49_4 Depth=1
	s_or_b32 exec_lo, exec_lo, s19
	s_and_saveexec_b32 s3, s2
	s_cbranch_execnz .LBB49_16
.LBB49_12:                              ;   in Loop: Header=BB49_4 Depth=1
	s_or_b32 exec_lo, exec_lo, s3
	s_and_saveexec_b32 s2, s1
	s_cbranch_execnz .LBB49_17
.LBB49_13:                              ;   in Loop: Header=BB49_4 Depth=1
	s_or_b32 exec_lo, exec_lo, s2
	s_and_saveexec_b32 s1, s0
	s_cbranch_execnz .LBB49_18
.LBB49_14:                              ;   in Loop: Header=BB49_4 Depth=1
	s_or_b32 exec_lo, exec_lo, s1
	s_and_saveexec_b32 s0, vcc_lo
	s_cbranch_execz .LBB49_3
	s_branch .LBB49_19
.LBB49_15:                              ;   in Loop: Header=BB49_4 Depth=1
	v_add_co_u32 v22, s3, v6, s16
	v_add_co_ci_u32_e64 v23, null, s17, v7, s3
	global_load_ubyte v19, v[22:23], off
	s_or_b32 exec_lo, exec_lo, s19
	s_and_saveexec_b32 s3, s2
	s_cbranch_execz .LBB49_12
.LBB49_16:                              ;   in Loop: Header=BB49_4 Depth=1
	s_waitcnt vmcnt(0)
	v_cvt_f32_i32_sdwa v22, sext(v21) dst_sel:DWORD dst_unused:UNUSED_PAD src0_sel:BYTE_0
	v_xor_b32_sdwa v21, sext(v21), sext(v4) dst_sel:DWORD dst_unused:UNUSED_PAD src0_sel:BYTE_0 src1_sel:BYTE_0
	v_mul_f32_e32 v23, v22, v2
	v_ashrrev_i32_e32 v21, 30, v21
	v_trunc_f32_e32 v23, v23
	v_or_b32_e32 v21, 1, v21
	v_fma_f32 v22, -v23, v1, v22
	v_cvt_i32_f32_e32 v23, v23
	v_cmp_ge_f32_e64 s2, |v22|, |v1|
	v_cndmask_b32_e64 v24, 0, v21, s2
	v_add_co_u32 v21, s2, v3, s16
	v_add_co_ci_u32_e64 v22, null, s17, v5, s2
	v_add_nc_u32_e32 v23, v23, v24
	global_store_byte v[21:22], v23, off
	s_or_b32 exec_lo, exec_lo, s3
	s_and_saveexec_b32 s2, s1
	s_cbranch_execz .LBB49_13
.LBB49_17:                              ;   in Loop: Header=BB49_4 Depth=1
	s_waitcnt vmcnt(0)
	v_cvt_f32_i32_sdwa v21, sext(v20) dst_sel:DWORD dst_unused:UNUSED_PAD src0_sel:BYTE_0
	v_xor_b32_sdwa v20, sext(v20), sext(v4) dst_sel:DWORD dst_unused:UNUSED_PAD src0_sel:BYTE_0 src1_sel:BYTE_0
	v_mul_f32_e32 v22, v21, v2
	v_ashrrev_i32_e32 v20, 30, v20
	v_trunc_f32_e32 v22, v22
	v_or_b32_e32 v20, 1, v20
	v_fma_f32 v21, -v22, v1, v21
	v_cvt_i32_f32_e32 v22, v22
	v_cmp_ge_f32_e64 s1, |v21|, |v1|
	v_cndmask_b32_e64 v20, 0, v20, s1
	v_add_nc_u32_e32 v22, v22, v20
	v_add_co_u32 v20, s1, v14, s16
	v_add_co_ci_u32_e64 v21, null, s17, v15, s1
	global_store_byte v[20:21], v22, off
	s_or_b32 exec_lo, exec_lo, s2
	s_and_saveexec_b32 s1, s0
	s_cbranch_execz .LBB49_14
.LBB49_18:                              ;   in Loop: Header=BB49_4 Depth=1
	s_waitcnt vmcnt(0)
	v_cvt_f32_i32_sdwa v20, sext(v18) dst_sel:DWORD dst_unused:UNUSED_PAD src0_sel:BYTE_0
	v_xor_b32_sdwa v18, sext(v18), sext(v4) dst_sel:DWORD dst_unused:UNUSED_PAD src0_sel:BYTE_0 src1_sel:BYTE_0
	v_mul_f32_e32 v21, v20, v2
	v_ashrrev_i32_e32 v18, 30, v18
	v_trunc_f32_e32 v21, v21
	v_or_b32_e32 v18, 1, v18
	v_fma_f32 v20, -v21, v1, v20
	v_cvt_i32_f32_e32 v21, v21
	v_cmp_ge_f32_e64 s0, |v20|, |v1|
	v_cndmask_b32_e64 v18, 0, v18, s0
	v_add_co_u32 v20, s0, v10, s16
	v_add_nc_u32_e32 v18, v21, v18
	v_add_co_ci_u32_e64 v21, null, s17, v11, s0
	global_store_byte v[20:21], v18, off
	s_or_b32 exec_lo, exec_lo, s1
	s_and_saveexec_b32 s0, vcc_lo
	s_cbranch_execz .LBB49_3
.LBB49_19:                              ;   in Loop: Header=BB49_4 Depth=1
	s_waitcnt vmcnt(0)
	v_cvt_f32_i32_sdwa v18, sext(v19) dst_sel:DWORD dst_unused:UNUSED_PAD src0_sel:BYTE_0
	v_xor_b32_sdwa v19, sext(v19), sext(v4) dst_sel:DWORD dst_unused:UNUSED_PAD src0_sel:BYTE_0 src1_sel:BYTE_0
	v_mul_f32_e32 v20, v18, v2
	v_ashrrev_i32_e32 v19, 30, v19
	v_trunc_f32_e32 v20, v20
	v_or_b32_e32 v19, 1, v19
	v_fma_f32 v18, -v20, v1, v18
	v_cvt_i32_f32_e32 v20, v20
	v_cmp_ge_f32_e64 vcc_lo, |v18|, |v1|
	v_cndmask_b32_e32 v18, 0, v19, vcc_lo
	v_add_nc_u32_e32 v20, v20, v18
	v_add_co_u32 v18, vcc_lo, v6, s16
	v_add_co_ci_u32_e64 v19, null, s17, v7, vcc_lo
	global_store_byte v[18:19], v20, off
	s_branch .LBB49_3
.LBB49_20:
	s_cbranch_execz .LBB49_22
	s_branch .LBB49_25
.LBB49_21:
.LBB49_22:
	v_cmp_gt_i64_e64 s0, 0x10000, s[10:11]
	v_mov_b32_e32 v3, 0
	v_lshlrev_b32_e32 v2, 2, v0
	s_mov_b32 s1, 0
	s_and_b32 s0, s0, exec_lo
	s_cselect_b32 s3, s11, 0
	s_cselect_b32 s2, s10, 0x10000
	s_mov_b32 s0, exec_lo
	v_cmpx_gt_i64_e64 s[2:3], v[2:3]
	s_cbranch_execz .LBB49_25
; %bb.23:
	s_load_dword s0, s[4:5], 0xcb4
	s_waitcnt vmcnt(0)
	v_cvt_f32_i32_sdwa v5, sext(v4) dst_sel:DWORD dst_unused:UNUSED_PAD src0_sel:BYTE_0
	v_mov_b32_e32 v1, v3
	v_rcp_iflag_f32_e32 v6, v5
	s_waitcnt lgkmcnt(0)
	s_and_b32 s4, s0, 0xffff
	s_add_u32 s0, s6, s8
	s_addc_u32 s5, s7, s9
	v_add_co_u32 v2, s0, s0, v2
	v_add_co_ci_u32_e64 v3, null, s5, 0, s0
	s_lshl_b32 s5, s4, 2
.LBB49_24:                              ; =>This Inner Loop Header: Depth=1
	global_load_dword v7, v[2:3], off
	s_waitcnt vmcnt(0)
	v_cvt_f32_i32_sdwa v9, sext(v7) dst_sel:DWORD dst_unused:UNUSED_PAD src0_sel:BYTE_0
	v_cvt_f32_i32_sdwa v11, sext(v7) dst_sel:DWORD dst_unused:UNUSED_PAD src0_sel:BYTE_1
	v_xor_b32_sdwa v8, sext(v7), sext(v4) dst_sel:DWORD dst_unused:UNUSED_PAD src0_sel:BYTE_0 src1_sel:BYTE_0
	v_cvt_f32_i32_sdwa v13, sext(v7) dst_sel:DWORD dst_unused:UNUSED_PAD src0_sel:BYTE_2
	v_xor_b32_sdwa v10, sext(v7), sext(v4) dst_sel:DWORD dst_unused:UNUSED_PAD src0_sel:BYTE_1 src1_sel:BYTE_0
	v_mul_f32_e32 v15, v9, v6
	v_mul_f32_e32 v16, v11, v6
	v_xor_b32_sdwa v12, sext(v7), sext(v4) dst_sel:DWORD dst_unused:UNUSED_PAD src0_sel:BYTE_2 src1_sel:BYTE_0
	v_xor_b32_sdwa v14, sext(v7), sext(v4) dst_sel:DWORD dst_unused:UNUSED_PAD src0_sel:BYTE_3 src1_sel:BYTE_0
	v_cvt_f32_i32_sdwa v7, sext(v7) dst_sel:DWORD dst_unused:UNUSED_PAD src0_sel:BYTE_3
	v_trunc_f32_e32 v15, v15
	v_ashrrev_i32_e32 v8, 30, v8
	v_mul_f32_e32 v17, v13, v6
	v_trunc_f32_e32 v16, v16
	v_ashrrev_i32_e32 v10, 30, v10
	v_fma_f32 v9, -v15, v5, v9
	v_mul_f32_e32 v18, v7, v6
	v_or_b32_e32 v8, 1, v8
	v_trunc_f32_e32 v17, v17
	v_fma_f32 v11, -v16, v5, v11
	v_cmp_ge_f32_e64 vcc_lo, |v9|, |v5|
	v_ashrrev_i32_e32 v12, 30, v12
	v_or_b32_e32 v10, 1, v10
	v_trunc_f32_e32 v18, v18
	v_fma_f32 v13, -v17, v5, v13
	v_cndmask_b32_e32 v8, 0, v8, vcc_lo
	v_cmp_ge_f32_e64 vcc_lo, |v11|, |v5|
	v_ashrrev_i32_e32 v14, 30, v14
	v_or_b32_e32 v12, 1, v12
	v_fma_f32 v7, -v18, v5, v7
	v_cvt_i32_f32_e32 v15, v15
	v_cndmask_b32_e32 v9, 0, v10, vcc_lo
	v_cmp_ge_f32_e64 vcc_lo, |v13|, |v5|
	v_or_b32_e32 v14, 1, v14
	v_cvt_i32_f32_e32 v16, v16
	v_cvt_i32_f32_e32 v17, v17
	;; [unrolled: 1-line block ×3, first 2 shown]
	v_cndmask_b32_e32 v10, 0, v12, vcc_lo
	v_cmp_ge_f32_e64 vcc_lo, |v7|, |v5|
	v_add_nc_u32_e32 v8, v15, v8
	v_add_nc_u32_sdwa v9, v16, v9 dst_sel:BYTE_1 dst_unused:UNUSED_PAD src0_sel:DWORD src1_sel:DWORD
	v_add_nc_u32_e32 v10, v17, v10
	v_cndmask_b32_e32 v7, 0, v14, vcc_lo
	v_add_co_u32 v0, vcc_lo, v0, s4
	v_add_co_ci_u32_e64 v1, null, 0, v1, vcc_lo
	v_add_nc_u32_sdwa v7, v18, v7 dst_sel:BYTE_1 dst_unused:UNUSED_PAD src0_sel:DWORD src1_sel:DWORD
	v_or_b32_sdwa v9, v8, v9 dst_sel:DWORD dst_unused:UNUSED_PAD src0_sel:BYTE_0 src1_sel:DWORD
	v_or_b32_sdwa v10, v10, v7 dst_sel:WORD_1 dst_unused:UNUSED_PAD src0_sel:BYTE_0 src1_sel:DWORD
	v_lshlrev_b64 v[7:8], 2, v[0:1]
	v_or_b32_sdwa v9, v9, v10 dst_sel:DWORD dst_unused:UNUSED_PAD src0_sel:WORD_0 src1_sel:DWORD
	v_cmp_le_i64_e32 vcc_lo, s[2:3], v[7:8]
	global_store_dword v[2:3], v9, off
	v_add_co_u32 v2, s0, v2, s5
	v_add_co_ci_u32_e64 v3, null, 0, v3, s0
	s_or_b32 s1, vcc_lo, s1
	s_andn2_b32 exec_lo, exec_lo, s1
	s_cbranch_execnz .LBB49_24
.LBB49_25:
	s_endpgm
	.section	.rodata,"a",@progbits
	.p2align	6, 0x0
	.amdhsa_kernel _ZN2at6native12_GLOBAL__N_125multi_tensor_apply_kernelINS1_28TensorListScalarListMetadataIaLi1EEENS1_25BinaryOpScalarListFunctorIaLi1ELi1ELi0EEEJSt7dividesIaEEEEvT_T0_DpT1_
		.amdhsa_group_segment_fixed_size 0
		.amdhsa_private_segment_fixed_size 0
		.amdhsa_kernarg_size 3496
		.amdhsa_user_sgpr_count 6
		.amdhsa_user_sgpr_private_segment_buffer 1
		.amdhsa_user_sgpr_dispatch_ptr 0
		.amdhsa_user_sgpr_queue_ptr 0
		.amdhsa_user_sgpr_kernarg_segment_ptr 1
		.amdhsa_user_sgpr_dispatch_id 0
		.amdhsa_user_sgpr_flat_scratch_init 0
		.amdhsa_user_sgpr_private_segment_size 0
		.amdhsa_wavefront_size32 1
		.amdhsa_uses_dynamic_stack 0
		.amdhsa_system_sgpr_private_segment_wavefront_offset 0
		.amdhsa_system_sgpr_workgroup_id_x 1
		.amdhsa_system_sgpr_workgroup_id_y 0
		.amdhsa_system_sgpr_workgroup_id_z 0
		.amdhsa_system_sgpr_workgroup_info 0
		.amdhsa_system_vgpr_workitem_id 0
		.amdhsa_next_free_vgpr 25
		.amdhsa_next_free_sgpr 20
		.amdhsa_reserve_vcc 1
		.amdhsa_reserve_flat_scratch 0
		.amdhsa_float_round_mode_32 0
		.amdhsa_float_round_mode_16_64 0
		.amdhsa_float_denorm_mode_32 3
		.amdhsa_float_denorm_mode_16_64 3
		.amdhsa_dx10_clamp 1
		.amdhsa_ieee_mode 1
		.amdhsa_fp16_overflow 0
		.amdhsa_workgroup_processor_mode 1
		.amdhsa_memory_ordered 1
		.amdhsa_forward_progress 1
		.amdhsa_shared_vgpr_count 0
		.amdhsa_exception_fp_ieee_invalid_op 0
		.amdhsa_exception_fp_denorm_src 0
		.amdhsa_exception_fp_ieee_div_zero 0
		.amdhsa_exception_fp_ieee_overflow 0
		.amdhsa_exception_fp_ieee_underflow 0
		.amdhsa_exception_fp_ieee_inexact 0
		.amdhsa_exception_int_div_zero 0
	.end_amdhsa_kernel
	.section	.text._ZN2at6native12_GLOBAL__N_125multi_tensor_apply_kernelINS1_28TensorListScalarListMetadataIaLi1EEENS1_25BinaryOpScalarListFunctorIaLi1ELi1ELi0EEEJSt7dividesIaEEEEvT_T0_DpT1_,"axG",@progbits,_ZN2at6native12_GLOBAL__N_125multi_tensor_apply_kernelINS1_28TensorListScalarListMetadataIaLi1EEENS1_25BinaryOpScalarListFunctorIaLi1ELi1ELi0EEEJSt7dividesIaEEEEvT_T0_DpT1_,comdat
.Lfunc_end49:
	.size	_ZN2at6native12_GLOBAL__N_125multi_tensor_apply_kernelINS1_28TensorListScalarListMetadataIaLi1EEENS1_25BinaryOpScalarListFunctorIaLi1ELi1ELi0EEEJSt7dividesIaEEEEvT_T0_DpT1_, .Lfunc_end49-_ZN2at6native12_GLOBAL__N_125multi_tensor_apply_kernelINS1_28TensorListScalarListMetadataIaLi1EEENS1_25BinaryOpScalarListFunctorIaLi1ELi1ELi0EEEJSt7dividesIaEEEEvT_T0_DpT1_
                                        ; -- End function
	.set _ZN2at6native12_GLOBAL__N_125multi_tensor_apply_kernelINS1_28TensorListScalarListMetadataIaLi1EEENS1_25BinaryOpScalarListFunctorIaLi1ELi1ELi0EEEJSt7dividesIaEEEEvT_T0_DpT1_.num_vgpr, 25
	.set _ZN2at6native12_GLOBAL__N_125multi_tensor_apply_kernelINS1_28TensorListScalarListMetadataIaLi1EEENS1_25BinaryOpScalarListFunctorIaLi1ELi1ELi0EEEJSt7dividesIaEEEEvT_T0_DpT1_.num_agpr, 0
	.set _ZN2at6native12_GLOBAL__N_125multi_tensor_apply_kernelINS1_28TensorListScalarListMetadataIaLi1EEENS1_25BinaryOpScalarListFunctorIaLi1ELi1ELi0EEEJSt7dividesIaEEEEvT_T0_DpT1_.numbered_sgpr, 20
	.set _ZN2at6native12_GLOBAL__N_125multi_tensor_apply_kernelINS1_28TensorListScalarListMetadataIaLi1EEENS1_25BinaryOpScalarListFunctorIaLi1ELi1ELi0EEEJSt7dividesIaEEEEvT_T0_DpT1_.num_named_barrier, 0
	.set _ZN2at6native12_GLOBAL__N_125multi_tensor_apply_kernelINS1_28TensorListScalarListMetadataIaLi1EEENS1_25BinaryOpScalarListFunctorIaLi1ELi1ELi0EEEJSt7dividesIaEEEEvT_T0_DpT1_.private_seg_size, 0
	.set _ZN2at6native12_GLOBAL__N_125multi_tensor_apply_kernelINS1_28TensorListScalarListMetadataIaLi1EEENS1_25BinaryOpScalarListFunctorIaLi1ELi1ELi0EEEJSt7dividesIaEEEEvT_T0_DpT1_.uses_vcc, 1
	.set _ZN2at6native12_GLOBAL__N_125multi_tensor_apply_kernelINS1_28TensorListScalarListMetadataIaLi1EEENS1_25BinaryOpScalarListFunctorIaLi1ELi1ELi0EEEJSt7dividesIaEEEEvT_T0_DpT1_.uses_flat_scratch, 0
	.set _ZN2at6native12_GLOBAL__N_125multi_tensor_apply_kernelINS1_28TensorListScalarListMetadataIaLi1EEENS1_25BinaryOpScalarListFunctorIaLi1ELi1ELi0EEEJSt7dividesIaEEEEvT_T0_DpT1_.has_dyn_sized_stack, 0
	.set _ZN2at6native12_GLOBAL__N_125multi_tensor_apply_kernelINS1_28TensorListScalarListMetadataIaLi1EEENS1_25BinaryOpScalarListFunctorIaLi1ELi1ELi0EEEJSt7dividesIaEEEEvT_T0_DpT1_.has_recursion, 0
	.set _ZN2at6native12_GLOBAL__N_125multi_tensor_apply_kernelINS1_28TensorListScalarListMetadataIaLi1EEENS1_25BinaryOpScalarListFunctorIaLi1ELi1ELi0EEEJSt7dividesIaEEEEvT_T0_DpT1_.has_indirect_call, 0
	.section	.AMDGPU.csdata,"",@progbits
; Kernel info:
; codeLenInByte = 1664
; TotalNumSgprs: 22
; NumVgprs: 25
; ScratchSize: 0
; MemoryBound: 0
; FloatMode: 240
; IeeeMode: 1
; LDSByteSize: 0 bytes/workgroup (compile time only)
; SGPRBlocks: 0
; VGPRBlocks: 3
; NumSGPRsForWavesPerEU: 22
; NumVGPRsForWavesPerEU: 25
; Occupancy: 16
; WaveLimiterHint : 0
; COMPUTE_PGM_RSRC2:SCRATCH_EN: 0
; COMPUTE_PGM_RSRC2:USER_SGPR: 6
; COMPUTE_PGM_RSRC2:TRAP_HANDLER: 0
; COMPUTE_PGM_RSRC2:TGID_X_EN: 1
; COMPUTE_PGM_RSRC2:TGID_Y_EN: 0
; COMPUTE_PGM_RSRC2:TGID_Z_EN: 0
; COMPUTE_PGM_RSRC2:TIDIG_COMP_CNT: 0
	.section	.text._ZN2at6native12_GLOBAL__N_125multi_tensor_apply_kernelINS1_28TensorListScalarListMetadataIiLi1EEENS1_25BinaryOpScalarListFunctorIiLi1ELi1ELi0EEEJSt7dividesIiEEEEvT_T0_DpT1_,"axG",@progbits,_ZN2at6native12_GLOBAL__N_125multi_tensor_apply_kernelINS1_28TensorListScalarListMetadataIiLi1EEENS1_25BinaryOpScalarListFunctorIiLi1ELi1ELi0EEEJSt7dividesIiEEEEvT_T0_DpT1_,comdat
	.globl	_ZN2at6native12_GLOBAL__N_125multi_tensor_apply_kernelINS1_28TensorListScalarListMetadataIiLi1EEENS1_25BinaryOpScalarListFunctorIiLi1ELi1ELi0EEEJSt7dividesIiEEEEvT_T0_DpT1_ ; -- Begin function _ZN2at6native12_GLOBAL__N_125multi_tensor_apply_kernelINS1_28TensorListScalarListMetadataIiLi1EEENS1_25BinaryOpScalarListFunctorIiLi1ELi1ELi0EEEJSt7dividesIiEEEEvT_T0_DpT1_
	.p2align	8
	.type	_ZN2at6native12_GLOBAL__N_125multi_tensor_apply_kernelINS1_28TensorListScalarListMetadataIiLi1EEENS1_25BinaryOpScalarListFunctorIiLi1ELi1ELi0EEEJSt7dividesIiEEEEvT_T0_DpT1_,@function
_ZN2at6native12_GLOBAL__N_125multi_tensor_apply_kernelINS1_28TensorListScalarListMetadataIiLi1EEENS1_25BinaryOpScalarListFunctorIiLi1ELi1ELi0EEEJSt7dividesIiEEEEvT_T0_DpT1_: ; @_ZN2at6native12_GLOBAL__N_125multi_tensor_apply_kernelINS1_28TensorListScalarListMetadataIiLi1EEENS1_25BinaryOpScalarListFunctorIiLi1ELi1ELi0EEEJSt7dividesIiEEEEvT_T0_DpT1_
; %bb.0:
	v_mov_b32_e32 v1, s6
	s_add_u32 s0, s4, s6
	s_mul_i32 s2, s6, 3
	s_addc_u32 s1, s5, 0
	s_mul_hi_u32 s3, s6, 3
	global_load_ubyte v1, v1, s[4:5] offset:1920
	s_add_u32 s0, s0, s2
	s_addc_u32 s1, s1, s3
	s_load_dword s0, s[0:1], 0x8c0
	s_waitcnt lgkmcnt(0)
	s_ashr_i32 s1, s0, 31
	s_waitcnt vmcnt(0)
	v_readfirstlane_b32 s10, v1
	s_lshl_b32 s8, s10, 3
	s_clause 0x1
	s_load_dwordx2 s[6:7], s[4:5], s8 offset:0x0
	s_load_dwordx2 s[2:3], s[4:5], s8 offset:0x300
	s_add_u32 s11, s4, s8
	s_addc_u32 s13, s5, 0
	s_lshl_b32 s10, s10, 2
	s_lshl_b64 s[8:9], s[0:1], 18
	s_waitcnt lgkmcnt(0)
	s_and_b32 s12, s6, 15
	s_sub_u32 s10, 0, s10
	s_subb_u32 s14, 0, 0
	s_add_u32 s10, s11, s10
	s_addc_u32 s11, s13, s14
	s_lshl_b64 s[0:1], s[0:1], 16
	s_load_dword s18, s[10:11], 0x600
	s_mov_b32 s13, 0
	s_sub_u32 s10, s2, s0
	s_subb_u32 s11, s3, s1
	s_and_b32 s0, s2, 3
	s_mov_b32 s1, s13
	s_or_b64 s[0:1], s[12:13], s[0:1]
	s_cmp_eq_u64 s[0:1], 0
	s_cbranch_scc1 .LBB50_21
; %bb.1:
	v_cmp_lt_i64_e64 s0, s[10:11], 1
	s_and_b32 vcc_lo, exec_lo, s0
	s_cbranch_vccnz .LBB50_20
; %bb.2:
	s_load_dword s0, s[4:5], 0xdd4
	v_cmp_gt_i64_e64 s1, 0x10000, s[10:11]
	v_cmp_gt_u64_e64 s2, 0x10000, s[10:11]
	v_lshlrev_b32_e32 v2, 2, v0
	s_and_b32 s1, s1, exec_lo
	s_cselect_b32 s13, s11, 0
	s_cselect_b32 s12, s10, 0x10000
	s_waitcnt lgkmcnt(0)
	s_and_b32 s0, s0, 0xffff
	s_and_b32 s1, s2, exec_lo
	s_cselect_b32 s15, s11, 0
	s_cselect_b32 s14, s10, 0x10000
	s_abs_i32 s19, s18
	v_add_co_u32 v5, s16, v0, s0
	v_cvt_f32_u32_e32 v1, s19
	s_sub_i32 s3, 0, s19
	s_lshl_b32 s1, s0, 1
	v_lshlrev_b32_e32 v12, 2, v5
	s_mul_i32 s2, s0, 3
	v_rcp_iflag_f32_e32 v1, v1
	v_add_co_u32 v9, s1, s1, v0
	s_lshl_b32 s20, s0, 2
	s_ashr_i32 s21, s18, 31
	v_add_co_u32 v7, s2, s2, v0
	v_add_co_ci_u32_e64 v10, null, 0, 0, s1
	s_add_u32 s1, s6, s8
	v_mul_f32_e32 v1, 0x4f7ffffe, v1
	v_add_co_ci_u32_e64 v8, null, 0, 0, s2
	s_addc_u32 s2, s7, s9
	v_add_co_ci_u32_e64 v6, null, 0, 0, s16
	v_cvt_u32_f32_e32 v3, v1
	s_lshl_b32 s22, s0, 4
	s_mul_i32 s23, s0, 12
	s_lshl_b32 s24, s0, 3
	s_mov_b64 s[16:17], 0
	v_mul_lo_u32 v1, s3, v3
	v_mul_hi_u32 v4, v3, v1
	v_add_co_u32 v1, s3, s1, v2
	v_add_co_ci_u32_e64 v2, null, s2, 0, s3
	v_add_nc_u32_e32 v11, v3, v4
	v_add_co_u32 v3, s1, s1, v12
	v_add_co_ci_u32_e64 v4, null, s2, 0, s1
	s_branch .LBB50_4
.LBB50_3:                               ;   in Loop: Header=BB50_4 Depth=1
	s_or_b32 exec_lo, exec_lo, s0
	s_add_u32 s16, s16, s20
	s_addc_u32 s17, s17, 0
	v_add_co_u32 v1, vcc_lo, v1, s22
	v_cmp_lt_i64_e64 s0, s[16:17], s[12:13]
	v_add_co_ci_u32_e64 v2, null, 0, v2, vcc_lo
	v_add_co_u32 v3, vcc_lo, v3, s22
	v_add_co_ci_u32_e64 v4, null, 0, v4, vcc_lo
	s_and_b32 vcc_lo, exec_lo, s0
	s_cbranch_vccz .LBB50_20
.LBB50_4:                               ; =>This Inner Loop Header: Depth=1
	s_waitcnt vmcnt(0)
	v_add_co_u32 v12, s0, v0, s16
	v_add_co_ci_u32_e64 v13, null, 0, s17, s0
	v_mov_b32_e32 v15, 0
	v_cmp_gt_u64_e64 s2, s[14:15], v[12:13]
	s_and_saveexec_b32 s0, s2
	s_cbranch_execz .LBB50_6
; %bb.5:                                ;   in Loop: Header=BB50_4 Depth=1
	global_load_dword v15, v[1:2], off
.LBB50_6:                               ;   in Loop: Header=BB50_4 Depth=1
	s_or_b32 exec_lo, exec_lo, s0
	v_add_co_u32 v12, vcc_lo, v5, s16
	v_add_co_ci_u32_e64 v13, null, s17, v6, vcc_lo
	v_mov_b32_e32 v14, 0
	v_cmp_gt_u64_e64 s1, s[14:15], v[12:13]
	v_mov_b32_e32 v12, 0
	s_and_saveexec_b32 s0, s1
	s_cbranch_execz .LBB50_8
; %bb.7:                                ;   in Loop: Header=BB50_4 Depth=1
	global_load_dword v14, v[3:4], off
.LBB50_8:                               ;   in Loop: Header=BB50_4 Depth=1
	s_or_b32 exec_lo, exec_lo, s0
	v_add_co_u32 v16, vcc_lo, v9, s16
	v_add_co_ci_u32_e64 v17, null, s17, v10, vcc_lo
	v_cmp_gt_u64_e64 s0, s[14:15], v[16:17]
	s_and_saveexec_b32 s3, s0
	s_cbranch_execz .LBB50_10
; %bb.9:                                ;   in Loop: Header=BB50_4 Depth=1
	v_add_co_u32 v12, vcc_lo, v1, s24
	v_add_co_ci_u32_e64 v13, null, 0, v2, vcc_lo
	global_load_dword v12, v[12:13], off
.LBB50_10:                              ;   in Loop: Header=BB50_4 Depth=1
	s_or_b32 exec_lo, exec_lo, s3
	v_add_co_u32 v16, vcc_lo, v7, s16
	v_add_co_ci_u32_e64 v17, null, s17, v8, vcc_lo
	v_mov_b32_e32 v13, 0
	v_cmp_gt_u64_e32 vcc_lo, s[14:15], v[16:17]
	s_and_saveexec_b32 s25, vcc_lo
	s_cbranch_execnz .LBB50_15
; %bb.11:                               ;   in Loop: Header=BB50_4 Depth=1
	s_or_b32 exec_lo, exec_lo, s25
	s_and_saveexec_b32 s3, s2
	s_cbranch_execnz .LBB50_16
.LBB50_12:                              ;   in Loop: Header=BB50_4 Depth=1
	s_or_b32 exec_lo, exec_lo, s3
	s_and_saveexec_b32 s2, s1
	s_cbranch_execnz .LBB50_17
.LBB50_13:                              ;   in Loop: Header=BB50_4 Depth=1
	s_or_b32 exec_lo, exec_lo, s2
	s_and_saveexec_b32 s1, s0
	s_cbranch_execnz .LBB50_18
.LBB50_14:                              ;   in Loop: Header=BB50_4 Depth=1
	s_or_b32 exec_lo, exec_lo, s1
	s_and_saveexec_b32 s0, vcc_lo
	s_cbranch_execz .LBB50_3
	s_branch .LBB50_19
.LBB50_15:                              ;   in Loop: Header=BB50_4 Depth=1
	v_add_co_u32 v16, s3, v1, s23
	v_add_co_ci_u32_e64 v17, null, 0, v2, s3
	global_load_dword v13, v[16:17], off
	s_or_b32 exec_lo, exec_lo, s25
	s_and_saveexec_b32 s3, s2
	s_cbranch_execz .LBB50_12
.LBB50_16:                              ;   in Loop: Header=BB50_4 Depth=1
	s_waitcnt vmcnt(0)
	v_sub_nc_u32_e32 v16, 0, v15
	v_max_i32_e32 v16, v15, v16
	v_ashrrev_i32_e32 v15, 31, v15
	v_mul_hi_u32 v17, v16, v11
	v_xor_b32_e32 v15, s21, v15
	v_mul_lo_u32 v18, v17, s19
	v_sub_nc_u32_e32 v16, v16, v18
	v_add_nc_u32_e32 v18, 1, v17
	v_subrev_nc_u32_e32 v19, s19, v16
	v_cmp_le_u32_e64 s2, s19, v16
	v_cndmask_b32_e64 v17, v17, v18, s2
	v_cndmask_b32_e64 v16, v16, v19, s2
	v_add_nc_u32_e32 v18, 1, v17
	v_cmp_le_u32_e64 s2, s19, v16
	v_cndmask_b32_e64 v16, v17, v18, s2
	v_xor_b32_e32 v16, v16, v15
	v_sub_nc_u32_e32 v15, v16, v15
	global_store_dword v[1:2], v15, off
	s_or_b32 exec_lo, exec_lo, s3
	s_and_saveexec_b32 s2, s1
	s_cbranch_execz .LBB50_13
.LBB50_17:                              ;   in Loop: Header=BB50_4 Depth=1
	s_waitcnt vmcnt(0)
	v_sub_nc_u32_e32 v15, 0, v14
	v_max_i32_e32 v15, v14, v15
	v_ashrrev_i32_e32 v14, 31, v14
	v_mul_hi_u32 v16, v15, v11
	v_xor_b32_e32 v14, s21, v14
	v_mul_lo_u32 v17, v16, s19
	v_sub_nc_u32_e32 v15, v15, v17
	v_add_nc_u32_e32 v17, 1, v16
	v_subrev_nc_u32_e32 v18, s19, v15
	v_cmp_le_u32_e64 s1, s19, v15
	v_cndmask_b32_e64 v16, v16, v17, s1
	v_cndmask_b32_e64 v15, v15, v18, s1
	v_add_nc_u32_e32 v17, 1, v16
	v_cmp_le_u32_e64 s1, s19, v15
	v_cndmask_b32_e64 v15, v16, v17, s1
	v_xor_b32_e32 v15, v15, v14
	v_sub_nc_u32_e32 v14, v15, v14
	global_store_dword v[3:4], v14, off
	s_or_b32 exec_lo, exec_lo, s2
	s_and_saveexec_b32 s1, s0
	s_cbranch_execz .LBB50_14
.LBB50_18:                              ;   in Loop: Header=BB50_4 Depth=1
	s_waitcnt vmcnt(0)
	v_sub_nc_u32_e32 v14, 0, v12
	v_max_i32_e32 v14, v12, v14
	v_ashrrev_i32_e32 v12, 31, v12
	v_mul_hi_u32 v15, v14, v11
	v_xor_b32_e32 v12, s21, v12
	v_mul_lo_u32 v16, v15, s19
	v_sub_nc_u32_e32 v14, v14, v16
	v_add_nc_u32_e32 v16, 1, v15
	v_subrev_nc_u32_e32 v17, s19, v14
	v_cmp_le_u32_e64 s0, s19, v14
	v_cndmask_b32_e64 v15, v15, v16, s0
	v_cndmask_b32_e64 v14, v14, v17, s0
	v_add_nc_u32_e32 v16, 1, v15
	v_cmp_le_u32_e64 s0, s19, v14
	v_cndmask_b32_e64 v14, v15, v16, s0
	v_xor_b32_e32 v14, v14, v12
	v_sub_nc_u32_e32 v12, v14, v12
	v_add_co_u32 v14, s0, v1, s24
	v_add_co_ci_u32_e64 v15, null, 0, v2, s0
	global_store_dword v[14:15], v12, off
	s_or_b32 exec_lo, exec_lo, s1
	s_and_saveexec_b32 s0, vcc_lo
	s_cbranch_execz .LBB50_3
.LBB50_19:                              ;   in Loop: Header=BB50_4 Depth=1
	s_waitcnt vmcnt(0)
	v_sub_nc_u32_e32 v12, 0, v13
	v_max_i32_e32 v12, v13, v12
	v_ashrrev_i32_e32 v13, 31, v13
	v_mul_hi_u32 v14, v12, v11
	v_xor_b32_e32 v13, s21, v13
	v_mul_lo_u32 v15, v14, s19
	v_sub_nc_u32_e32 v12, v12, v15
	v_add_nc_u32_e32 v15, 1, v14
	v_subrev_nc_u32_e32 v16, s19, v12
	v_cmp_le_u32_e32 vcc_lo, s19, v12
	v_cndmask_b32_e32 v14, v14, v15, vcc_lo
	v_cndmask_b32_e32 v12, v12, v16, vcc_lo
	v_add_nc_u32_e32 v15, 1, v14
	v_cmp_le_u32_e32 vcc_lo, s19, v12
	v_cndmask_b32_e32 v12, v14, v15, vcc_lo
	v_xor_b32_e32 v12, v12, v13
	v_sub_nc_u32_e32 v14, v12, v13
	v_add_co_u32 v12, vcc_lo, v1, s23
	v_add_co_ci_u32_e64 v13, null, 0, v2, vcc_lo
	global_store_dword v[12:13], v14, off
	s_branch .LBB50_3
.LBB50_20:
	s_cbranch_execz .LBB50_22
	s_branch .LBB50_25
.LBB50_21:
.LBB50_22:
	v_cmp_gt_i64_e64 s0, 0x10000, s[10:11]
	v_mov_b32_e32 v2, 0
	v_lshlrev_b32_e32 v1, 2, v0
	s_mov_b32 s3, 0
	s_and_b32 s0, s0, exec_lo
	s_cselect_b32 s11, s11, 0
	s_cselect_b32 s10, s10, 0x10000
	s_mov_b32 s0, exec_lo
	v_cmpx_gt_i64_e64 s[10:11], v[1:2]
	s_cbranch_execz .LBB50_25
; %bb.23:
	s_waitcnt lgkmcnt(0)
	s_abs_i32 s12, s18
	s_load_dword s0, s[4:5], 0xdd4
	v_cvt_f32_u32_e32 v1, s12
	s_sub_i32 s1, 0, s12
	s_ashr_i32 s4, s18, 31
	v_rcp_iflag_f32_e32 v1, v1
	v_mul_f32_e32 v1, 0x4f7ffffe, v1
	s_waitcnt lgkmcnt(0)
	s_and_b32 s5, s0, 0xffff
	v_cvt_u32_f32_e32 v3, v1
	v_mov_b32_e32 v1, v2
	v_lshlrev_b32_e32 v2, 4, v0
	s_add_u32 s0, s6, s8
	v_mul_lo_u32 v4, s1, v3
	s_addc_u32 s1, s7, s9
	v_add_co_u32 v2, s0, s0, v2
	v_add_co_ci_u32_e64 v5, null, s1, 0, s0
	s_lshl_b32 s6, s5, 4
	v_add_co_u32 v2, vcc_lo, v2, 8
	v_mul_hi_u32 v4, v3, v4
	v_add_nc_u32_e32 v4, v3, v4
	v_add_co_ci_u32_e64 v3, null, 0, v5, vcc_lo
.LBB50_24:                              ; =>This Inner Loop Header: Depth=1
	global_load_dwordx4 v[5:8], v[2:3], off offset:-8
	s_waitcnt vmcnt(0)
	v_sub_nc_u32_e32 v10, 0, v5
	v_ashrrev_i32_e32 v9, 31, v5
	v_sub_nc_u32_e32 v13, 0, v7
	v_sub_nc_u32_e32 v12, 0, v6
	v_sub_nc_u32_e32 v14, 0, v8
	v_max_i32_e32 v5, v5, v10
	v_ashrrev_i32_e32 v10, 31, v7
	v_max_i32_e32 v7, v7, v13
	v_ashrrev_i32_e32 v11, 31, v6
	v_max_i32_e32 v6, v6, v12
	v_mul_hi_u32 v13, v5, v4
	v_max_i32_e32 v12, v8, v14
	v_xor_b32_e32 v17, s4, v9
	v_mul_hi_u32 v15, v7, v4
	v_mul_hi_u32 v14, v6, v4
	v_xor_b32_e32 v18, s4, v10
	v_mul_hi_u32 v16, v12, v4
	v_ashrrev_i32_e32 v8, 31, v8
	v_mul_lo_u32 v9, v13, s12
	v_add_nc_u32_e32 v21, 1, v13
	v_xor_b32_e32 v11, s4, v11
	v_mul_lo_u32 v19, v15, s12
	v_mul_lo_u32 v10, v14, s12
	v_add_nc_u32_e32 v22, 1, v14
	v_mul_lo_u32 v20, v16, s12
	v_add_nc_u32_e32 v23, 1, v15
	v_sub_nc_u32_e32 v5, v5, v9
	v_add_nc_u32_e32 v9, 1, v16
	v_xor_b32_e32 v8, s4, v8
	v_sub_nc_u32_e32 v7, v7, v19
	v_sub_nc_u32_e32 v6, v6, v10
	v_cmp_le_u32_e32 vcc_lo, s12, v5
	v_sub_nc_u32_e32 v10, v12, v20
	v_cmp_le_u32_e64 s1, s12, v7
	v_cmp_le_u32_e64 s0, s12, v6
	v_cndmask_b32_e32 v12, v13, v21, vcc_lo
	v_subrev_nc_u32_e32 v13, s12, v5
	v_subrev_nc_u32_e32 v19, s12, v6
	;; [unrolled: 1-line block ×3, first 2 shown]
	v_cndmask_b32_e64 v14, v14, v22, s0
	v_cmp_le_u32_e64 s2, s12, v10
	v_cndmask_b32_e32 v5, v5, v13, vcc_lo
	v_add_nc_u32_e32 v13, 1, v12
	v_cndmask_b32_e64 v6, v6, v19, s0
	v_cndmask_b32_e64 v15, v15, v23, s1
	v_cndmask_b32_e64 v9, v16, v9, s2
	v_cmp_le_u32_e32 vcc_lo, s12, v5
	v_subrev_nc_u32_e32 v16, s12, v10
	v_add_nc_u32_e32 v19, 1, v14
	v_cndmask_b32_e64 v7, v7, v20, s1
	v_add_nc_u32_e32 v20, 1, v15
	v_cndmask_b32_e32 v5, v12, v13, vcc_lo
	v_cmp_le_u32_e32 vcc_lo, s12, v6
	v_cndmask_b32_e64 v10, v10, v16, s2
	v_add_nc_u32_e32 v16, 1, v9
	v_xor_b32_e32 v5, v5, v17
	v_cndmask_b32_e32 v6, v14, v19, vcc_lo
	v_cmp_le_u32_e32 vcc_lo, s12, v7
	v_sub_nc_u32_e32 v5, v5, v17
	v_xor_b32_e32 v6, v6, v11
	v_cndmask_b32_e32 v7, v15, v20, vcc_lo
	v_cmp_le_u32_e32 vcc_lo, s12, v10
	v_sub_nc_u32_e32 v6, v6, v11
	v_xor_b32_e32 v7, v7, v18
	v_cndmask_b32_e32 v9, v9, v16, vcc_lo
	v_add_co_u32 v0, vcc_lo, v0, s5
	v_add_co_ci_u32_e64 v1, null, 0, v1, vcc_lo
	v_xor_b32_e32 v12, v9, v8
	v_sub_nc_u32_e32 v7, v7, v18
	v_lshlrev_b64 v[9:10], 2, v[0:1]
	v_sub_nc_u32_e32 v8, v12, v8
	v_cmp_le_i64_e32 vcc_lo, s[10:11], v[9:10]
	global_store_dwordx4 v[2:3], v[5:8], off offset:-8
	v_add_co_u32 v2, s0, v2, s6
	v_add_co_ci_u32_e64 v3, null, 0, v3, s0
	s_or_b32 s3, vcc_lo, s3
	s_andn2_b32 exec_lo, exec_lo, s3
	s_cbranch_execnz .LBB50_24
.LBB50_25:
	s_endpgm
	.section	.rodata,"a",@progbits
	.p2align	6, 0x0
	.amdhsa_kernel _ZN2at6native12_GLOBAL__N_125multi_tensor_apply_kernelINS1_28TensorListScalarListMetadataIiLi1EEENS1_25BinaryOpScalarListFunctorIiLi1ELi1ELi0EEEJSt7dividesIiEEEEvT_T0_DpT1_
		.amdhsa_group_segment_fixed_size 0
		.amdhsa_private_segment_fixed_size 0
		.amdhsa_kernarg_size 3784
		.amdhsa_user_sgpr_count 6
		.amdhsa_user_sgpr_private_segment_buffer 1
		.amdhsa_user_sgpr_dispatch_ptr 0
		.amdhsa_user_sgpr_queue_ptr 0
		.amdhsa_user_sgpr_kernarg_segment_ptr 1
		.amdhsa_user_sgpr_dispatch_id 0
		.amdhsa_user_sgpr_flat_scratch_init 0
		.amdhsa_user_sgpr_private_segment_size 0
		.amdhsa_wavefront_size32 1
		.amdhsa_uses_dynamic_stack 0
		.amdhsa_system_sgpr_private_segment_wavefront_offset 0
		.amdhsa_system_sgpr_workgroup_id_x 1
		.amdhsa_system_sgpr_workgroup_id_y 0
		.amdhsa_system_sgpr_workgroup_id_z 0
		.amdhsa_system_sgpr_workgroup_info 0
		.amdhsa_system_vgpr_workitem_id 0
		.amdhsa_next_free_vgpr 24
		.amdhsa_next_free_sgpr 26
		.amdhsa_reserve_vcc 1
		.amdhsa_reserve_flat_scratch 0
		.amdhsa_float_round_mode_32 0
		.amdhsa_float_round_mode_16_64 0
		.amdhsa_float_denorm_mode_32 3
		.amdhsa_float_denorm_mode_16_64 3
		.amdhsa_dx10_clamp 1
		.amdhsa_ieee_mode 1
		.amdhsa_fp16_overflow 0
		.amdhsa_workgroup_processor_mode 1
		.amdhsa_memory_ordered 1
		.amdhsa_forward_progress 1
		.amdhsa_shared_vgpr_count 0
		.amdhsa_exception_fp_ieee_invalid_op 0
		.amdhsa_exception_fp_denorm_src 0
		.amdhsa_exception_fp_ieee_div_zero 0
		.amdhsa_exception_fp_ieee_overflow 0
		.amdhsa_exception_fp_ieee_underflow 0
		.amdhsa_exception_fp_ieee_inexact 0
		.amdhsa_exception_int_div_zero 0
	.end_amdhsa_kernel
	.section	.text._ZN2at6native12_GLOBAL__N_125multi_tensor_apply_kernelINS1_28TensorListScalarListMetadataIiLi1EEENS1_25BinaryOpScalarListFunctorIiLi1ELi1ELi0EEEJSt7dividesIiEEEEvT_T0_DpT1_,"axG",@progbits,_ZN2at6native12_GLOBAL__N_125multi_tensor_apply_kernelINS1_28TensorListScalarListMetadataIiLi1EEENS1_25BinaryOpScalarListFunctorIiLi1ELi1ELi0EEEJSt7dividesIiEEEEvT_T0_DpT1_,comdat
.Lfunc_end50:
	.size	_ZN2at6native12_GLOBAL__N_125multi_tensor_apply_kernelINS1_28TensorListScalarListMetadataIiLi1EEENS1_25BinaryOpScalarListFunctorIiLi1ELi1ELi0EEEJSt7dividesIiEEEEvT_T0_DpT1_, .Lfunc_end50-_ZN2at6native12_GLOBAL__N_125multi_tensor_apply_kernelINS1_28TensorListScalarListMetadataIiLi1EEENS1_25BinaryOpScalarListFunctorIiLi1ELi1ELi0EEEJSt7dividesIiEEEEvT_T0_DpT1_
                                        ; -- End function
	.set _ZN2at6native12_GLOBAL__N_125multi_tensor_apply_kernelINS1_28TensorListScalarListMetadataIiLi1EEENS1_25BinaryOpScalarListFunctorIiLi1ELi1ELi0EEEJSt7dividesIiEEEEvT_T0_DpT1_.num_vgpr, 24
	.set _ZN2at6native12_GLOBAL__N_125multi_tensor_apply_kernelINS1_28TensorListScalarListMetadataIiLi1EEENS1_25BinaryOpScalarListFunctorIiLi1ELi1ELi0EEEJSt7dividesIiEEEEvT_T0_DpT1_.num_agpr, 0
	.set _ZN2at6native12_GLOBAL__N_125multi_tensor_apply_kernelINS1_28TensorListScalarListMetadataIiLi1EEENS1_25BinaryOpScalarListFunctorIiLi1ELi1ELi0EEEJSt7dividesIiEEEEvT_T0_DpT1_.numbered_sgpr, 26
	.set _ZN2at6native12_GLOBAL__N_125multi_tensor_apply_kernelINS1_28TensorListScalarListMetadataIiLi1EEENS1_25BinaryOpScalarListFunctorIiLi1ELi1ELi0EEEJSt7dividesIiEEEEvT_T0_DpT1_.num_named_barrier, 0
	.set _ZN2at6native12_GLOBAL__N_125multi_tensor_apply_kernelINS1_28TensorListScalarListMetadataIiLi1EEENS1_25BinaryOpScalarListFunctorIiLi1ELi1ELi0EEEJSt7dividesIiEEEEvT_T0_DpT1_.private_seg_size, 0
	.set _ZN2at6native12_GLOBAL__N_125multi_tensor_apply_kernelINS1_28TensorListScalarListMetadataIiLi1EEENS1_25BinaryOpScalarListFunctorIiLi1ELi1ELi0EEEJSt7dividesIiEEEEvT_T0_DpT1_.uses_vcc, 1
	.set _ZN2at6native12_GLOBAL__N_125multi_tensor_apply_kernelINS1_28TensorListScalarListMetadataIiLi1EEENS1_25BinaryOpScalarListFunctorIiLi1ELi1ELi0EEEJSt7dividesIiEEEEvT_T0_DpT1_.uses_flat_scratch, 0
	.set _ZN2at6native12_GLOBAL__N_125multi_tensor_apply_kernelINS1_28TensorListScalarListMetadataIiLi1EEENS1_25BinaryOpScalarListFunctorIiLi1ELi1ELi0EEEJSt7dividesIiEEEEvT_T0_DpT1_.has_dyn_sized_stack, 0
	.set _ZN2at6native12_GLOBAL__N_125multi_tensor_apply_kernelINS1_28TensorListScalarListMetadataIiLi1EEENS1_25BinaryOpScalarListFunctorIiLi1ELi1ELi0EEEJSt7dividesIiEEEEvT_T0_DpT1_.has_recursion, 0
	.set _ZN2at6native12_GLOBAL__N_125multi_tensor_apply_kernelINS1_28TensorListScalarListMetadataIiLi1EEENS1_25BinaryOpScalarListFunctorIiLi1ELi1ELi0EEEJSt7dividesIiEEEEvT_T0_DpT1_.has_indirect_call, 0
	.section	.AMDGPU.csdata,"",@progbits
; Kernel info:
; codeLenInByte = 1880
; TotalNumSgprs: 28
; NumVgprs: 24
; ScratchSize: 0
; MemoryBound: 0
; FloatMode: 240
; IeeeMode: 1
; LDSByteSize: 0 bytes/workgroup (compile time only)
; SGPRBlocks: 0
; VGPRBlocks: 2
; NumSGPRsForWavesPerEU: 28
; NumVGPRsForWavesPerEU: 24
; Occupancy: 16
; WaveLimiterHint : 0
; COMPUTE_PGM_RSRC2:SCRATCH_EN: 0
; COMPUTE_PGM_RSRC2:USER_SGPR: 6
; COMPUTE_PGM_RSRC2:TRAP_HANDLER: 0
; COMPUTE_PGM_RSRC2:TGID_X_EN: 1
; COMPUTE_PGM_RSRC2:TGID_Y_EN: 0
; COMPUTE_PGM_RSRC2:TGID_Z_EN: 0
; COMPUTE_PGM_RSRC2:TIDIG_COMP_CNT: 0
	.section	.text._ZN2at6native12_GLOBAL__N_125multi_tensor_apply_kernelINS1_28TensorListScalarListMetadataIlLi1EEENS1_25BinaryOpScalarListFunctorIlLi1ELi1ELi0EEEJSt7dividesIlEEEEvT_T0_DpT1_,"axG",@progbits,_ZN2at6native12_GLOBAL__N_125multi_tensor_apply_kernelINS1_28TensorListScalarListMetadataIlLi1EEENS1_25BinaryOpScalarListFunctorIlLi1ELi1ELi0EEEJSt7dividesIlEEEEvT_T0_DpT1_,comdat
	.globl	_ZN2at6native12_GLOBAL__N_125multi_tensor_apply_kernelINS1_28TensorListScalarListMetadataIlLi1EEENS1_25BinaryOpScalarListFunctorIlLi1ELi1ELi0EEEJSt7dividesIlEEEEvT_T0_DpT1_ ; -- Begin function _ZN2at6native12_GLOBAL__N_125multi_tensor_apply_kernelINS1_28TensorListScalarListMetadataIlLi1EEENS1_25BinaryOpScalarListFunctorIlLi1ELi1ELi0EEEJSt7dividesIlEEEEvT_T0_DpT1_
	.p2align	8
	.type	_ZN2at6native12_GLOBAL__N_125multi_tensor_apply_kernelINS1_28TensorListScalarListMetadataIlLi1EEENS1_25BinaryOpScalarListFunctorIlLi1ELi1ELi0EEEJSt7dividesIlEEEEvT_T0_DpT1_,@function
_ZN2at6native12_GLOBAL__N_125multi_tensor_apply_kernelINS1_28TensorListScalarListMetadataIlLi1EEENS1_25BinaryOpScalarListFunctorIlLi1ELi1ELi0EEEJSt7dividesIlEEEEvT_T0_DpT1_: ; @_ZN2at6native12_GLOBAL__N_125multi_tensor_apply_kernelINS1_28TensorListScalarListMetadataIlLi1EEENS1_25BinaryOpScalarListFunctorIlLi1ELi1ELi0EEEJSt7dividesIlEEEEvT_T0_DpT1_
; %bb.0:
	v_mov_b32_e32 v1, 0x800
	s_add_u32 s0, s4, s6
	s_addc_u32 s1, s5, 0
	s_mov_b32 s7, 0
	global_load_ubyte v1, v1, s[0:1] offset:256
	s_lshl_b64 s[0:1], s[6:7], 2
	s_add_u32 s0, s4, s0
	s_addc_u32 s1, s5, s1
	s_load_dword s0, s[0:1], 0xa40
	s_waitcnt vmcnt(0)
	v_readfirstlane_b32 s2, v1
	s_lshl_b32 s1, s2, 3
	s_clause 0x2
	s_load_dwordx2 s[8:9], s[4:5], s1 offset:0x600
	s_load_dwordx2 s[10:11], s[4:5], s1 offset:0x0
	;; [unrolled: 1-line block ×3, first 2 shown]
	s_waitcnt lgkmcnt(0)
	s_ashr_i32 s1, s0, 31
	s_lshl_b64 s[12:13], s[0:1], 19
	s_lshl_b64 s[0:1], s[0:1], 16
	s_and_b32 s6, s10, 31
	s_sub_u32 s14, s2, s0
	s_subb_u32 s15, s3, s1
	s_and_b32 s0, s2, 3
	s_mov_b32 s1, s7
	s_or_b64 s[0:1], s[6:7], s[0:1]
	s_cmp_eq_u64 s[0:1], 0
	s_cbranch_scc1 .LBB51_37
; %bb.1:
	v_cmp_lt_i64_e64 s0, s[14:15], 1
	s_and_b32 vcc_lo, exec_lo, s0
	s_cbranch_vccnz .LBB51_36
; %bb.2:
	s_load_dword s0, s[4:5], 0xf54
	v_cmp_gt_i64_e64 s1, 0x10000, s[14:15]
	v_cmp_gt_u64_e64 s2, 0x10000, s[14:15]
	v_lshlrev_b32_e32 v2, 3, v0
	v_mov_b32_e32 v1, 0
	s_and_b32 s1, s1, exec_lo
	s_cselect_b32 s17, s15, 0
	s_cselect_b32 s16, s14, 0x10000
	s_waitcnt lgkmcnt(0)
	s_and_b32 s0, s0, 0xffff
	s_and_b32 s1, s2, exec_lo
	v_add_co_u32 v17, s3, v0, s0
	s_cselect_b32 s19, s15, 0
	s_cselect_b32 s18, s14, 0x10000
	s_lshl_b32 s1, s0, 1
	s_lshl_b32 s26, s0, 2
	s_add_u32 s6, s10, s12
	s_mul_i32 s2, s0, 3
	v_add_co_u32 v3, s20, s6, v2
	v_lshlrev_b32_e32 v2, 3, v17
	s_mul_i32 s27, s0, 24
	s_addc_u32 s7, s11, s13
	s_lshl_b32 s28, s0, 5
	s_lshl_b32 s29, s0, 4
	v_add_co_u32 v21, s0, s1, v0
	v_add_co_u32 v18, s2, s2, v0
	v_add_co_ci_u32_e64 v22, null, 0, 0, s0
	v_add_co_u32 v5, s0, s6, v2
	v_add_co_ci_u32_e64 v4, null, s7, 0, s20
	v_add_co_ci_u32_e64 v19, null, 0, 0, s2
	;; [unrolled: 1-line block ×4, first 2 shown]
	s_mov_b64 s[20:21], 0
	s_ashr_i32 s22, s9, 31
	s_sub_i32 s30, 0, s8
	s_branch .LBB51_4
.LBB51_3:                               ;   in Loop: Header=BB51_4 Depth=1
	s_or_b32 exec_lo, exec_lo, s0
	s_add_u32 s20, s20, s26
	s_addc_u32 s21, s21, 0
	v_add_co_u32 v3, vcc_lo, v3, s28
	v_cmp_lt_i64_e64 s0, s[20:21], s[16:17]
	v_add_co_ci_u32_e64 v4, null, 0, v4, vcc_lo
	v_add_co_u32 v5, vcc_lo, v5, s28
	v_add_co_ci_u32_e64 v6, null, 0, v6, vcc_lo
	s_and_b32 vcc_lo, exec_lo, s0
	s_cbranch_vccz .LBB51_36
.LBB51_4:                               ; =>This Inner Loop Header: Depth=1
	v_add_co_u32 v7, s0, v0, s20
	v_add_co_ci_u32_e64 v8, null, 0, s21, s0
	v_mov_b32_e32 v13, 0
	v_mov_b32_e32 v14, 0
	v_cmp_gt_u64_e64 s3, s[18:19], v[7:8]
	v_mov_b32_e32 v7, 0
	v_mov_b32_e32 v8, 0
	s_and_saveexec_b32 s0, s3
	s_cbranch_execz .LBB51_6
; %bb.5:                                ;   in Loop: Header=BB51_4 Depth=1
	global_load_dwordx2 v[7:8], v[3:4], off
.LBB51_6:                               ;   in Loop: Header=BB51_4 Depth=1
	s_or_b32 exec_lo, exec_lo, s0
	v_add_co_u32 v9, vcc_lo, v17, s20
	v_add_co_ci_u32_e64 v10, null, s21, v20, vcc_lo
	v_cmp_gt_u64_e64 s0, s[18:19], v[9:10]
	s_and_saveexec_b32 s1, s0
	s_cbranch_execz .LBB51_8
; %bb.7:                                ;   in Loop: Header=BB51_4 Depth=1
	global_load_dwordx2 v[13:14], v[5:6], off
.LBB51_8:                               ;   in Loop: Header=BB51_4 Depth=1
	s_or_b32 exec_lo, exec_lo, s1
	v_add_co_u32 v9, vcc_lo, v21, s20
	v_add_co_ci_u32_e64 v10, null, s21, v22, vcc_lo
	v_mov_b32_e32 v11, 0
	v_mov_b32_e32 v15, 0
	;; [unrolled: 1-line block ×3, first 2 shown]
	v_cmp_gt_u64_e64 s1, s[18:19], v[9:10]
	v_mov_b32_e32 v16, 0
	s_and_saveexec_b32 s2, s1
	s_cbranch_execz .LBB51_10
; %bb.9:                                ;   in Loop: Header=BB51_4 Depth=1
	v_add_co_u32 v9, vcc_lo, v3, s29
	v_add_co_ci_u32_e64 v10, null, 0, v4, vcc_lo
	global_load_dwordx2 v[15:16], v[9:10], off
.LBB51_10:                              ;   in Loop: Header=BB51_4 Depth=1
	s_or_b32 exec_lo, exec_lo, s2
	v_add_co_u32 v9, vcc_lo, v18, s20
	v_add_co_ci_u32_e64 v10, null, s21, v19, vcc_lo
	v_cmp_gt_u64_e64 s2, s[18:19], v[9:10]
	s_and_saveexec_b32 s6, s2
	s_cbranch_execz .LBB51_12
; %bb.11:                               ;   in Loop: Header=BB51_4 Depth=1
	v_add_co_u32 v9, vcc_lo, v3, s27
	v_add_co_ci_u32_e64 v10, null, 0, v4, vcc_lo
	global_load_dwordx2 v[11:12], v[9:10], off
.LBB51_12:                              ;   in Loop: Header=BB51_4 Depth=1
	s_or_b32 exec_lo, exec_lo, s6
	s_waitcnt vmcnt(0)
	v_or_b32_e32 v2, s9, v14
                                        ; implicit-def: $vgpr9_vgpr10
	s_mov_b32 s6, exec_lo
	v_cmpx_ne_u64_e32 0, v[1:2]
	s_xor_b32 s7, exec_lo, s6
	s_cbranch_execz .LBB51_14
; %bb.13:                               ;   in Loop: Header=BB51_4 Depth=1
	s_add_u32 s24, s8, s22
	s_mov_b32 s23, s22
	s_addc_u32 s25, s9, s22
	v_ashrrev_i32_e32 v25, 31, v14
	s_xor_b64 s[24:25], s[24:25], s[22:23]
	v_cvt_f32_u32_e32 v2, s24
	v_cvt_f32_u32_e32 v9, s25
	s_sub_u32 s6, 0, s24
	s_subb_u32 s33, 0, s25
	v_add_co_u32 v10, vcc_lo, v13, v25
	v_fmac_f32_e32 v2, 0x4f800000, v9
	v_xor_b32_e32 v26, v10, v25
	v_rcp_f32_e32 v2, v2
	v_mul_f32_e32 v2, 0x5f7ffffc, v2
	v_mul_f32_e32 v9, 0x2f800000, v2
	v_trunc_f32_e32 v9, v9
	v_fmac_f32_e32 v2, 0xcf800000, v9
	v_cvt_u32_f32_e32 v9, v9
	v_cvt_u32_f32_e32 v2, v2
	v_readfirstlane_b32 s23, v9
	v_readfirstlane_b32 s31, v2
	s_mul_i32 s34, s6, s23
	v_add_co_ci_u32_e64 v2, null, v14, v25, vcc_lo
	s_mul_hi_u32 s36, s6, s31
	s_mul_i32 s35, s33, s31
	s_add_i32 s34, s36, s34
	s_mul_i32 s37, s6, s31
	s_add_i32 s34, s34, s35
	s_mul_hi_u32 s36, s31, s37
	s_mul_i32 s39, s31, s34
	s_mul_hi_u32 s38, s23, s37
	s_mul_i32 s35, s23, s37
	s_mul_hi_u32 s37, s31, s34
	s_add_u32 s36, s36, s39
	s_addc_u32 s37, 0, s37
	s_mul_hi_u32 s40, s23, s34
	s_add_u32 s35, s36, s35
	s_mul_i32 s34, s23, s34
	s_addc_u32 s35, s37, s38
	s_addc_u32 s36, s40, 0
	s_add_u32 s34, s35, s34
	s_addc_u32 s35, 0, s36
	s_add_u32 s31, s31, s34
	s_cselect_b32 s34, -1, 0
	s_mul_hi_u32 s36, s6, s31
	s_cmp_lg_u32 s34, 0
	s_mul_i32 s34, s6, s31
	s_addc_u32 s23, s23, s35
	s_mul_i32 s33, s33, s31
	s_mul_i32 s6, s6, s23
	s_mul_hi_u32 s35, s31, s34
	s_add_i32 s6, s36, s6
	s_mul_hi_u32 s36, s23, s34
	s_add_i32 s6, s6, s33
	s_mul_i32 s33, s23, s34
	s_mul_i32 s38, s31, s6
	s_mul_hi_u32 s37, s31, s6
	s_add_u32 s35, s35, s38
	s_addc_u32 s37, 0, s37
	s_mul_hi_u32 s34, s23, s6
	s_add_u32 s33, s35, s33
	s_mul_i32 s6, s23, s6
	s_addc_u32 s33, s37, s36
	s_addc_u32 s34, s34, 0
	s_add_u32 s6, s33, s6
	s_addc_u32 s33, 0, s34
	s_add_u32 s6, s31, s6
	s_cselect_b32 s31, -1, 0
	v_xor_b32_e32 v2, v2, v25
	s_cmp_lg_u32 s31, 0
	v_mul_hi_u32 v27, v26, s6
	s_addc_u32 s23, s23, s33
	v_mad_u64_u32 v[9:10], null, v26, s23, 0
	v_mad_u64_u32 v[13:14], null, v2, s6, 0
	;; [unrolled: 1-line block ×3, first 2 shown]
	v_add_co_u32 v9, vcc_lo, v27, v9
	v_add_co_ci_u32_e64 v10, null, 0, v10, vcc_lo
	v_add_co_u32 v9, vcc_lo, v9, v13
	v_add_co_ci_u32_e32 v9, vcc_lo, v10, v14, vcc_lo
	v_add_co_ci_u32_e32 v10, vcc_lo, 0, v24, vcc_lo
	v_add_co_u32 v13, vcc_lo, v9, v23
	v_add_co_ci_u32_e64 v14, null, 0, v10, vcc_lo
	v_mul_lo_u32 v23, s25, v13
	v_mad_u64_u32 v[9:10], null, s24, v13, 0
	v_mul_lo_u32 v24, s24, v14
	v_sub_co_u32 v9, vcc_lo, v26, v9
	v_add3_u32 v10, v10, v24, v23
	v_add_co_u32 v24, s6, v13, 2
	v_add_co_ci_u32_e64 v26, null, 0, v14, s6
	v_sub_nc_u32_e32 v23, v2, v10
	v_sub_co_u32 v27, s6, v9, s24
	v_sub_co_ci_u32_e64 v2, null, v2, v10, vcc_lo
	v_subrev_co_ci_u32_e64 v23, null, s25, v23, vcc_lo
	v_cmp_le_u32_e32 vcc_lo, s24, v27
	v_subrev_co_ci_u32_e64 v23, null, 0, v23, s6
	v_cndmask_b32_e64 v10, 0, -1, vcc_lo
	v_cmp_le_u32_e32 vcc_lo, s25, v23
	v_cndmask_b32_e64 v27, 0, -1, vcc_lo
	v_cmp_le_u32_e32 vcc_lo, s24, v9
	;; [unrolled: 2-line block ×3, first 2 shown]
	v_cndmask_b32_e64 v28, 0, -1, vcc_lo
	v_cmp_eq_u32_e32 vcc_lo, s25, v23
	v_cndmask_b32_e32 v10, v27, v10, vcc_lo
	v_add_co_u32 v23, vcc_lo, v13, 1
	v_add_co_ci_u32_e64 v27, null, 0, v14, vcc_lo
	v_cmp_eq_u32_e32 vcc_lo, s25, v2
	v_cndmask_b32_e32 v2, v28, v9, vcc_lo
	v_cmp_ne_u32_e32 vcc_lo, 0, v10
	v_xor_b32_e32 v10, s22, v25
	v_cmp_ne_u32_e64 s6, 0, v2
	v_cndmask_b32_e32 v2, v23, v24, vcc_lo
	v_cndmask_b32_e32 v9, v27, v26, vcc_lo
	v_cndmask_b32_e64 v2, v13, v2, s6
	v_cndmask_b32_e64 v9, v14, v9, s6
	v_xor_b32_e32 v2, v2, v10
	v_xor_b32_e32 v13, v9, v10
	v_sub_co_u32 v9, vcc_lo, v2, v10
	v_sub_co_ci_u32_e64 v10, null, v13, v10, vcc_lo
                                        ; implicit-def: $vgpr13_vgpr14
.LBB51_14:                              ;   in Loop: Header=BB51_4 Depth=1
	s_andn2_saveexec_b32 s6, s7
	s_cbranch_execz .LBB51_16
; %bb.15:                               ;   in Loop: Header=BB51_4 Depth=1
	v_cvt_f32_u32_e32 v2, s8
	v_rcp_iflag_f32_e32 v2, v2
	v_mul_f32_e32 v2, 0x4f7ffffe, v2
	v_cvt_u32_f32_e32 v2, v2
	v_mul_lo_u32 v9, s30, v2
	v_mul_hi_u32 v9, v2, v9
	v_add_nc_u32_e32 v2, v2, v9
	v_mul_hi_u32 v2, v13, v2
	v_mul_lo_u32 v9, v2, s8
	v_add_nc_u32_e32 v10, 1, v2
	v_sub_nc_u32_e32 v9, v13, v9
	v_subrev_nc_u32_e32 v13, s8, v9
	v_cmp_le_u32_e32 vcc_lo, s8, v9
	v_cndmask_b32_e32 v9, v9, v13, vcc_lo
	v_cndmask_b32_e32 v2, v2, v10, vcc_lo
	v_cmp_le_u32_e32 vcc_lo, s8, v9
	v_add_nc_u32_e32 v10, 1, v2
	v_cndmask_b32_e32 v9, v2, v10, vcc_lo
	v_mov_b32_e32 v10, v1
.LBB51_16:                              ;   in Loop: Header=BB51_4 Depth=1
	s_or_b32 exec_lo, exec_lo, s6
	v_or_b32_e32 v2, s9, v16
                                        ; implicit-def: $vgpr13_vgpr14
	s_mov_b32 s6, exec_lo
	v_cmpx_ne_u64_e32 0, v[1:2]
	s_xor_b32 s7, exec_lo, s6
	s_cbranch_execz .LBB51_18
; %bb.17:                               ;   in Loop: Header=BB51_4 Depth=1
	s_add_u32 s24, s8, s22
	s_mov_b32 s23, s22
	s_addc_u32 s25, s9, s22
	v_ashrrev_i32_e32 v25, 31, v16
	s_xor_b64 s[24:25], s[24:25], s[22:23]
	v_cvt_f32_u32_e32 v2, s24
	v_cvt_f32_u32_e32 v13, s25
	s_sub_u32 s6, 0, s24
	s_subb_u32 s33, 0, s25
	v_add_co_u32 v14, vcc_lo, v15, v25
	v_fmac_f32_e32 v2, 0x4f800000, v13
	v_xor_b32_e32 v26, v14, v25
	v_rcp_f32_e32 v2, v2
	v_mul_f32_e32 v2, 0x5f7ffffc, v2
	v_mul_f32_e32 v13, 0x2f800000, v2
	v_trunc_f32_e32 v13, v13
	v_fmac_f32_e32 v2, 0xcf800000, v13
	v_cvt_u32_f32_e32 v13, v13
	v_cvt_u32_f32_e32 v2, v2
	v_readfirstlane_b32 s23, v13
	v_readfirstlane_b32 s31, v2
	s_mul_i32 s34, s6, s23
	v_add_co_ci_u32_e64 v2, null, v16, v25, vcc_lo
	s_mul_hi_u32 s36, s6, s31
	s_mul_i32 s35, s33, s31
	s_add_i32 s34, s36, s34
	s_mul_i32 s37, s6, s31
	s_add_i32 s34, s34, s35
	s_mul_hi_u32 s36, s31, s37
	s_mul_i32 s39, s31, s34
	s_mul_hi_u32 s38, s23, s37
	s_mul_i32 s35, s23, s37
	s_mul_hi_u32 s37, s31, s34
	s_add_u32 s36, s36, s39
	s_addc_u32 s37, 0, s37
	s_mul_hi_u32 s40, s23, s34
	s_add_u32 s35, s36, s35
	s_mul_i32 s34, s23, s34
	s_addc_u32 s35, s37, s38
	s_addc_u32 s36, s40, 0
	s_add_u32 s34, s35, s34
	s_addc_u32 s35, 0, s36
	s_add_u32 s31, s31, s34
	s_cselect_b32 s34, -1, 0
	s_mul_hi_u32 s36, s6, s31
	s_cmp_lg_u32 s34, 0
	s_mul_i32 s34, s6, s31
	s_addc_u32 s23, s23, s35
	s_mul_i32 s33, s33, s31
	s_mul_i32 s6, s6, s23
	s_mul_hi_u32 s35, s31, s34
	s_add_i32 s6, s36, s6
	s_mul_hi_u32 s36, s23, s34
	s_add_i32 s6, s6, s33
	s_mul_i32 s33, s23, s34
	s_mul_i32 s38, s31, s6
	s_mul_hi_u32 s37, s31, s6
	s_add_u32 s35, s35, s38
	s_addc_u32 s37, 0, s37
	s_mul_hi_u32 s34, s23, s6
	s_add_u32 s33, s35, s33
	s_mul_i32 s6, s23, s6
	s_addc_u32 s33, s37, s36
	s_addc_u32 s34, s34, 0
	s_add_u32 s6, s33, s6
	s_addc_u32 s33, 0, s34
	s_add_u32 s6, s31, s6
	s_cselect_b32 s31, -1, 0
	v_xor_b32_e32 v2, v2, v25
	s_cmp_lg_u32 s31, 0
	v_mul_hi_u32 v27, v26, s6
	s_addc_u32 s23, s23, s33
	v_mad_u64_u32 v[13:14], null, v26, s23, 0
	v_mad_u64_u32 v[15:16], null, v2, s6, 0
	;; [unrolled: 1-line block ×3, first 2 shown]
	v_add_co_u32 v13, vcc_lo, v27, v13
	v_add_co_ci_u32_e64 v14, null, 0, v14, vcc_lo
	v_add_co_u32 v13, vcc_lo, v13, v15
	v_add_co_ci_u32_e32 v13, vcc_lo, v14, v16, vcc_lo
	v_add_co_ci_u32_e32 v14, vcc_lo, 0, v24, vcc_lo
	v_add_co_u32 v15, vcc_lo, v13, v23
	v_add_co_ci_u32_e64 v16, null, 0, v14, vcc_lo
	v_mul_lo_u32 v23, s25, v15
	v_mad_u64_u32 v[13:14], null, s24, v15, 0
	v_mul_lo_u32 v24, s24, v16
	v_sub_co_u32 v13, vcc_lo, v26, v13
	v_add3_u32 v14, v14, v24, v23
	v_add_co_u32 v24, s6, v15, 2
	v_add_co_ci_u32_e64 v26, null, 0, v16, s6
	v_sub_nc_u32_e32 v23, v2, v14
	v_sub_co_u32 v27, s6, v13, s24
	v_sub_co_ci_u32_e64 v2, null, v2, v14, vcc_lo
	v_subrev_co_ci_u32_e64 v23, null, s25, v23, vcc_lo
	v_cmp_le_u32_e32 vcc_lo, s24, v27
	v_subrev_co_ci_u32_e64 v23, null, 0, v23, s6
	v_cndmask_b32_e64 v14, 0, -1, vcc_lo
	v_cmp_le_u32_e32 vcc_lo, s25, v23
	v_cndmask_b32_e64 v27, 0, -1, vcc_lo
	v_cmp_le_u32_e32 vcc_lo, s24, v13
	;; [unrolled: 2-line block ×3, first 2 shown]
	v_cndmask_b32_e64 v28, 0, -1, vcc_lo
	v_cmp_eq_u32_e32 vcc_lo, s25, v23
	v_cndmask_b32_e32 v14, v27, v14, vcc_lo
	v_add_co_u32 v23, vcc_lo, v15, 1
	v_add_co_ci_u32_e64 v27, null, 0, v16, vcc_lo
	v_cmp_eq_u32_e32 vcc_lo, s25, v2
	v_cndmask_b32_e32 v2, v28, v13, vcc_lo
	v_cmp_ne_u32_e32 vcc_lo, 0, v14
	v_xor_b32_e32 v14, s22, v25
	v_cmp_ne_u32_e64 s6, 0, v2
	v_cndmask_b32_e32 v2, v23, v24, vcc_lo
	v_cndmask_b32_e32 v13, v27, v26, vcc_lo
	v_cndmask_b32_e64 v2, v15, v2, s6
	v_cndmask_b32_e64 v13, v16, v13, s6
	v_xor_b32_e32 v2, v2, v14
	v_xor_b32_e32 v15, v13, v14
	v_sub_co_u32 v13, vcc_lo, v2, v14
	v_sub_co_ci_u32_e64 v14, null, v15, v14, vcc_lo
                                        ; implicit-def: $vgpr15_vgpr16
.LBB51_18:                              ;   in Loop: Header=BB51_4 Depth=1
	s_andn2_saveexec_b32 s6, s7
	s_cbranch_execz .LBB51_20
; %bb.19:                               ;   in Loop: Header=BB51_4 Depth=1
	v_cvt_f32_u32_e32 v2, s8
	v_rcp_iflag_f32_e32 v2, v2
	v_mul_f32_e32 v2, 0x4f7ffffe, v2
	v_cvt_u32_f32_e32 v2, v2
	v_mul_lo_u32 v13, s30, v2
	v_mul_hi_u32 v13, v2, v13
	v_add_nc_u32_e32 v2, v2, v13
	v_mul_hi_u32 v2, v15, v2
	v_mul_lo_u32 v13, v2, s8
	v_add_nc_u32_e32 v14, 1, v2
	v_sub_nc_u32_e32 v13, v15, v13
	v_subrev_nc_u32_e32 v15, s8, v13
	v_cmp_le_u32_e32 vcc_lo, s8, v13
	v_cndmask_b32_e32 v13, v13, v15, vcc_lo
	v_cndmask_b32_e32 v2, v2, v14, vcc_lo
	v_cmp_le_u32_e32 vcc_lo, s8, v13
	v_add_nc_u32_e32 v14, 1, v2
	v_cndmask_b32_e32 v13, v2, v14, vcc_lo
	v_mov_b32_e32 v14, v1
.LBB51_20:                              ;   in Loop: Header=BB51_4 Depth=1
	s_or_b32 exec_lo, exec_lo, s6
	v_or_b32_e32 v2, s9, v12
                                        ; implicit-def: $vgpr15_vgpr16
	s_mov_b32 s6, exec_lo
	v_cmpx_ne_u64_e32 0, v[1:2]
	s_xor_b32 s7, exec_lo, s6
	s_cbranch_execnz .LBB51_26
; %bb.21:                               ;   in Loop: Header=BB51_4 Depth=1
	s_andn2_saveexec_b32 s6, s7
	s_cbranch_execnz .LBB51_27
.LBB51_22:                              ;   in Loop: Header=BB51_4 Depth=1
	s_or_b32 exec_lo, exec_lo, s6
	s_and_saveexec_b32 s24, s3
	s_cbranch_execnz .LBB51_28
.LBB51_23:                              ;   in Loop: Header=BB51_4 Depth=1
	s_or_b32 exec_lo, exec_lo, s24
	s_and_saveexec_b32 s3, s0
	s_cbranch_execnz .LBB51_33
.LBB51_24:                              ;   in Loop: Header=BB51_4 Depth=1
	s_or_b32 exec_lo, exec_lo, s3
	s_and_saveexec_b32 s0, s1
	s_cbranch_execnz .LBB51_34
.LBB51_25:                              ;   in Loop: Header=BB51_4 Depth=1
	s_or_b32 exec_lo, exec_lo, s0
	s_and_saveexec_b32 s0, s2
	s_cbranch_execz .LBB51_3
	s_branch .LBB51_35
.LBB51_26:                              ;   in Loop: Header=BB51_4 Depth=1
	s_add_u32 s24, s8, s22
	s_mov_b32 s23, s22
	s_addc_u32 s25, s9, s22
	v_ashrrev_i32_e32 v25, 31, v12
	s_xor_b64 s[24:25], s[24:25], s[22:23]
	v_cvt_f32_u32_e32 v2, s24
	v_cvt_f32_u32_e32 v15, s25
	s_sub_u32 s6, 0, s24
	s_subb_u32 s33, 0, s25
	v_add_co_u32 v11, vcc_lo, v11, v25
	v_fmac_f32_e32 v2, 0x4f800000, v15
	v_xor_b32_e32 v26, v11, v25
	v_rcp_f32_e32 v2, v2
	v_mul_f32_e32 v2, 0x5f7ffffc, v2
	v_mul_f32_e32 v15, 0x2f800000, v2
	v_trunc_f32_e32 v15, v15
	v_fmac_f32_e32 v2, 0xcf800000, v15
	v_cvt_u32_f32_e32 v15, v15
	v_cvt_u32_f32_e32 v2, v2
	v_readfirstlane_b32 s23, v15
	v_readfirstlane_b32 s31, v2
	s_mul_i32 s34, s6, s23
	v_add_co_ci_u32_e64 v2, null, v12, v25, vcc_lo
	s_mul_hi_u32 s36, s6, s31
	s_mul_i32 s35, s33, s31
	s_add_i32 s34, s36, s34
	s_mul_i32 s37, s6, s31
	s_add_i32 s34, s34, s35
	s_mul_hi_u32 s36, s31, s37
	s_mul_i32 s39, s31, s34
	s_mul_hi_u32 s38, s23, s37
	s_mul_i32 s35, s23, s37
	s_mul_hi_u32 s37, s31, s34
	s_add_u32 s36, s36, s39
	s_addc_u32 s37, 0, s37
	s_mul_hi_u32 s40, s23, s34
	s_add_u32 s35, s36, s35
	s_mul_i32 s34, s23, s34
	s_addc_u32 s35, s37, s38
	s_addc_u32 s36, s40, 0
	s_add_u32 s34, s35, s34
	s_addc_u32 s35, 0, s36
	s_add_u32 s31, s31, s34
	s_cselect_b32 s34, -1, 0
	s_mul_hi_u32 s36, s6, s31
	s_cmp_lg_u32 s34, 0
	s_mul_i32 s34, s6, s31
	s_addc_u32 s23, s23, s35
	s_mul_i32 s33, s33, s31
	s_mul_i32 s6, s6, s23
	s_mul_hi_u32 s35, s31, s34
	s_add_i32 s6, s36, s6
	s_mul_hi_u32 s36, s23, s34
	s_add_i32 s6, s6, s33
	s_mul_i32 s33, s23, s34
	s_mul_i32 s38, s31, s6
	s_mul_hi_u32 s37, s31, s6
	s_add_u32 s35, s35, s38
	s_addc_u32 s37, 0, s37
	s_mul_hi_u32 s34, s23, s6
	s_add_u32 s33, s35, s33
	s_mul_i32 s6, s23, s6
	s_addc_u32 s33, s37, s36
	s_addc_u32 s34, s34, 0
	s_add_u32 s6, s33, s6
	s_addc_u32 s33, 0, s34
	s_add_u32 s6, s31, s6
	s_cselect_b32 s31, -1, 0
	v_xor_b32_e32 v2, v2, v25
	s_cmp_lg_u32 s31, 0
	v_mul_hi_u32 v27, v26, s6
	s_addc_u32 s23, s23, s33
	v_mad_u64_u32 v[11:12], null, v26, s23, 0
	v_mad_u64_u32 v[15:16], null, v2, s6, 0
	;; [unrolled: 1-line block ×3, first 2 shown]
	v_add_co_u32 v11, vcc_lo, v27, v11
	v_add_co_ci_u32_e64 v12, null, 0, v12, vcc_lo
	v_add_co_u32 v11, vcc_lo, v11, v15
	v_add_co_ci_u32_e32 v11, vcc_lo, v12, v16, vcc_lo
	v_add_co_ci_u32_e32 v12, vcc_lo, 0, v24, vcc_lo
	v_add_co_u32 v15, vcc_lo, v11, v23
	v_add_co_ci_u32_e64 v16, null, 0, v12, vcc_lo
	v_mul_lo_u32 v23, s25, v15
	v_mad_u64_u32 v[11:12], null, s24, v15, 0
	v_mul_lo_u32 v24, s24, v16
	v_sub_co_u32 v11, vcc_lo, v26, v11
	v_add3_u32 v12, v12, v24, v23
	v_add_co_u32 v24, s6, v15, 2
	v_add_co_ci_u32_e64 v26, null, 0, v16, s6
	v_sub_nc_u32_e32 v23, v2, v12
	v_sub_co_u32 v27, s6, v11, s24
	v_sub_co_ci_u32_e64 v2, null, v2, v12, vcc_lo
	v_subrev_co_ci_u32_e64 v23, null, s25, v23, vcc_lo
	v_cmp_le_u32_e32 vcc_lo, s24, v27
	v_subrev_co_ci_u32_e64 v23, null, 0, v23, s6
	v_cndmask_b32_e64 v12, 0, -1, vcc_lo
	v_cmp_le_u32_e32 vcc_lo, s25, v23
	v_cndmask_b32_e64 v27, 0, -1, vcc_lo
	v_cmp_le_u32_e32 vcc_lo, s24, v11
	;; [unrolled: 2-line block ×3, first 2 shown]
	v_cndmask_b32_e64 v28, 0, -1, vcc_lo
	v_cmp_eq_u32_e32 vcc_lo, s25, v23
	v_cndmask_b32_e32 v12, v27, v12, vcc_lo
	v_add_co_u32 v23, vcc_lo, v15, 1
	v_add_co_ci_u32_e64 v27, null, 0, v16, vcc_lo
	v_cmp_eq_u32_e32 vcc_lo, s25, v2
	v_cndmask_b32_e32 v2, v28, v11, vcc_lo
	v_cmp_ne_u32_e32 vcc_lo, 0, v12
	v_xor_b32_e32 v12, s22, v25
	v_cmp_ne_u32_e64 s6, 0, v2
	v_cndmask_b32_e32 v2, v23, v24, vcc_lo
	v_cndmask_b32_e32 v11, v27, v26, vcc_lo
	v_cndmask_b32_e64 v2, v15, v2, s6
	v_cndmask_b32_e64 v11, v16, v11, s6
	v_xor_b32_e32 v2, v2, v12
	v_xor_b32_e32 v11, v11, v12
	v_sub_co_u32 v15, vcc_lo, v2, v12
	v_sub_co_ci_u32_e64 v16, null, v11, v12, vcc_lo
                                        ; implicit-def: $vgpr11_vgpr12
	s_andn2_saveexec_b32 s6, s7
	s_cbranch_execz .LBB51_22
.LBB51_27:                              ;   in Loop: Header=BB51_4 Depth=1
	v_cvt_f32_u32_e32 v2, s8
	v_mov_b32_e32 v16, v1
	v_rcp_iflag_f32_e32 v2, v2
	v_mul_f32_e32 v2, 0x4f7ffffe, v2
	v_cvt_u32_f32_e32 v2, v2
	v_mul_lo_u32 v12, s30, v2
	v_mul_hi_u32 v12, v2, v12
	v_add_nc_u32_e32 v2, v2, v12
	v_mul_hi_u32 v2, v11, v2
	v_mul_lo_u32 v12, v2, s8
	v_sub_nc_u32_e32 v11, v11, v12
	v_add_nc_u32_e32 v12, 1, v2
	v_subrev_nc_u32_e32 v15, s8, v11
	v_cmp_le_u32_e32 vcc_lo, s8, v11
	v_cndmask_b32_e32 v11, v11, v15, vcc_lo
	v_cndmask_b32_e32 v2, v2, v12, vcc_lo
	v_cmp_le_u32_e32 vcc_lo, s8, v11
	v_add_nc_u32_e32 v12, 1, v2
	v_cndmask_b32_e32 v15, v2, v12, vcc_lo
	s_or_b32 exec_lo, exec_lo, s6
	s_and_saveexec_b32 s24, s3
	s_cbranch_execz .LBB51_23
.LBB51_28:                              ;   in Loop: Header=BB51_4 Depth=1
	v_or_b32_e32 v2, s9, v8
                                        ; implicit-def: $vgpr11_vgpr12
	s_mov_b32 s3, exec_lo
	v_cmpx_ne_u64_e32 0, v[1:2]
	s_xor_b32 s25, exec_lo, s3
	s_cbranch_execz .LBB51_30
; %bb.29:                               ;   in Loop: Header=BB51_4 Depth=1
	s_add_u32 s6, s8, s22
	s_mov_b32 s23, s22
	s_addc_u32 s7, s9, s22
	v_ashrrev_i32_e32 v25, 31, v8
	s_xor_b64 s[6:7], s[6:7], s[22:23]
	v_cvt_f32_u32_e32 v2, s6
	v_cvt_f32_u32_e32 v11, s7
	s_sub_u32 s3, 0, s6
	s_subb_u32 s33, 0, s7
	v_add_co_u32 v7, vcc_lo, v7, v25
	v_fmac_f32_e32 v2, 0x4f800000, v11
	v_xor_b32_e32 v26, v7, v25
	v_rcp_f32_e32 v2, v2
	v_mul_f32_e32 v2, 0x5f7ffffc, v2
	v_mul_f32_e32 v11, 0x2f800000, v2
	v_trunc_f32_e32 v11, v11
	v_fmac_f32_e32 v2, 0xcf800000, v11
	v_cvt_u32_f32_e32 v11, v11
	v_cvt_u32_f32_e32 v2, v2
	v_readfirstlane_b32 s23, v11
	v_readfirstlane_b32 s31, v2
	s_mul_i32 s34, s3, s23
	v_add_co_ci_u32_e64 v2, null, v8, v25, vcc_lo
	s_mul_hi_u32 s36, s3, s31
	s_mul_i32 s35, s33, s31
	s_add_i32 s34, s36, s34
	s_mul_i32 s37, s3, s31
	s_add_i32 s34, s34, s35
	s_mul_hi_u32 s36, s31, s37
	s_mul_i32 s39, s31, s34
	s_mul_hi_u32 s38, s23, s37
	s_mul_i32 s35, s23, s37
	s_mul_hi_u32 s37, s31, s34
	s_add_u32 s36, s36, s39
	s_addc_u32 s37, 0, s37
	s_mul_hi_u32 s40, s23, s34
	s_add_u32 s35, s36, s35
	s_mul_i32 s34, s23, s34
	s_addc_u32 s35, s37, s38
	s_addc_u32 s36, s40, 0
	s_add_u32 s34, s35, s34
	s_addc_u32 s35, 0, s36
	s_add_u32 s31, s31, s34
	s_cselect_b32 s34, -1, 0
	s_mul_hi_u32 s36, s3, s31
	s_cmp_lg_u32 s34, 0
	s_mul_i32 s34, s3, s31
	s_addc_u32 s23, s23, s35
	s_mul_i32 s33, s33, s31
	s_mul_i32 s3, s3, s23
	s_mul_hi_u32 s35, s31, s34
	s_add_i32 s3, s36, s3
	s_mul_hi_u32 s36, s23, s34
	s_add_i32 s3, s3, s33
	s_mul_i32 s33, s23, s34
	s_mul_i32 s38, s31, s3
	s_mul_hi_u32 s37, s31, s3
	s_add_u32 s35, s35, s38
	s_addc_u32 s37, 0, s37
	s_mul_hi_u32 s34, s23, s3
	s_add_u32 s33, s35, s33
	s_mul_i32 s3, s23, s3
	s_addc_u32 s33, s37, s36
	s_addc_u32 s34, s34, 0
	s_add_u32 s3, s33, s3
	s_addc_u32 s33, 0, s34
	s_add_u32 s3, s31, s3
	s_cselect_b32 s31, -1, 0
	v_xor_b32_e32 v2, v2, v25
	s_cmp_lg_u32 s31, 0
	v_mul_hi_u32 v27, v26, s3
	s_addc_u32 s23, s23, s33
	v_mad_u64_u32 v[7:8], null, v26, s23, 0
	v_mad_u64_u32 v[11:12], null, v2, s3, 0
	;; [unrolled: 1-line block ×3, first 2 shown]
	v_add_co_u32 v7, vcc_lo, v27, v7
	v_add_co_ci_u32_e64 v8, null, 0, v8, vcc_lo
	v_add_co_u32 v7, vcc_lo, v7, v11
	v_add_co_ci_u32_e32 v7, vcc_lo, v8, v12, vcc_lo
	v_add_co_ci_u32_e32 v8, vcc_lo, 0, v24, vcc_lo
	v_add_co_u32 v11, vcc_lo, v7, v23
	v_add_co_ci_u32_e64 v12, null, 0, v8, vcc_lo
	v_mul_lo_u32 v23, s7, v11
	v_mad_u64_u32 v[7:8], null, s6, v11, 0
	v_mul_lo_u32 v24, s6, v12
	v_sub_co_u32 v7, vcc_lo, v26, v7
	v_add3_u32 v8, v8, v24, v23
	v_add_co_u32 v24, s3, v11, 2
	v_add_co_ci_u32_e64 v26, null, 0, v12, s3
	v_sub_nc_u32_e32 v23, v2, v8
	v_sub_co_u32 v27, s3, v7, s6
	v_sub_co_ci_u32_e64 v2, null, v2, v8, vcc_lo
	v_subrev_co_ci_u32_e64 v23, null, s7, v23, vcc_lo
	v_cmp_le_u32_e32 vcc_lo, s6, v27
	v_subrev_co_ci_u32_e64 v23, null, 0, v23, s3
	v_cndmask_b32_e64 v8, 0, -1, vcc_lo
	v_cmp_le_u32_e32 vcc_lo, s7, v23
	v_cndmask_b32_e64 v27, 0, -1, vcc_lo
	v_cmp_le_u32_e32 vcc_lo, s6, v7
	v_cndmask_b32_e64 v7, 0, -1, vcc_lo
	v_cmp_le_u32_e32 vcc_lo, s7, v2
	v_cndmask_b32_e64 v28, 0, -1, vcc_lo
	v_cmp_eq_u32_e32 vcc_lo, s7, v23
	v_cndmask_b32_e32 v8, v27, v8, vcc_lo
	v_add_co_u32 v23, vcc_lo, v11, 1
	v_add_co_ci_u32_e64 v27, null, 0, v12, vcc_lo
	v_cmp_eq_u32_e32 vcc_lo, s7, v2
	v_cndmask_b32_e32 v2, v28, v7, vcc_lo
	v_cmp_ne_u32_e32 vcc_lo, 0, v8
	v_xor_b32_e32 v8, s22, v25
	v_cmp_ne_u32_e64 s3, 0, v2
	v_cndmask_b32_e32 v2, v23, v24, vcc_lo
	v_cndmask_b32_e32 v7, v27, v26, vcc_lo
	v_cndmask_b32_e64 v2, v11, v2, s3
	v_cndmask_b32_e64 v7, v12, v7, s3
	v_xor_b32_e32 v2, v2, v8
	v_xor_b32_e32 v7, v7, v8
	v_sub_co_u32 v11, vcc_lo, v2, v8
	v_sub_co_ci_u32_e64 v12, null, v7, v8, vcc_lo
                                        ; implicit-def: $vgpr7_vgpr8
.LBB51_30:                              ;   in Loop: Header=BB51_4 Depth=1
	s_andn2_saveexec_b32 s3, s25
	s_cbranch_execz .LBB51_32
; %bb.31:                               ;   in Loop: Header=BB51_4 Depth=1
	v_cvt_f32_u32_e32 v2, s8
	v_mov_b32_e32 v12, v1
	v_rcp_iflag_f32_e32 v2, v2
	v_mul_f32_e32 v2, 0x4f7ffffe, v2
	v_cvt_u32_f32_e32 v2, v2
	v_mul_lo_u32 v8, s30, v2
	v_mul_hi_u32 v8, v2, v8
	v_add_nc_u32_e32 v2, v2, v8
	v_mul_hi_u32 v2, v7, v2
	v_mul_lo_u32 v8, v2, s8
	v_sub_nc_u32_e32 v7, v7, v8
	v_add_nc_u32_e32 v8, 1, v2
	v_subrev_nc_u32_e32 v11, s8, v7
	v_cmp_le_u32_e32 vcc_lo, s8, v7
	v_cndmask_b32_e32 v7, v7, v11, vcc_lo
	v_cndmask_b32_e32 v2, v2, v8, vcc_lo
	v_cmp_le_u32_e32 vcc_lo, s8, v7
	v_add_nc_u32_e32 v8, 1, v2
	v_cndmask_b32_e32 v11, v2, v8, vcc_lo
.LBB51_32:                              ;   in Loop: Header=BB51_4 Depth=1
	s_or_b32 exec_lo, exec_lo, s3
	global_store_dwordx2 v[3:4], v[11:12], off
	s_or_b32 exec_lo, exec_lo, s24
	s_and_saveexec_b32 s3, s0
	s_cbranch_execz .LBB51_24
.LBB51_33:                              ;   in Loop: Header=BB51_4 Depth=1
	global_store_dwordx2 v[5:6], v[9:10], off
	s_or_b32 exec_lo, exec_lo, s3
	s_and_saveexec_b32 s0, s1
	s_cbranch_execz .LBB51_25
.LBB51_34:                              ;   in Loop: Header=BB51_4 Depth=1
	v_add_co_u32 v7, vcc_lo, v3, s29
	v_add_co_ci_u32_e64 v8, null, 0, v4, vcc_lo
	global_store_dwordx2 v[7:8], v[13:14], off
	s_or_b32 exec_lo, exec_lo, s0
	s_and_saveexec_b32 s0, s2
	s_cbranch_execz .LBB51_3
.LBB51_35:                              ;   in Loop: Header=BB51_4 Depth=1
	v_add_co_u32 v7, vcc_lo, v3, s27
	v_add_co_ci_u32_e64 v8, null, 0, v4, vcc_lo
	global_store_dwordx2 v[7:8], v[15:16], off
	s_branch .LBB51_3
.LBB51_36:
	s_cbranch_execz .LBB51_38
	s_branch .LBB51_57
.LBB51_37:
.LBB51_38:
	v_mov_b32_e32 v14, 0
	v_cmp_gt_i64_e64 s0, 0x10000, s[14:15]
	v_lshlrev_b32_e32 v1, 2, v0
	s_mov_b32 s1, 0
	v_mov_b32_e32 v2, v14
	s_and_b32 s0, s0, exec_lo
	s_cselect_b32 s3, s15, 0
	s_cselect_b32 s2, s14, 0x10000
	s_mov_b32 s0, exec_lo
	v_cmpx_gt_i64_e64 s[2:3], v[1:2]
	s_cbranch_execz .LBB51_57
; %bb.39:
	v_cvt_f32_u32_e32 v1, s8
	s_load_dword s0, s[4:5], 0xf54
	v_lshlrev_b32_e32 v3, 5, v0
	v_rcp_iflag_f32_e32 v1, v1
	v_mul_f32_e32 v1, 0x4f7ffffe, v1
	v_cvt_u32_f32_e32 v2, v1
	s_waitcnt lgkmcnt(0)
	s_and_b32 s14, s0, 0xffff
	s_add_u32 s0, s10, s12
	s_addc_u32 s4, s11, s13
	s_sub_i32 s5, 0, s8
	v_add_co_u32 v3, s0, s0, v3
	v_mul_lo_u32 v1, s5, v2
	v_add_co_ci_u32_e64 v5, null, s4, 0, s0
	v_add_co_u32 v16, vcc_lo, v3, 16
	s_lshl_b32 s10, s14, 5
	v_add_co_ci_u32_e64 v17, null, 0, v5, vcc_lo
	v_mul_hi_u32 v4, v2, v1
	v_mov_b32_e32 v1, v14
	s_ashr_i32 s4, s9, 31
	v_add_nc_u32_e32 v18, v2, v4
	s_branch .LBB51_41
.LBB51_40:                              ;   in Loop: Header=BB51_41 Depth=1
	s_or_b32 exec_lo, exec_lo, s0
	v_add_co_u32 v0, vcc_lo, v0, s14
	v_add_co_ci_u32_e64 v1, null, 0, v1, vcc_lo
	global_store_dwordx4 v[16:17], v[6:9], off offset:-16
	global_store_dwordx4 v[16:17], v[10:13], off
	v_add_co_u32 v16, s0, v16, s10
	v_lshlrev_b64 v[2:3], 2, v[0:1]
	v_add_co_ci_u32_e64 v17, null, 0, v17, s0
	v_cmp_le_i64_e32 vcc_lo, s[2:3], v[2:3]
	s_or_b32 s1, vcc_lo, s1
	s_andn2_b32 exec_lo, exec_lo, s1
	s_cbranch_execz .LBB51_57
.LBB51_41:                              ; =>This Inner Loop Header: Depth=1
	s_clause 0x1
	global_load_dwordx4 v[8:11], v[16:17], off offset:-16
	global_load_dwordx4 v[2:5], v[16:17], off
                                        ; implicit-def: $vgpr6_vgpr7
	s_mov_b32 s0, exec_lo
	s_waitcnt vmcnt(1)
	v_or_b32_e32 v15, s9, v9
	v_cmpx_ne_u64_e32 0, v[14:15]
	s_xor_b32 s11, exec_lo, s0
	s_cbranch_execz .LBB51_43
; %bb.42:                               ;   in Loop: Header=BB51_41 Depth=1
	s_add_u32 s6, s8, s4
	s_mov_b32 s5, s4
	s_addc_u32 s7, s9, s4
	v_ashrrev_i32_e32 v15, 31, v9
	s_xor_b64 s[6:7], s[6:7], s[4:5]
	v_cvt_f32_u32_e32 v6, s6
	v_cvt_f32_u32_e32 v7, s7
	s_sub_u32 s0, 0, s6
	s_subb_u32 s13, 0, s7
	v_add_co_u32 v8, vcc_lo, v8, v15
	v_fmac_f32_e32 v6, 0x4f800000, v7
	v_xor_b32_e32 v19, v8, v15
	v_rcp_f32_e32 v6, v6
	v_mul_f32_e32 v6, 0x5f7ffffc, v6
	v_mul_f32_e32 v7, 0x2f800000, v6
	v_trunc_f32_e32 v7, v7
	v_fmac_f32_e32 v6, 0xcf800000, v7
	v_cvt_u32_f32_e32 v7, v7
	v_cvt_u32_f32_e32 v6, v6
	v_readfirstlane_b32 s5, v7
	v_readfirstlane_b32 s12, v6
	s_mul_i32 s15, s0, s5
	v_add_co_ci_u32_e64 v6, null, v9, v15, vcc_lo
	s_mul_hi_u32 s17, s0, s12
	s_mul_i32 s16, s13, s12
	s_add_i32 s15, s17, s15
	s_mul_i32 s18, s0, s12
	s_add_i32 s15, s15, s16
	s_mul_hi_u32 s17, s12, s18
	s_mul_i32 s20, s12, s15
	s_mul_hi_u32 s19, s5, s18
	s_mul_i32 s16, s5, s18
	s_mul_hi_u32 s18, s12, s15
	s_add_u32 s17, s17, s20
	s_addc_u32 s18, 0, s18
	s_mul_hi_u32 s21, s5, s15
	s_add_u32 s16, s17, s16
	s_mul_i32 s15, s5, s15
	s_addc_u32 s16, s18, s19
	s_addc_u32 s17, s21, 0
	s_add_u32 s15, s16, s15
	s_addc_u32 s16, 0, s17
	s_add_u32 s12, s12, s15
	s_cselect_b32 s15, -1, 0
	s_mul_hi_u32 s17, s0, s12
	s_cmp_lg_u32 s15, 0
	s_mul_i32 s15, s0, s12
	s_addc_u32 s5, s5, s16
	s_mul_i32 s13, s13, s12
	s_mul_i32 s0, s0, s5
	s_mul_hi_u32 s16, s12, s15
	s_add_i32 s0, s17, s0
	s_mul_hi_u32 s17, s5, s15
	s_add_i32 s0, s0, s13
	s_mul_i32 s13, s5, s15
	s_mul_i32 s19, s12, s0
	s_mul_hi_u32 s18, s12, s0
	s_add_u32 s16, s16, s19
	s_addc_u32 s18, 0, s18
	s_mul_hi_u32 s15, s5, s0
	s_add_u32 s13, s16, s13
	s_mul_i32 s0, s5, s0
	s_addc_u32 s13, s18, s17
	s_addc_u32 s15, s15, 0
	s_add_u32 s0, s13, s0
	s_addc_u32 s13, 0, s15
	s_add_u32 s0, s12, s0
	s_cselect_b32 s12, -1, 0
	v_xor_b32_e32 v20, v6, v15
	s_cmp_lg_u32 s12, 0
	v_mul_hi_u32 v21, v19, s0
	s_addc_u32 s5, s5, s13
	v_mad_u64_u32 v[6:7], null, v19, s5, 0
	v_mad_u64_u32 v[8:9], null, v20, s0, 0
	;; [unrolled: 1-line block ×3, first 2 shown]
	v_add_co_u32 v6, vcc_lo, v21, v6
	v_add_co_ci_u32_e64 v7, null, 0, v7, vcc_lo
	v_add_co_u32 v6, vcc_lo, v6, v8
	v_add_co_ci_u32_e32 v6, vcc_lo, v7, v9, vcc_lo
	v_add_co_ci_u32_e32 v7, vcc_lo, 0, v13, vcc_lo
	v_add_co_u32 v8, vcc_lo, v6, v12
	v_add_co_ci_u32_e64 v9, null, 0, v7, vcc_lo
	v_mul_lo_u32 v12, s7, v8
	v_mad_u64_u32 v[6:7], null, s6, v8, 0
	v_mul_lo_u32 v13, s6, v9
	v_sub_co_u32 v6, vcc_lo, v19, v6
	v_add3_u32 v7, v7, v13, v12
	v_add_co_u32 v13, s0, v8, 2
	v_add_co_ci_u32_e64 v19, null, 0, v9, s0
	v_sub_nc_u32_e32 v12, v20, v7
	v_sub_co_u32 v21, s0, v6, s6
	v_sub_co_ci_u32_e64 v7, null, v20, v7, vcc_lo
	v_subrev_co_ci_u32_e64 v12, null, s7, v12, vcc_lo
	v_cmp_le_u32_e32 vcc_lo, s6, v21
	v_subrev_co_ci_u32_e64 v12, null, 0, v12, s0
	v_cndmask_b32_e64 v20, 0, -1, vcc_lo
	v_cmp_le_u32_e32 vcc_lo, s7, v12
	v_cndmask_b32_e64 v21, 0, -1, vcc_lo
	v_cmp_le_u32_e32 vcc_lo, s6, v6
	;; [unrolled: 2-line block ×3, first 2 shown]
	v_cndmask_b32_e64 v22, 0, -1, vcc_lo
	v_cmp_eq_u32_e32 vcc_lo, s7, v12
	v_cndmask_b32_e32 v12, v21, v20, vcc_lo
	v_add_co_u32 v20, vcc_lo, v8, 1
	v_add_co_ci_u32_e64 v21, null, 0, v9, vcc_lo
	v_cmp_eq_u32_e32 vcc_lo, s7, v7
	v_cndmask_b32_e32 v6, v22, v6, vcc_lo
	v_cmp_ne_u32_e32 vcc_lo, 0, v12
	v_xor_b32_e32 v12, s4, v15
	v_cmp_ne_u32_e64 s0, 0, v6
	v_cndmask_b32_e32 v6, v20, v13, vcc_lo
	v_cndmask_b32_e32 v7, v21, v19, vcc_lo
	v_cndmask_b32_e64 v6, v8, v6, s0
	v_cndmask_b32_e64 v7, v9, v7, s0
	v_xor_b32_e32 v6, v6, v12
	v_xor_b32_e32 v7, v7, v12
	v_sub_co_u32 v6, vcc_lo, v6, v12
	v_sub_co_ci_u32_e64 v7, null, v7, v12, vcc_lo
.LBB51_43:                              ;   in Loop: Header=BB51_41 Depth=1
	s_andn2_saveexec_b32 s0, s11
	s_cbranch_execz .LBB51_45
; %bb.44:                               ;   in Loop: Header=BB51_41 Depth=1
	v_mul_hi_u32 v6, v8, v18
	v_mul_lo_u32 v7, v6, s8
	v_sub_nc_u32_e32 v7, v8, v7
	v_add_nc_u32_e32 v8, 1, v6
	v_subrev_nc_u32_e32 v9, s8, v7
	v_cmp_le_u32_e32 vcc_lo, s8, v7
	v_cndmask_b32_e32 v7, v7, v9, vcc_lo
	v_cndmask_b32_e32 v6, v6, v8, vcc_lo
	v_cmp_le_u32_e32 vcc_lo, s8, v7
	v_add_nc_u32_e32 v8, 1, v6
	v_mov_b32_e32 v7, v14
	v_cndmask_b32_e32 v6, v6, v8, vcc_lo
.LBB51_45:                              ;   in Loop: Header=BB51_41 Depth=1
	s_or_b32 exec_lo, exec_lo, s0
	v_or_b32_e32 v15, s9, v11
	s_mov_b32 s0, exec_lo
	v_cmpx_ne_u64_e32 0, v[14:15]
	s_xor_b32 s11, exec_lo, s0
	s_cbranch_execz .LBB51_47
; %bb.46:                               ;   in Loop: Header=BB51_41 Depth=1
	s_add_u32 s6, s8, s4
	s_mov_b32 s5, s4
	s_addc_u32 s7, s9, s4
	v_ashrrev_i32_e32 v15, 31, v11
	s_xor_b64 s[6:7], s[6:7], s[4:5]
	v_cvt_f32_u32_e32 v8, s6
	v_cvt_f32_u32_e32 v9, s7
	s_sub_u32 s0, 0, s6
	s_subb_u32 s13, 0, s7
	v_add_co_u32 v10, vcc_lo, v10, v15
	v_fmac_f32_e32 v8, 0x4f800000, v9
	v_xor_b32_e32 v19, v10, v15
	v_rcp_f32_e32 v8, v8
	v_mul_f32_e32 v8, 0x5f7ffffc, v8
	v_mul_f32_e32 v9, 0x2f800000, v8
	v_trunc_f32_e32 v9, v9
	v_fmac_f32_e32 v8, 0xcf800000, v9
	v_cvt_u32_f32_e32 v9, v9
	v_cvt_u32_f32_e32 v8, v8
	v_readfirstlane_b32 s5, v9
	v_readfirstlane_b32 s12, v8
	s_mul_i32 s15, s0, s5
	v_add_co_ci_u32_e64 v8, null, v11, v15, vcc_lo
	s_mul_hi_u32 s17, s0, s12
	s_mul_i32 s16, s13, s12
	s_add_i32 s15, s17, s15
	s_mul_i32 s18, s0, s12
	s_add_i32 s15, s15, s16
	s_mul_hi_u32 s17, s12, s18
	s_mul_i32 s20, s12, s15
	s_mul_hi_u32 s19, s5, s18
	s_mul_i32 s16, s5, s18
	s_mul_hi_u32 s18, s12, s15
	s_add_u32 s17, s17, s20
	s_addc_u32 s18, 0, s18
	s_mul_hi_u32 s21, s5, s15
	s_add_u32 s16, s17, s16
	s_mul_i32 s15, s5, s15
	s_addc_u32 s16, s18, s19
	s_addc_u32 s17, s21, 0
	s_add_u32 s15, s16, s15
	s_addc_u32 s16, 0, s17
	s_add_u32 s12, s12, s15
	s_cselect_b32 s15, -1, 0
	s_mul_hi_u32 s17, s0, s12
	s_cmp_lg_u32 s15, 0
	s_mul_i32 s15, s0, s12
	s_addc_u32 s5, s5, s16
	s_mul_i32 s13, s13, s12
	s_mul_i32 s0, s0, s5
	s_mul_hi_u32 s16, s12, s15
	s_add_i32 s0, s17, s0
	s_mul_hi_u32 s17, s5, s15
	s_add_i32 s0, s0, s13
	s_mul_i32 s13, s5, s15
	s_mul_i32 s19, s12, s0
	s_mul_hi_u32 s18, s12, s0
	s_add_u32 s16, s16, s19
	s_addc_u32 s18, 0, s18
	s_mul_hi_u32 s15, s5, s0
	s_add_u32 s13, s16, s13
	s_mul_i32 s0, s5, s0
	s_addc_u32 s13, s18, s17
	s_addc_u32 s15, s15, 0
	s_add_u32 s0, s13, s0
	s_addc_u32 s13, 0, s15
	s_add_u32 s0, s12, s0
	s_cselect_b32 s12, -1, 0
	v_xor_b32_e32 v20, v8, v15
	s_cmp_lg_u32 s12, 0
	v_mul_hi_u32 v21, v19, s0
	s_addc_u32 s5, s5, s13
	v_mad_u64_u32 v[8:9], null, v19, s5, 0
	v_mad_u64_u32 v[10:11], null, v20, s0, 0
	;; [unrolled: 1-line block ×3, first 2 shown]
	v_add_co_u32 v8, vcc_lo, v21, v8
	v_add_co_ci_u32_e64 v9, null, 0, v9, vcc_lo
	v_add_co_u32 v8, vcc_lo, v8, v10
	v_add_co_ci_u32_e32 v8, vcc_lo, v9, v11, vcc_lo
	v_add_co_ci_u32_e32 v9, vcc_lo, 0, v13, vcc_lo
	v_add_co_u32 v10, vcc_lo, v8, v12
	v_add_co_ci_u32_e64 v11, null, 0, v9, vcc_lo
	v_mul_lo_u32 v12, s7, v10
	v_mad_u64_u32 v[8:9], null, s6, v10, 0
	v_mul_lo_u32 v13, s6, v11
	v_sub_co_u32 v8, vcc_lo, v19, v8
	v_add3_u32 v9, v9, v13, v12
	v_add_co_u32 v13, s0, v10, 2
	v_add_co_ci_u32_e64 v19, null, 0, v11, s0
	v_sub_nc_u32_e32 v12, v20, v9
	v_sub_co_u32 v21, s0, v8, s6
	v_sub_co_ci_u32_e64 v9, null, v20, v9, vcc_lo
	v_subrev_co_ci_u32_e64 v12, null, s7, v12, vcc_lo
	v_cmp_le_u32_e32 vcc_lo, s6, v21
	v_subrev_co_ci_u32_e64 v12, null, 0, v12, s0
	v_cndmask_b32_e64 v20, 0, -1, vcc_lo
	v_cmp_le_u32_e32 vcc_lo, s7, v12
	v_cndmask_b32_e64 v21, 0, -1, vcc_lo
	v_cmp_le_u32_e32 vcc_lo, s6, v8
	v_cndmask_b32_e64 v8, 0, -1, vcc_lo
	v_cmp_le_u32_e32 vcc_lo, s7, v9
	v_cndmask_b32_e64 v22, 0, -1, vcc_lo
	v_cmp_eq_u32_e32 vcc_lo, s7, v12
	v_cndmask_b32_e32 v12, v21, v20, vcc_lo
	v_add_co_u32 v20, vcc_lo, v10, 1
	v_add_co_ci_u32_e64 v21, null, 0, v11, vcc_lo
	v_cmp_eq_u32_e32 vcc_lo, s7, v9
	v_cndmask_b32_e32 v8, v22, v8, vcc_lo
	v_cmp_ne_u32_e32 vcc_lo, 0, v12
	v_xor_b32_e32 v12, s4, v15
	v_cmp_ne_u32_e64 s0, 0, v8
	v_cndmask_b32_e32 v8, v20, v13, vcc_lo
	v_cndmask_b32_e32 v9, v21, v19, vcc_lo
	v_cndmask_b32_e64 v8, v10, v8, s0
	v_cndmask_b32_e64 v9, v11, v9, s0
                                        ; implicit-def: $vgpr10_vgpr11
	v_xor_b32_e32 v8, v8, v12
	v_xor_b32_e32 v9, v9, v12
	v_sub_co_u32 v8, vcc_lo, v8, v12
	v_sub_co_ci_u32_e64 v9, null, v9, v12, vcc_lo
.LBB51_47:                              ;   in Loop: Header=BB51_41 Depth=1
	s_andn2_saveexec_b32 s0, s11
	s_cbranch_execz .LBB51_49
; %bb.48:                               ;   in Loop: Header=BB51_41 Depth=1
	v_mul_hi_u32 v8, v10, v18
	v_mul_lo_u32 v9, v8, s8
	v_sub_nc_u32_e32 v9, v10, v9
	v_add_nc_u32_e32 v10, 1, v8
	v_subrev_nc_u32_e32 v11, s8, v9
	v_cmp_le_u32_e32 vcc_lo, s8, v9
	v_cndmask_b32_e32 v9, v9, v11, vcc_lo
	v_cndmask_b32_e32 v8, v8, v10, vcc_lo
	v_cmp_le_u32_e32 vcc_lo, s8, v9
	v_add_nc_u32_e32 v10, 1, v8
	v_mov_b32_e32 v9, v14
	v_cndmask_b32_e32 v8, v8, v10, vcc_lo
.LBB51_49:                              ;   in Loop: Header=BB51_41 Depth=1
	s_or_b32 exec_lo, exec_lo, s0
	s_waitcnt vmcnt(0)
	v_or_b32_e32 v15, s9, v3
                                        ; implicit-def: $vgpr10_vgpr11
	s_mov_b32 s0, exec_lo
	v_cmpx_ne_u64_e32 0, v[14:15]
	s_xor_b32 s11, exec_lo, s0
	s_cbranch_execz .LBB51_51
; %bb.50:                               ;   in Loop: Header=BB51_41 Depth=1
	s_add_u32 s6, s8, s4
	s_mov_b32 s5, s4
	s_addc_u32 s7, s9, s4
	v_ashrrev_i32_e32 v15, 31, v3
	s_xor_b64 s[6:7], s[6:7], s[4:5]
	v_cvt_f32_u32_e32 v10, s6
	v_cvt_f32_u32_e32 v11, s7
	s_sub_u32 s0, 0, s6
	s_subb_u32 s13, 0, s7
	v_add_co_u32 v2, vcc_lo, v2, v15
	v_fmac_f32_e32 v10, 0x4f800000, v11
	v_add_co_ci_u32_e64 v3, null, v3, v15, vcc_lo
	v_xor_b32_e32 v19, v2, v15
	v_rcp_f32_e32 v10, v10
	v_xor_b32_e32 v20, v3, v15
	v_mul_f32_e32 v10, 0x5f7ffffc, v10
	v_mul_f32_e32 v11, 0x2f800000, v10
	v_trunc_f32_e32 v11, v11
	v_fmac_f32_e32 v10, 0xcf800000, v11
	v_cvt_u32_f32_e32 v11, v11
	v_cvt_u32_f32_e32 v10, v10
	v_readfirstlane_b32 s5, v11
	v_readfirstlane_b32 s12, v10
	s_mul_i32 s15, s0, s5
	s_mul_hi_u32 s17, s0, s12
	s_mul_i32 s16, s13, s12
	s_add_i32 s15, s17, s15
	s_mul_i32 s18, s0, s12
	s_add_i32 s15, s15, s16
	s_mul_hi_u32 s17, s12, s18
	s_mul_i32 s20, s12, s15
	s_mul_hi_u32 s19, s5, s18
	s_mul_i32 s16, s5, s18
	s_mul_hi_u32 s18, s12, s15
	s_add_u32 s17, s17, s20
	s_addc_u32 s18, 0, s18
	s_mul_hi_u32 s21, s5, s15
	s_add_u32 s16, s17, s16
	s_mul_i32 s15, s5, s15
	s_addc_u32 s16, s18, s19
	s_addc_u32 s17, s21, 0
	s_add_u32 s15, s16, s15
	s_addc_u32 s16, 0, s17
	s_add_u32 s12, s12, s15
	s_cselect_b32 s15, -1, 0
	s_mul_hi_u32 s17, s0, s12
	s_cmp_lg_u32 s15, 0
	s_mul_i32 s15, s0, s12
	s_addc_u32 s5, s5, s16
	s_mul_i32 s13, s13, s12
	s_mul_i32 s0, s0, s5
	s_mul_hi_u32 s16, s12, s15
	s_add_i32 s0, s17, s0
	s_mul_hi_u32 s17, s5, s15
	s_add_i32 s0, s0, s13
	s_mul_i32 s13, s5, s15
	s_mul_i32 s19, s12, s0
	s_mul_hi_u32 s18, s12, s0
	s_add_u32 s16, s16, s19
	s_addc_u32 s18, 0, s18
	s_mul_hi_u32 s15, s5, s0
	s_add_u32 s13, s16, s13
	s_mul_i32 s0, s5, s0
	s_addc_u32 s13, s18, s17
	s_addc_u32 s15, s15, 0
	s_add_u32 s0, s13, s0
	s_addc_u32 s13, 0, s15
	s_add_u32 s0, s12, s0
	s_cselect_b32 s12, -1, 0
	v_mul_hi_u32 v21, v19, s0
	s_cmp_lg_u32 s12, 0
	v_mad_u64_u32 v[10:11], null, v20, s0, 0
	s_addc_u32 s5, s5, s13
	v_mad_u64_u32 v[2:3], null, v19, s5, 0
	v_mad_u64_u32 v[12:13], null, v20, s5, 0
	v_add_co_u32 v2, vcc_lo, v21, v2
	v_add_co_ci_u32_e64 v3, null, 0, v3, vcc_lo
	v_add_co_u32 v2, vcc_lo, v2, v10
	v_add_co_ci_u32_e32 v2, vcc_lo, v3, v11, vcc_lo
	v_add_co_ci_u32_e32 v3, vcc_lo, 0, v13, vcc_lo
	v_add_co_u32 v10, vcc_lo, v2, v12
	v_add_co_ci_u32_e64 v11, null, 0, v3, vcc_lo
	v_mul_lo_u32 v12, s7, v10
	v_mad_u64_u32 v[2:3], null, s6, v10, 0
	v_mul_lo_u32 v13, s6, v11
	v_sub_co_u32 v2, vcc_lo, v19, v2
	v_add3_u32 v3, v3, v13, v12
	v_add_co_u32 v13, s0, v10, 2
	v_add_co_ci_u32_e64 v19, null, 0, v11, s0
	v_sub_nc_u32_e32 v12, v20, v3
	v_sub_co_u32 v21, s0, v2, s6
	v_sub_co_ci_u32_e64 v3, null, v20, v3, vcc_lo
	v_subrev_co_ci_u32_e64 v12, null, s7, v12, vcc_lo
	v_cmp_le_u32_e32 vcc_lo, s6, v21
	v_subrev_co_ci_u32_e64 v12, null, 0, v12, s0
	v_cndmask_b32_e64 v20, 0, -1, vcc_lo
	v_cmp_le_u32_e32 vcc_lo, s7, v12
	v_cndmask_b32_e64 v21, 0, -1, vcc_lo
	v_cmp_le_u32_e32 vcc_lo, s6, v2
	;; [unrolled: 2-line block ×3, first 2 shown]
	v_cndmask_b32_e64 v22, 0, -1, vcc_lo
	v_cmp_eq_u32_e32 vcc_lo, s7, v12
	v_cndmask_b32_e32 v12, v21, v20, vcc_lo
	v_add_co_u32 v20, vcc_lo, v10, 1
	v_add_co_ci_u32_e64 v21, null, 0, v11, vcc_lo
	v_cmp_eq_u32_e32 vcc_lo, s7, v3
	v_cndmask_b32_e32 v2, v22, v2, vcc_lo
	v_cmp_ne_u32_e32 vcc_lo, 0, v12
	v_xor_b32_e32 v12, s4, v15
	v_cmp_ne_u32_e64 s0, 0, v2
	v_cndmask_b32_e32 v2, v20, v13, vcc_lo
	v_cndmask_b32_e32 v3, v21, v19, vcc_lo
	v_cndmask_b32_e64 v2, v10, v2, s0
	v_cndmask_b32_e64 v3, v11, v3, s0
	v_xor_b32_e32 v2, v2, v12
	v_xor_b32_e32 v3, v3, v12
	v_sub_co_u32 v10, vcc_lo, v2, v12
	v_sub_co_ci_u32_e64 v11, null, v3, v12, vcc_lo
.LBB51_51:                              ;   in Loop: Header=BB51_41 Depth=1
	s_andn2_saveexec_b32 s0, s11
	s_cbranch_execz .LBB51_53
; %bb.52:                               ;   in Loop: Header=BB51_41 Depth=1
	v_mul_hi_u32 v3, v2, v18
	v_mul_lo_u32 v10, v3, s8
	v_sub_nc_u32_e32 v2, v2, v10
	v_add_nc_u32_e32 v10, 1, v3
	v_subrev_nc_u32_e32 v11, s8, v2
	v_cmp_le_u32_e32 vcc_lo, s8, v2
	v_cndmask_b32_e32 v2, v2, v11, vcc_lo
	v_cndmask_b32_e32 v3, v3, v10, vcc_lo
	v_mov_b32_e32 v11, v14
	v_cmp_le_u32_e32 vcc_lo, s8, v2
	v_add_nc_u32_e32 v10, 1, v3
	v_cndmask_b32_e32 v10, v3, v10, vcc_lo
.LBB51_53:                              ;   in Loop: Header=BB51_41 Depth=1
	s_or_b32 exec_lo, exec_lo, s0
	v_or_b32_e32 v15, s9, v5
	s_mov_b32 s0, exec_lo
	v_cmpx_ne_u64_e32 0, v[14:15]
	s_xor_b32 s11, exec_lo, s0
	s_cbranch_execz .LBB51_55
; %bb.54:                               ;   in Loop: Header=BB51_41 Depth=1
	s_add_u32 s6, s8, s4
	s_mov_b32 s5, s4
	s_addc_u32 s7, s9, s4
	v_ashrrev_i32_e32 v15, 31, v5
	s_xor_b64 s[6:7], s[6:7], s[4:5]
	v_cvt_f32_u32_e32 v2, s6
	v_cvt_f32_u32_e32 v3, s7
	s_sub_u32 s0, 0, s6
	s_subb_u32 s13, 0, s7
	v_add_co_u32 v4, vcc_lo, v4, v15
	v_fmac_f32_e32 v2, 0x4f800000, v3
	v_xor_b32_e32 v19, v4, v15
	v_rcp_f32_e32 v2, v2
	v_mul_f32_e32 v2, 0x5f7ffffc, v2
	v_mul_f32_e32 v3, 0x2f800000, v2
	v_trunc_f32_e32 v3, v3
	v_fmac_f32_e32 v2, 0xcf800000, v3
	v_cvt_u32_f32_e32 v3, v3
	v_cvt_u32_f32_e32 v2, v2
	v_readfirstlane_b32 s5, v3
	v_readfirstlane_b32 s12, v2
	s_mul_i32 s15, s0, s5
	v_add_co_ci_u32_e64 v2, null, v5, v15, vcc_lo
	s_mul_hi_u32 s17, s0, s12
	s_mul_i32 s16, s13, s12
	s_add_i32 s15, s17, s15
	s_mul_i32 s18, s0, s12
	s_add_i32 s15, s15, s16
	s_mul_hi_u32 s17, s12, s18
	s_mul_i32 s20, s12, s15
	s_mul_hi_u32 s19, s5, s18
	s_mul_i32 s16, s5, s18
	s_mul_hi_u32 s18, s12, s15
	s_add_u32 s17, s17, s20
	s_addc_u32 s18, 0, s18
	s_mul_hi_u32 s21, s5, s15
	s_add_u32 s16, s17, s16
	s_mul_i32 s15, s5, s15
	s_addc_u32 s16, s18, s19
	s_addc_u32 s17, s21, 0
	s_add_u32 s15, s16, s15
	s_addc_u32 s16, 0, s17
	s_add_u32 s12, s12, s15
	s_cselect_b32 s15, -1, 0
	s_mul_hi_u32 s17, s0, s12
	s_cmp_lg_u32 s15, 0
	s_mul_i32 s15, s0, s12
	s_addc_u32 s5, s5, s16
	s_mul_i32 s13, s13, s12
	s_mul_i32 s0, s0, s5
	s_mul_hi_u32 s16, s12, s15
	s_add_i32 s0, s17, s0
	s_mul_hi_u32 s17, s5, s15
	s_add_i32 s0, s0, s13
	s_mul_i32 s13, s5, s15
	s_mul_i32 s19, s12, s0
	s_mul_hi_u32 s18, s12, s0
	s_add_u32 s16, s16, s19
	s_addc_u32 s18, 0, s18
	s_mul_hi_u32 s15, s5, s0
	s_add_u32 s13, s16, s13
	s_mul_i32 s0, s5, s0
	s_addc_u32 s13, s18, s17
	s_addc_u32 s15, s15, 0
	s_add_u32 s0, s13, s0
	s_addc_u32 s13, 0, s15
	s_add_u32 s0, s12, s0
	s_cselect_b32 s12, -1, 0
	v_xor_b32_e32 v20, v2, v15
	s_cmp_lg_u32 s12, 0
	v_mul_hi_u32 v21, v19, s0
	s_addc_u32 s5, s5, s13
	v_mad_u64_u32 v[2:3], null, v19, s5, 0
	v_mad_u64_u32 v[4:5], null, v20, s0, 0
	;; [unrolled: 1-line block ×3, first 2 shown]
	v_add_co_u32 v2, vcc_lo, v21, v2
	v_add_co_ci_u32_e64 v3, null, 0, v3, vcc_lo
	v_add_co_u32 v2, vcc_lo, v2, v4
	v_add_co_ci_u32_e32 v2, vcc_lo, v3, v5, vcc_lo
	v_add_co_ci_u32_e32 v3, vcc_lo, 0, v13, vcc_lo
	v_add_co_u32 v4, vcc_lo, v2, v12
	v_add_co_ci_u32_e64 v5, null, 0, v3, vcc_lo
	v_mul_lo_u32 v12, s7, v4
	v_mad_u64_u32 v[2:3], null, s6, v4, 0
	v_mul_lo_u32 v13, s6, v5
	v_sub_co_u32 v2, vcc_lo, v19, v2
	v_add3_u32 v3, v3, v13, v12
	v_add_co_u32 v13, s0, v4, 2
	v_add_co_ci_u32_e64 v19, null, 0, v5, s0
	v_sub_nc_u32_e32 v12, v20, v3
	v_sub_co_u32 v21, s0, v2, s6
	v_sub_co_ci_u32_e64 v3, null, v20, v3, vcc_lo
	v_subrev_co_ci_u32_e64 v12, null, s7, v12, vcc_lo
	v_cmp_le_u32_e32 vcc_lo, s6, v21
	v_subrev_co_ci_u32_e64 v12, null, 0, v12, s0
	v_cndmask_b32_e64 v20, 0, -1, vcc_lo
	v_cmp_le_u32_e32 vcc_lo, s7, v12
	v_cndmask_b32_e64 v21, 0, -1, vcc_lo
	v_cmp_le_u32_e32 vcc_lo, s6, v2
	;; [unrolled: 2-line block ×3, first 2 shown]
	v_cndmask_b32_e64 v22, 0, -1, vcc_lo
	v_cmp_eq_u32_e32 vcc_lo, s7, v12
	v_cndmask_b32_e32 v12, v21, v20, vcc_lo
	v_add_co_u32 v20, vcc_lo, v4, 1
	v_add_co_ci_u32_e64 v21, null, 0, v5, vcc_lo
	v_cmp_eq_u32_e32 vcc_lo, s7, v3
	v_cndmask_b32_e32 v2, v22, v2, vcc_lo
	v_cmp_ne_u32_e32 vcc_lo, 0, v12
	v_cmp_ne_u32_e64 s0, 0, v2
	v_cndmask_b32_e32 v2, v20, v13, vcc_lo
	v_cndmask_b32_e32 v3, v21, v19, vcc_lo
	v_xor_b32_e32 v13, s4, v15
	v_cndmask_b32_e64 v2, v4, v2, s0
	v_cndmask_b32_e64 v3, v5, v3, s0
                                        ; implicit-def: $vgpr4_vgpr5
	v_xor_b32_e32 v2, v2, v13
	v_xor_b32_e32 v3, v3, v13
	v_sub_co_u32 v12, vcc_lo, v2, v13
	v_sub_co_ci_u32_e64 v13, null, v3, v13, vcc_lo
.LBB51_55:                              ;   in Loop: Header=BB51_41 Depth=1
	s_andn2_saveexec_b32 s0, s11
	s_cbranch_execz .LBB51_40
; %bb.56:                               ;   in Loop: Header=BB51_41 Depth=1
	v_mul_hi_u32 v2, v4, v18
	v_mov_b32_e32 v13, v14
	v_mul_lo_u32 v3, v2, s8
	v_sub_nc_u32_e32 v3, v4, v3
	v_add_nc_u32_e32 v4, 1, v2
	v_subrev_nc_u32_e32 v5, s8, v3
	v_cmp_le_u32_e32 vcc_lo, s8, v3
	v_cndmask_b32_e32 v3, v3, v5, vcc_lo
	v_cndmask_b32_e32 v2, v2, v4, vcc_lo
	v_cmp_le_u32_e32 vcc_lo, s8, v3
	v_add_nc_u32_e32 v4, 1, v2
	v_cndmask_b32_e32 v12, v2, v4, vcc_lo
	s_branch .LBB51_40
.LBB51_57:
	s_endpgm
	.section	.rodata,"a",@progbits
	.p2align	6, 0x0
	.amdhsa_kernel _ZN2at6native12_GLOBAL__N_125multi_tensor_apply_kernelINS1_28TensorListScalarListMetadataIlLi1EEENS1_25BinaryOpScalarListFunctorIlLi1ELi1ELi0EEEJSt7dividesIlEEEEvT_T0_DpT1_
		.amdhsa_group_segment_fixed_size 0
		.amdhsa_private_segment_fixed_size 0
		.amdhsa_kernarg_size 4168
		.amdhsa_user_sgpr_count 6
		.amdhsa_user_sgpr_private_segment_buffer 1
		.amdhsa_user_sgpr_dispatch_ptr 0
		.amdhsa_user_sgpr_queue_ptr 0
		.amdhsa_user_sgpr_kernarg_segment_ptr 1
		.amdhsa_user_sgpr_dispatch_id 0
		.amdhsa_user_sgpr_flat_scratch_init 0
		.amdhsa_user_sgpr_private_segment_size 0
		.amdhsa_wavefront_size32 1
		.amdhsa_uses_dynamic_stack 0
		.amdhsa_system_sgpr_private_segment_wavefront_offset 0
		.amdhsa_system_sgpr_workgroup_id_x 1
		.amdhsa_system_sgpr_workgroup_id_y 0
		.amdhsa_system_sgpr_workgroup_id_z 0
		.amdhsa_system_sgpr_workgroup_info 0
		.amdhsa_system_vgpr_workitem_id 0
		.amdhsa_next_free_vgpr 29
		.amdhsa_next_free_sgpr 41
		.amdhsa_reserve_vcc 1
		.amdhsa_reserve_flat_scratch 0
		.amdhsa_float_round_mode_32 0
		.amdhsa_float_round_mode_16_64 0
		.amdhsa_float_denorm_mode_32 3
		.amdhsa_float_denorm_mode_16_64 3
		.amdhsa_dx10_clamp 1
		.amdhsa_ieee_mode 1
		.amdhsa_fp16_overflow 0
		.amdhsa_workgroup_processor_mode 1
		.amdhsa_memory_ordered 1
		.amdhsa_forward_progress 1
		.amdhsa_shared_vgpr_count 0
		.amdhsa_exception_fp_ieee_invalid_op 0
		.amdhsa_exception_fp_denorm_src 0
		.amdhsa_exception_fp_ieee_div_zero 0
		.amdhsa_exception_fp_ieee_overflow 0
		.amdhsa_exception_fp_ieee_underflow 0
		.amdhsa_exception_fp_ieee_inexact 0
		.amdhsa_exception_int_div_zero 0
	.end_amdhsa_kernel
	.section	.text._ZN2at6native12_GLOBAL__N_125multi_tensor_apply_kernelINS1_28TensorListScalarListMetadataIlLi1EEENS1_25BinaryOpScalarListFunctorIlLi1ELi1ELi0EEEJSt7dividesIlEEEEvT_T0_DpT1_,"axG",@progbits,_ZN2at6native12_GLOBAL__N_125multi_tensor_apply_kernelINS1_28TensorListScalarListMetadataIlLi1EEENS1_25BinaryOpScalarListFunctorIlLi1ELi1ELi0EEEJSt7dividesIlEEEEvT_T0_DpT1_,comdat
.Lfunc_end51:
	.size	_ZN2at6native12_GLOBAL__N_125multi_tensor_apply_kernelINS1_28TensorListScalarListMetadataIlLi1EEENS1_25BinaryOpScalarListFunctorIlLi1ELi1ELi0EEEJSt7dividesIlEEEEvT_T0_DpT1_, .Lfunc_end51-_ZN2at6native12_GLOBAL__N_125multi_tensor_apply_kernelINS1_28TensorListScalarListMetadataIlLi1EEENS1_25BinaryOpScalarListFunctorIlLi1ELi1ELi0EEEJSt7dividesIlEEEEvT_T0_DpT1_
                                        ; -- End function
	.set _ZN2at6native12_GLOBAL__N_125multi_tensor_apply_kernelINS1_28TensorListScalarListMetadataIlLi1EEENS1_25BinaryOpScalarListFunctorIlLi1ELi1ELi0EEEJSt7dividesIlEEEEvT_T0_DpT1_.num_vgpr, 29
	.set _ZN2at6native12_GLOBAL__N_125multi_tensor_apply_kernelINS1_28TensorListScalarListMetadataIlLi1EEENS1_25BinaryOpScalarListFunctorIlLi1ELi1ELi0EEEJSt7dividesIlEEEEvT_T0_DpT1_.num_agpr, 0
	.set _ZN2at6native12_GLOBAL__N_125multi_tensor_apply_kernelINS1_28TensorListScalarListMetadataIlLi1EEENS1_25BinaryOpScalarListFunctorIlLi1ELi1ELi0EEEJSt7dividesIlEEEEvT_T0_DpT1_.numbered_sgpr, 41
	.set _ZN2at6native12_GLOBAL__N_125multi_tensor_apply_kernelINS1_28TensorListScalarListMetadataIlLi1EEENS1_25BinaryOpScalarListFunctorIlLi1ELi1ELi0EEEJSt7dividesIlEEEEvT_T0_DpT1_.num_named_barrier, 0
	.set _ZN2at6native12_GLOBAL__N_125multi_tensor_apply_kernelINS1_28TensorListScalarListMetadataIlLi1EEENS1_25BinaryOpScalarListFunctorIlLi1ELi1ELi0EEEJSt7dividesIlEEEEvT_T0_DpT1_.private_seg_size, 0
	.set _ZN2at6native12_GLOBAL__N_125multi_tensor_apply_kernelINS1_28TensorListScalarListMetadataIlLi1EEENS1_25BinaryOpScalarListFunctorIlLi1ELi1ELi0EEEJSt7dividesIlEEEEvT_T0_DpT1_.uses_vcc, 1
	.set _ZN2at6native12_GLOBAL__N_125multi_tensor_apply_kernelINS1_28TensorListScalarListMetadataIlLi1EEENS1_25BinaryOpScalarListFunctorIlLi1ELi1ELi0EEEJSt7dividesIlEEEEvT_T0_DpT1_.uses_flat_scratch, 0
	.set _ZN2at6native12_GLOBAL__N_125multi_tensor_apply_kernelINS1_28TensorListScalarListMetadataIlLi1EEENS1_25BinaryOpScalarListFunctorIlLi1ELi1ELi0EEEJSt7dividesIlEEEEvT_T0_DpT1_.has_dyn_sized_stack, 0
	.set _ZN2at6native12_GLOBAL__N_125multi_tensor_apply_kernelINS1_28TensorListScalarListMetadataIlLi1EEENS1_25BinaryOpScalarListFunctorIlLi1ELi1ELi0EEEJSt7dividesIlEEEEvT_T0_DpT1_.has_recursion, 0
	.set _ZN2at6native12_GLOBAL__N_125multi_tensor_apply_kernelINS1_28TensorListScalarListMetadataIlLi1EEENS1_25BinaryOpScalarListFunctorIlLi1ELi1ELi0EEEJSt7dividesIlEEEEvT_T0_DpT1_.has_indirect_call, 0
	.section	.AMDGPU.csdata,"",@progbits
; Kernel info:
; codeLenInByte = 7000
; TotalNumSgprs: 43
; NumVgprs: 29
; ScratchSize: 0
; MemoryBound: 1
; FloatMode: 240
; IeeeMode: 1
; LDSByteSize: 0 bytes/workgroup (compile time only)
; SGPRBlocks: 0
; VGPRBlocks: 3
; NumSGPRsForWavesPerEU: 43
; NumVGPRsForWavesPerEU: 29
; Occupancy: 16
; WaveLimiterHint : 1
; COMPUTE_PGM_RSRC2:SCRATCH_EN: 0
; COMPUTE_PGM_RSRC2:USER_SGPR: 6
; COMPUTE_PGM_RSRC2:TRAP_HANDLER: 0
; COMPUTE_PGM_RSRC2:TGID_X_EN: 1
; COMPUTE_PGM_RSRC2:TGID_Y_EN: 0
; COMPUTE_PGM_RSRC2:TGID_Z_EN: 0
; COMPUTE_PGM_RSRC2:TIDIG_COMP_CNT: 0
	.section	.text._ZN2at6native12_GLOBAL__N_125multi_tensor_apply_kernelINS1_28TensorListScalarListMetadataIsLi1EEENS1_25BinaryOpScalarListFunctorIsLi1ELi1ELi0EEEJSt7dividesIsEEEEvT_T0_DpT1_,"axG",@progbits,_ZN2at6native12_GLOBAL__N_125multi_tensor_apply_kernelINS1_28TensorListScalarListMetadataIsLi1EEENS1_25BinaryOpScalarListFunctorIsLi1ELi1ELi0EEEJSt7dividesIsEEEEvT_T0_DpT1_,comdat
	.globl	_ZN2at6native12_GLOBAL__N_125multi_tensor_apply_kernelINS1_28TensorListScalarListMetadataIsLi1EEENS1_25BinaryOpScalarListFunctorIsLi1ELi1ELi0EEEJSt7dividesIsEEEEvT_T0_DpT1_ ; -- Begin function _ZN2at6native12_GLOBAL__N_125multi_tensor_apply_kernelINS1_28TensorListScalarListMetadataIsLi1EEENS1_25BinaryOpScalarListFunctorIsLi1ELi1ELi0EEEJSt7dividesIsEEEEvT_T0_DpT1_
	.p2align	8
	.type	_ZN2at6native12_GLOBAL__N_125multi_tensor_apply_kernelINS1_28TensorListScalarListMetadataIsLi1EEENS1_25BinaryOpScalarListFunctorIsLi1ELi1ELi0EEEJSt7dividesIsEEEEvT_T0_DpT1_,@function
_ZN2at6native12_GLOBAL__N_125multi_tensor_apply_kernelINS1_28TensorListScalarListMetadataIsLi1EEENS1_25BinaryOpScalarListFunctorIsLi1ELi1ELi0EEEJSt7dividesIsEEEEvT_T0_DpT1_: ; @_ZN2at6native12_GLOBAL__N_125multi_tensor_apply_kernelINS1_28TensorListScalarListMetadataIsLi1EEENS1_25BinaryOpScalarListFunctorIsLi1ELi1ELi0EEEJSt7dividesIsEEEEvT_T0_DpT1_
; %bb.0:
	v_mov_b32_e32 v1, s6
	s_add_u32 s0, s4, s6
	s_mul_i32 s1, s6, 3
	s_mul_hi_u32 s2, s6, 3
	s_addc_u32 s3, s5, 0
	global_load_ubyte v1, v1, s[4:5] offset:1728
	s_add_u32 s0, s0, s1
	s_addc_u32 s1, s3, s2
	s_mov_b32 s13, 0
	s_load_dword s0, s[0:1], 0x800
	s_waitcnt vmcnt(0)
	v_readfirstlane_b32 s1, v1
	v_mul_lo_u32 v2, v1, -6
	v_mul_hi_i32 v3, v1, -6
	s_lshl_b32 s6, s1, 3
	s_waitcnt lgkmcnt(0)
	s_ashr_i32 s1, s0, 31
	s_add_u32 s7, s4, s6
	s_addc_u32 s8, s5, 0
	v_add_co_u32 v1, vcc_lo, s7, v2
	v_add_co_ci_u32_e64 v2, null, s8, v3, vcc_lo
	s_load_dwordx2 s[2:3], s[4:5], s6 offset:0x300
	s_lshl_b64 s[8:9], s[0:1], 17
	s_lshl_b64 s[0:1], s[0:1], 16
	global_load_sshort v5, v[1:2], off offset:1536
	s_load_dwordx2 s[6:7], s[4:5], s6 offset:0x0
	s_waitcnt lgkmcnt(0)
	s_and_b32 s12, s6, 7
	s_sub_u32 s10, s2, s0
	s_subb_u32 s11, s3, s1
	s_and_b32 s0, s2, 3
	s_mov_b32 s1, s13
	s_or_b64 s[0:1], s[12:13], s[0:1]
	s_cmp_eq_u64 s[0:1], 0
	s_cbranch_scc1 .LBB52_21
; %bb.1:
	v_cmp_lt_i64_e64 s0, s[10:11], 1
	s_and_b32 vcc_lo, exec_lo, s0
	s_cbranch_vccnz .LBB52_20
; %bb.2:
	s_load_dword s0, s[4:5], 0xd14
	v_cmp_gt_i64_e64 s1, 0x10000, s[10:11]
	v_cmp_gt_u64_e64 s2, 0x10000, s[10:11]
	s_waitcnt vmcnt(0)
	v_cvt_f32_i32_e32 v6, v5
	v_lshlrev_b32_e32 v1, 1, v0
	s_and_b32 s1, s1, exec_lo
	s_cselect_b32 s13, s11, 0
	s_cselect_b32 s12, s10, 0x10000
	v_rcp_iflag_f32_e32 v7, v6
	s_waitcnt lgkmcnt(0)
	s_and_b32 s0, s0, 0xffff
	s_and_b32 s1, s2, exec_lo
	v_add_co_u32 v8, s3, v0, s0
	s_cselect_b32 s15, s11, 0
	s_cselect_b32 s14, s10, 0x10000
	s_lshl_b32 s1, s0, 1
	v_lshlrev_b32_e32 v3, 1, v8
	s_lshl_b32 s18, s0, 2
	s_mul_i32 s2, s0, 3
	s_add_u32 s16, s6, s8
	v_add_co_u32 v12, s1, s1, v0
	s_addc_u32 s17, s7, s9
	v_add_co_u32 v1, s19, s16, v1
	v_add_co_u32 v9, s2, s2, v0
	v_add_co_ci_u32_e64 v13, null, 0, 0, s1
	v_add_co_u32 v3, s1, s16, v3
	v_add_co_ci_u32_e64 v2, null, s17, 0, s19
	v_add_co_ci_u32_e64 v10, null, 0, 0, s2
	;; [unrolled: 1-line block ×4, first 2 shown]
	s_lshl_b32 s19, s0, 3
	s_mul_i32 s20, s0, 6
	s_mov_b64 s[16:17], 0
	s_branch .LBB52_4
.LBB52_3:                               ;   in Loop: Header=BB52_4 Depth=1
	s_or_b32 exec_lo, exec_lo, s0
	s_add_u32 s16, s16, s18
	s_addc_u32 s17, s17, 0
	v_add_co_u32 v1, vcc_lo, v1, s19
	v_cmp_lt_i64_e64 s0, s[16:17], s[12:13]
	v_add_co_ci_u32_e64 v2, null, 0, v2, vcc_lo
	v_add_co_u32 v3, vcc_lo, v3, s19
	v_add_co_ci_u32_e64 v4, null, 0, v4, vcc_lo
	s_and_b32 vcc_lo, exec_lo, s0
	s_cbranch_vccz .LBB52_20
.LBB52_4:                               ; =>This Inner Loop Header: Depth=1
	s_waitcnt vmcnt(0)
	v_add_co_u32 v14, s0, v0, s16
	v_add_co_ci_u32_e64 v15, null, 0, s17, s0
	v_mov_b32_e32 v17, 0
	v_cmp_gt_u64_e64 s2, s[14:15], v[14:15]
	s_and_saveexec_b32 s0, s2
	s_cbranch_execz .LBB52_6
; %bb.5:                                ;   in Loop: Header=BB52_4 Depth=1
	global_load_sshort v17, v[1:2], off
.LBB52_6:                               ;   in Loop: Header=BB52_4 Depth=1
	s_or_b32 exec_lo, exec_lo, s0
	v_add_co_u32 v14, vcc_lo, v8, s16
	v_add_co_ci_u32_e64 v15, null, s17, v11, vcc_lo
	v_mov_b32_e32 v16, 0
	v_cmp_gt_u64_e64 s1, s[14:15], v[14:15]
	v_mov_b32_e32 v14, 0
	s_and_saveexec_b32 s0, s1
	s_cbranch_execz .LBB52_8
; %bb.7:                                ;   in Loop: Header=BB52_4 Depth=1
	global_load_sshort v16, v[3:4], off
.LBB52_8:                               ;   in Loop: Header=BB52_4 Depth=1
	s_or_b32 exec_lo, exec_lo, s0
	v_add_co_u32 v18, vcc_lo, v12, s16
	v_add_co_ci_u32_e64 v19, null, s17, v13, vcc_lo
	v_cmp_gt_u64_e64 s0, s[14:15], v[18:19]
	s_and_saveexec_b32 s3, s0
	s_cbranch_execz .LBB52_10
; %bb.9:                                ;   in Loop: Header=BB52_4 Depth=1
	v_add_co_u32 v14, vcc_lo, v1, s18
	v_add_co_ci_u32_e64 v15, null, 0, v2, vcc_lo
	global_load_sshort v14, v[14:15], off
.LBB52_10:                              ;   in Loop: Header=BB52_4 Depth=1
	s_or_b32 exec_lo, exec_lo, s3
	v_add_co_u32 v18, vcc_lo, v9, s16
	v_add_co_ci_u32_e64 v19, null, s17, v10, vcc_lo
	v_mov_b32_e32 v15, 0
	v_cmp_gt_u64_e32 vcc_lo, s[14:15], v[18:19]
	s_and_saveexec_b32 s21, vcc_lo
	s_cbranch_execnz .LBB52_15
; %bb.11:                               ;   in Loop: Header=BB52_4 Depth=1
	s_or_b32 exec_lo, exec_lo, s21
	s_and_saveexec_b32 s3, s2
	s_cbranch_execnz .LBB52_16
.LBB52_12:                              ;   in Loop: Header=BB52_4 Depth=1
	s_or_b32 exec_lo, exec_lo, s3
	s_and_saveexec_b32 s2, s1
	s_cbranch_execnz .LBB52_17
.LBB52_13:                              ;   in Loop: Header=BB52_4 Depth=1
	s_or_b32 exec_lo, exec_lo, s2
	s_and_saveexec_b32 s1, s0
	s_cbranch_execnz .LBB52_18
.LBB52_14:                              ;   in Loop: Header=BB52_4 Depth=1
	s_or_b32 exec_lo, exec_lo, s1
	s_and_saveexec_b32 s0, vcc_lo
	s_cbranch_execz .LBB52_3
	s_branch .LBB52_19
.LBB52_15:                              ;   in Loop: Header=BB52_4 Depth=1
	v_add_co_u32 v18, s3, v1, s20
	v_add_co_ci_u32_e64 v19, null, 0, v2, s3
	global_load_sshort v15, v[18:19], off
	s_or_b32 exec_lo, exec_lo, s21
	s_and_saveexec_b32 s3, s2
	s_cbranch_execz .LBB52_12
.LBB52_16:                              ;   in Loop: Header=BB52_4 Depth=1
	s_waitcnt vmcnt(0)
	v_cvt_f32_i32_e32 v18, v17
	v_xor_b32_e32 v17, v17, v5
	v_mul_f32_e32 v19, v18, v7
	v_ashrrev_i32_e32 v17, 30, v17
	v_trunc_f32_e32 v19, v19
	v_or_b32_e32 v17, 1, v17
	v_fma_f32 v18, -v19, v6, v18
	v_cvt_i32_f32_e32 v19, v19
	v_cmp_ge_f32_e64 s2, |v18|, |v6|
	v_cndmask_b32_e64 v17, 0, v17, s2
	v_add_nc_u32_e32 v17, v19, v17
	global_store_short v[1:2], v17, off
	s_or_b32 exec_lo, exec_lo, s3
	s_and_saveexec_b32 s2, s1
	s_cbranch_execz .LBB52_13
.LBB52_17:                              ;   in Loop: Header=BB52_4 Depth=1
	s_waitcnt vmcnt(0)
	v_cvt_f32_i32_e32 v17, v16
	v_xor_b32_e32 v16, v16, v5
	v_mul_f32_e32 v18, v17, v7
	v_ashrrev_i32_e32 v16, 30, v16
	v_trunc_f32_e32 v18, v18
	v_or_b32_e32 v16, 1, v16
	v_fma_f32 v17, -v18, v6, v17
	v_cvt_i32_f32_e32 v18, v18
	v_cmp_ge_f32_e64 s1, |v17|, |v6|
	v_cndmask_b32_e64 v16, 0, v16, s1
	v_add_nc_u32_e32 v16, v18, v16
	global_store_short v[3:4], v16, off
	s_or_b32 exec_lo, exec_lo, s2
	s_and_saveexec_b32 s1, s0
	s_cbranch_execz .LBB52_14
.LBB52_18:                              ;   in Loop: Header=BB52_4 Depth=1
	s_waitcnt vmcnt(0)
	v_cvt_f32_i32_e32 v16, v14
	v_xor_b32_e32 v14, v14, v5
	v_mul_f32_e32 v17, v16, v7
	v_ashrrev_i32_e32 v14, 30, v14
	v_trunc_f32_e32 v17, v17
	v_or_b32_e32 v14, 1, v14
	v_fma_f32 v16, -v17, v6, v16
	v_cvt_i32_f32_e32 v17, v17
	v_cmp_ge_f32_e64 s0, |v16|, |v6|
	v_cndmask_b32_e64 v14, 0, v14, s0
	v_add_co_u32 v16, s0, v1, s18
	v_add_nc_u32_e32 v14, v17, v14
	v_add_co_ci_u32_e64 v17, null, 0, v2, s0
	global_store_short v[16:17], v14, off
	s_or_b32 exec_lo, exec_lo, s1
	s_and_saveexec_b32 s0, vcc_lo
	s_cbranch_execz .LBB52_3
.LBB52_19:                              ;   in Loop: Header=BB52_4 Depth=1
	s_waitcnt vmcnt(0)
	v_cvt_f32_i32_e32 v14, v15
	v_xor_b32_e32 v15, v15, v5
	v_mul_f32_e32 v16, v14, v7
	v_ashrrev_i32_e32 v15, 30, v15
	v_trunc_f32_e32 v16, v16
	v_or_b32_e32 v15, 1, v15
	v_fma_f32 v14, -v16, v6, v14
	v_cvt_i32_f32_e32 v16, v16
	v_cmp_ge_f32_e64 vcc_lo, |v14|, |v6|
	v_cndmask_b32_e32 v14, 0, v15, vcc_lo
	v_add_nc_u32_e32 v16, v16, v14
	v_add_co_u32 v14, vcc_lo, v1, s20
	v_add_co_ci_u32_e64 v15, null, 0, v2, vcc_lo
	global_store_short v[14:15], v16, off
	s_branch .LBB52_3
.LBB52_20:
	s_cbranch_execz .LBB52_22
	s_branch .LBB52_25
.LBB52_21:
.LBB52_22:
	v_cmp_gt_i64_e64 s0, 0x10000, s[10:11]
	v_mov_b32_e32 v2, 0
	v_lshlrev_b32_e32 v1, 2, v0
	s_mov_b32 s1, 0
	s_and_b32 s0, s0, exec_lo
	s_cselect_b32 s3, s11, 0
	s_cselect_b32 s2, s10, 0x10000
	s_mov_b32 s0, exec_lo
	v_cmpx_gt_i64_e64 s[2:3], v[1:2]
	s_cbranch_execz .LBB52_25
; %bb.23:
	s_load_dword s0, s[4:5], 0xd14
	s_waitcnt vmcnt(0)
	v_cvt_f32_i32_e32 v4, v5
	v_mov_b32_e32 v1, v2
	v_lshlrev_b32_e32 v2, 3, v0
	v_rcp_iflag_f32_e32 v6, v4
	s_waitcnt lgkmcnt(0)
	s_and_b32 s4, s0, 0xffff
	s_add_u32 s0, s6, s8
	s_addc_u32 s5, s7, s9
	v_add_co_u32 v2, s0, s0, v2
	v_add_co_ci_u32_e64 v3, null, s5, 0, s0
	s_lshl_b32 s5, s4, 3
.LBB52_24:                              ; =>This Inner Loop Header: Depth=1
	global_load_dwordx2 v[7:8], v[2:3], off
	s_waitcnt vmcnt(0)
	v_cvt_f32_i32_sdwa v10, sext(v7) dst_sel:DWORD dst_unused:UNUSED_PAD src0_sel:WORD_0
	v_cvt_f32_i32_sdwa v12, sext(v7) dst_sel:DWORD dst_unused:UNUSED_PAD src0_sel:WORD_1
	v_xor_b32_sdwa v9, sext(v7), v5 dst_sel:DWORD dst_unused:UNUSED_PAD src0_sel:WORD_0 src1_sel:DWORD
	v_xor_b32_sdwa v11, sext(v7), v5 dst_sel:DWORD dst_unused:UNUSED_PAD src0_sel:WORD_1 src1_sel:DWORD
	v_alignbit_b32 v7, v8, v7, 16
	v_mul_f32_e32 v14, v10, v6
	v_xor_b32_sdwa v13, sext(v8), v5 dst_sel:DWORD dst_unused:UNUSED_PAD src0_sel:WORD_1 src1_sel:DWORD
	v_cvt_f32_i32_sdwa v8, sext(v8) dst_sel:DWORD dst_unused:UNUSED_PAD src0_sel:WORD_1
	v_mul_f32_e32 v15, v12, v6
	v_ashrrev_i32_e32 v9, 30, v9
	v_trunc_f32_e32 v14, v14
	v_xor_b32_sdwa v16, sext(v7), v5 dst_sel:DWORD dst_unused:UNUSED_PAD src0_sel:WORD_1 src1_sel:DWORD
	v_cvt_f32_i32_sdwa v7, sext(v7) dst_sel:DWORD dst_unused:UNUSED_PAD src0_sel:WORD_1
	v_mul_f32_e32 v17, v8, v6
	v_trunc_f32_e32 v15, v15
	v_fma_f32 v10, -v14, v4, v10
	v_ashrrev_i32_e32 v11, 30, v11
	v_or_b32_e32 v9, 1, v9
	v_mul_f32_e32 v18, v7, v6
	v_trunc_f32_e32 v17, v17
	v_fma_f32 v12, -v15, v4, v12
	v_cmp_ge_f32_e64 vcc_lo, |v10|, |v4|
	v_ashrrev_i32_e32 v13, 30, v13
	v_or_b32_e32 v11, 1, v11
	v_trunc_f32_e32 v18, v18
	v_fma_f32 v8, -v17, v4, v8
	v_cndmask_b32_e32 v9, 0, v9, vcc_lo
	v_cmp_ge_f32_e64 vcc_lo, |v12|, |v4|
	v_ashrrev_i32_e32 v16, 30, v16
	v_or_b32_e32 v13, 1, v13
	v_fma_f32 v7, -v18, v4, v7
	v_cvt_i32_f32_e32 v14, v14
	v_cndmask_b32_e32 v10, 0, v11, vcc_lo
	v_cmp_ge_f32_e64 vcc_lo, |v8|, |v4|
	v_or_b32_e32 v16, 1, v16
	v_cvt_i32_f32_e32 v15, v15
	v_cvt_i32_f32_e32 v17, v17
	;; [unrolled: 1-line block ×3, first 2 shown]
	v_cndmask_b32_e32 v8, 0, v13, vcc_lo
	v_cmp_ge_f32_e64 vcc_lo, |v7|, |v4|
	v_add_nc_u32_e32 v9, v14, v9
	v_add_nc_u32_e32 v10, v15, v10
	;; [unrolled: 1-line block ×3, first 2 shown]
	v_cndmask_b32_e32 v7, 0, v16, vcc_lo
	v_add_co_u32 v0, vcc_lo, v0, s4
	v_add_co_ci_u32_e64 v1, null, 0, v1, vcc_lo
	v_add_nc_u32_e32 v11, v11, v7
	v_perm_b32 v9, v10, v9, 0x5040100
	v_lshlrev_b64 v[7:8], 2, v[0:1]
	v_perm_b32 v10, v12, v11, 0x5040100
	v_cmp_le_i64_e32 vcc_lo, s[2:3], v[7:8]
	global_store_dwordx2 v[2:3], v[9:10], off
	v_add_co_u32 v2, s0, v2, s5
	v_add_co_ci_u32_e64 v3, null, 0, v3, s0
	s_or_b32 s1, vcc_lo, s1
	s_andn2_b32 exec_lo, exec_lo, s1
	s_cbranch_execnz .LBB52_24
.LBB52_25:
	s_endpgm
	.section	.rodata,"a",@progbits
	.p2align	6, 0x0
	.amdhsa_kernel _ZN2at6native12_GLOBAL__N_125multi_tensor_apply_kernelINS1_28TensorListScalarListMetadataIsLi1EEENS1_25BinaryOpScalarListFunctorIsLi1ELi1ELi0EEEJSt7dividesIsEEEEvT_T0_DpT1_
		.amdhsa_group_segment_fixed_size 0
		.amdhsa_private_segment_fixed_size 0
		.amdhsa_kernarg_size 3592
		.amdhsa_user_sgpr_count 6
		.amdhsa_user_sgpr_private_segment_buffer 1
		.amdhsa_user_sgpr_dispatch_ptr 0
		.amdhsa_user_sgpr_queue_ptr 0
		.amdhsa_user_sgpr_kernarg_segment_ptr 1
		.amdhsa_user_sgpr_dispatch_id 0
		.amdhsa_user_sgpr_flat_scratch_init 0
		.amdhsa_user_sgpr_private_segment_size 0
		.amdhsa_wavefront_size32 1
		.amdhsa_uses_dynamic_stack 0
		.amdhsa_system_sgpr_private_segment_wavefront_offset 0
		.amdhsa_system_sgpr_workgroup_id_x 1
		.amdhsa_system_sgpr_workgroup_id_y 0
		.amdhsa_system_sgpr_workgroup_id_z 0
		.amdhsa_system_sgpr_workgroup_info 0
		.amdhsa_system_vgpr_workitem_id 0
		.amdhsa_next_free_vgpr 20
		.amdhsa_next_free_sgpr 22
		.amdhsa_reserve_vcc 1
		.amdhsa_reserve_flat_scratch 0
		.amdhsa_float_round_mode_32 0
		.amdhsa_float_round_mode_16_64 0
		.amdhsa_float_denorm_mode_32 3
		.amdhsa_float_denorm_mode_16_64 3
		.amdhsa_dx10_clamp 1
		.amdhsa_ieee_mode 1
		.amdhsa_fp16_overflow 0
		.amdhsa_workgroup_processor_mode 1
		.amdhsa_memory_ordered 1
		.amdhsa_forward_progress 1
		.amdhsa_shared_vgpr_count 0
		.amdhsa_exception_fp_ieee_invalid_op 0
		.amdhsa_exception_fp_denorm_src 0
		.amdhsa_exception_fp_ieee_div_zero 0
		.amdhsa_exception_fp_ieee_overflow 0
		.amdhsa_exception_fp_ieee_underflow 0
		.amdhsa_exception_fp_ieee_inexact 0
		.amdhsa_exception_int_div_zero 0
	.end_amdhsa_kernel
	.section	.text._ZN2at6native12_GLOBAL__N_125multi_tensor_apply_kernelINS1_28TensorListScalarListMetadataIsLi1EEENS1_25BinaryOpScalarListFunctorIsLi1ELi1ELi0EEEJSt7dividesIsEEEEvT_T0_DpT1_,"axG",@progbits,_ZN2at6native12_GLOBAL__N_125multi_tensor_apply_kernelINS1_28TensorListScalarListMetadataIsLi1EEENS1_25BinaryOpScalarListFunctorIsLi1ELi1ELi0EEEJSt7dividesIsEEEEvT_T0_DpT1_,comdat
.Lfunc_end52:
	.size	_ZN2at6native12_GLOBAL__N_125multi_tensor_apply_kernelINS1_28TensorListScalarListMetadataIsLi1EEENS1_25BinaryOpScalarListFunctorIsLi1ELi1ELi0EEEJSt7dividesIsEEEEvT_T0_DpT1_, .Lfunc_end52-_ZN2at6native12_GLOBAL__N_125multi_tensor_apply_kernelINS1_28TensorListScalarListMetadataIsLi1EEENS1_25BinaryOpScalarListFunctorIsLi1ELi1ELi0EEEJSt7dividesIsEEEEvT_T0_DpT1_
                                        ; -- End function
	.set _ZN2at6native12_GLOBAL__N_125multi_tensor_apply_kernelINS1_28TensorListScalarListMetadataIsLi1EEENS1_25BinaryOpScalarListFunctorIsLi1ELi1ELi0EEEJSt7dividesIsEEEEvT_T0_DpT1_.num_vgpr, 20
	.set _ZN2at6native12_GLOBAL__N_125multi_tensor_apply_kernelINS1_28TensorListScalarListMetadataIsLi1EEENS1_25BinaryOpScalarListFunctorIsLi1ELi1ELi0EEEJSt7dividesIsEEEEvT_T0_DpT1_.num_agpr, 0
	.set _ZN2at6native12_GLOBAL__N_125multi_tensor_apply_kernelINS1_28TensorListScalarListMetadataIsLi1EEENS1_25BinaryOpScalarListFunctorIsLi1ELi1ELi0EEEJSt7dividesIsEEEEvT_T0_DpT1_.numbered_sgpr, 22
	.set _ZN2at6native12_GLOBAL__N_125multi_tensor_apply_kernelINS1_28TensorListScalarListMetadataIsLi1EEENS1_25BinaryOpScalarListFunctorIsLi1ELi1ELi0EEEJSt7dividesIsEEEEvT_T0_DpT1_.num_named_barrier, 0
	.set _ZN2at6native12_GLOBAL__N_125multi_tensor_apply_kernelINS1_28TensorListScalarListMetadataIsLi1EEENS1_25BinaryOpScalarListFunctorIsLi1ELi1ELi0EEEJSt7dividesIsEEEEvT_T0_DpT1_.private_seg_size, 0
	.set _ZN2at6native12_GLOBAL__N_125multi_tensor_apply_kernelINS1_28TensorListScalarListMetadataIsLi1EEENS1_25BinaryOpScalarListFunctorIsLi1ELi1ELi0EEEJSt7dividesIsEEEEvT_T0_DpT1_.uses_vcc, 1
	.set _ZN2at6native12_GLOBAL__N_125multi_tensor_apply_kernelINS1_28TensorListScalarListMetadataIsLi1EEENS1_25BinaryOpScalarListFunctorIsLi1ELi1ELi0EEEJSt7dividesIsEEEEvT_T0_DpT1_.uses_flat_scratch, 0
	.set _ZN2at6native12_GLOBAL__N_125multi_tensor_apply_kernelINS1_28TensorListScalarListMetadataIsLi1EEENS1_25BinaryOpScalarListFunctorIsLi1ELi1ELi0EEEJSt7dividesIsEEEEvT_T0_DpT1_.has_dyn_sized_stack, 0
	.set _ZN2at6native12_GLOBAL__N_125multi_tensor_apply_kernelINS1_28TensorListScalarListMetadataIsLi1EEENS1_25BinaryOpScalarListFunctorIsLi1ELi1ELi0EEEJSt7dividesIsEEEEvT_T0_DpT1_.has_recursion, 0
	.set _ZN2at6native12_GLOBAL__N_125multi_tensor_apply_kernelINS1_28TensorListScalarListMetadataIsLi1EEENS1_25BinaryOpScalarListFunctorIsLi1ELi1ELi0EEEJSt7dividesIsEEEEvT_T0_DpT1_.has_indirect_call, 0
	.section	.AMDGPU.csdata,"",@progbits
; Kernel info:
; codeLenInByte = 1572
; TotalNumSgprs: 24
; NumVgprs: 20
; ScratchSize: 0
; MemoryBound: 0
; FloatMode: 240
; IeeeMode: 1
; LDSByteSize: 0 bytes/workgroup (compile time only)
; SGPRBlocks: 0
; VGPRBlocks: 2
; NumSGPRsForWavesPerEU: 24
; NumVGPRsForWavesPerEU: 20
; Occupancy: 16
; WaveLimiterHint : 0
; COMPUTE_PGM_RSRC2:SCRATCH_EN: 0
; COMPUTE_PGM_RSRC2:USER_SGPR: 6
; COMPUTE_PGM_RSRC2:TRAP_HANDLER: 0
; COMPUTE_PGM_RSRC2:TGID_X_EN: 1
; COMPUTE_PGM_RSRC2:TGID_Y_EN: 0
; COMPUTE_PGM_RSRC2:TGID_Z_EN: 0
; COMPUTE_PGM_RSRC2:TIDIG_COMP_CNT: 0
	.section	.text._ZN2at6native12_GLOBAL__N_125multi_tensor_apply_kernelINS1_28TensorListScalarListMetadataIdLi1EEENS1_25BinaryOpScalarListFunctorIdLi1ELi1ELi0EEEJSt7dividesIdEEEEvT_T0_DpT1_,"axG",@progbits,_ZN2at6native12_GLOBAL__N_125multi_tensor_apply_kernelINS1_28TensorListScalarListMetadataIdLi1EEENS1_25BinaryOpScalarListFunctorIdLi1ELi1ELi0EEEJSt7dividesIdEEEEvT_T0_DpT1_,comdat
	.globl	_ZN2at6native12_GLOBAL__N_125multi_tensor_apply_kernelINS1_28TensorListScalarListMetadataIdLi1EEENS1_25BinaryOpScalarListFunctorIdLi1ELi1ELi0EEEJSt7dividesIdEEEEvT_T0_DpT1_ ; -- Begin function _ZN2at6native12_GLOBAL__N_125multi_tensor_apply_kernelINS1_28TensorListScalarListMetadataIdLi1EEENS1_25BinaryOpScalarListFunctorIdLi1ELi1ELi0EEEJSt7dividesIdEEEEvT_T0_DpT1_
	.p2align	8
	.type	_ZN2at6native12_GLOBAL__N_125multi_tensor_apply_kernelINS1_28TensorListScalarListMetadataIdLi1EEENS1_25BinaryOpScalarListFunctorIdLi1ELi1ELi0EEEJSt7dividesIdEEEEvT_T0_DpT1_,@function
_ZN2at6native12_GLOBAL__N_125multi_tensor_apply_kernelINS1_28TensorListScalarListMetadataIdLi1EEENS1_25BinaryOpScalarListFunctorIdLi1ELi1ELi0EEEJSt7dividesIdEEEEvT_T0_DpT1_: ; @_ZN2at6native12_GLOBAL__N_125multi_tensor_apply_kernelINS1_28TensorListScalarListMetadataIdLi1EEENS1_25BinaryOpScalarListFunctorIdLi1ELi1ELi0EEEJSt7dividesIdEEEEvT_T0_DpT1_
; %bb.0:
	v_mov_b32_e32 v1, 0x800
	s_add_u32 s0, s4, s6
	s_addc_u32 s1, s5, 0
	s_mov_b32 s7, 0
	global_load_ubyte v1, v1, s[0:1] offset:256
	s_lshl_b64 s[0:1], s[6:7], 2
	s_add_u32 s0, s4, s0
	s_addc_u32 s1, s5, s1
	s_load_dword s0, s[0:1], 0xa40
	s_waitcnt vmcnt(0)
	v_readfirstlane_b32 s2, v1
	s_lshl_b32 s1, s2, 3
	s_clause 0x2
	s_load_dwordx2 s[8:9], s[4:5], s1 offset:0x600
	s_load_dwordx2 s[10:11], s[4:5], s1 offset:0x0
	;; [unrolled: 1-line block ×3, first 2 shown]
	s_waitcnt lgkmcnt(0)
	s_ashr_i32 s1, s0, 31
	s_lshl_b64 s[12:13], s[0:1], 19
	s_lshl_b64 s[0:1], s[0:1], 16
	s_and_b32 s6, s10, 31
	s_sub_u32 s14, s2, s0
	s_subb_u32 s15, s3, s1
	s_and_b32 s0, s2, 3
	s_mov_b32 s1, s7
	s_or_b64 s[0:1], s[6:7], s[0:1]
	s_cmp_eq_u64 s[0:1], 0
	s_cbranch_scc1 .LBB53_21
; %bb.1:
	v_cmp_lt_i64_e64 s0, s[14:15], 1
	s_and_b32 vcc_lo, exec_lo, s0
	s_cbranch_vccnz .LBB53_20
; %bb.2:
	s_load_dword s0, s[4:5], 0xf54
	v_cmp_gt_i64_e64 s1, 0x10000, s[14:15]
	v_cmp_gt_u64_e64 s2, 0x10000, s[14:15]
	v_lshlrev_b32_e32 v1, 3, v0
	s_and_b32 s1, s1, exec_lo
	s_cselect_b32 s7, s15, 0
	s_cselect_b32 s6, s14, 0x10000
	s_waitcnt lgkmcnt(0)
	s_and_b32 s0, s0, 0xffff
	s_and_b32 s1, s2, exec_lo
	v_add_co_u32 v13, s3, v0, s0
	s_cselect_b32 s17, s15, 0
	s_cselect_b32 s16, s14, 0x10000
	s_lshl_b32 s1, s0, 1
	v_lshlrev_b32_e32 v3, 3, v13
	s_mul_i32 s2, s0, 3
	s_lshl_b32 s20, s0, 2
	s_add_u32 s18, s10, s12
	v_add_co_u32 v14, s2, s2, v0
	v_add_co_u32 v17, s1, s1, v0
	s_addc_u32 s19, s11, s13
	v_add_co_ci_u32_e64 v15, null, 0, 0, s2
	v_add_co_u32 v1, s2, s18, v1
	v_add_co_ci_u32_e64 v18, null, 0, 0, s1
	v_add_co_u32 v3, s1, s18, v3
	v_add_co_ci_u32_e64 v2, null, s19, 0, s2
	v_add_co_ci_u32_e64 v16, null, 0, 0, s3
	;; [unrolled: 1-line block ×3, first 2 shown]
	s_lshl_b32 s21, s0, 5
	s_mul_i32 s22, s0, 24
	s_lshl_b32 s23, s0, 4
	s_mov_b64 s[18:19], 0
	s_branch .LBB53_4
.LBB53_3:                               ;   in Loop: Header=BB53_4 Depth=1
	s_or_b32 exec_lo, exec_lo, s1
	s_add_u32 s18, s18, s20
	s_addc_u32 s19, s19, 0
	v_add_co_u32 v1, vcc_lo, v1, s21
	v_cmp_lt_i64_e64 s0, s[18:19], s[6:7]
	v_add_co_ci_u32_e64 v2, null, 0, v2, vcc_lo
	v_add_co_u32 v3, vcc_lo, v3, s21
	v_add_co_ci_u32_e64 v4, null, 0, v4, vcc_lo
	s_and_b32 vcc_lo, exec_lo, s0
	s_cbranch_vccz .LBB53_20
.LBB53_4:                               ; =>This Inner Loop Header: Depth=1
	s_waitcnt vmcnt(0)
	v_add_co_u32 v5, s0, v0, s18
	v_add_co_ci_u32_e64 v6, null, 0, s19, s0
	v_mov_b32_e32 v7, 0
	v_mov_b32_e32 v11, 0
	;; [unrolled: 1-line block ×3, first 2 shown]
	v_cmp_gt_u64_e32 vcc_lo, s[16:17], v[5:6]
	v_mov_b32_e32 v12, 0
	s_and_saveexec_b32 s0, vcc_lo
	s_cbranch_execz .LBB53_6
; %bb.5:                                ;   in Loop: Header=BB53_4 Depth=1
	global_load_dwordx2 v[11:12], v[1:2], off
.LBB53_6:                               ;   in Loop: Header=BB53_4 Depth=1
	s_or_b32 exec_lo, exec_lo, s0
	v_add_co_u32 v5, s0, v13, s18
	v_add_co_ci_u32_e64 v6, null, s19, v16, s0
	v_cmp_gt_u64_e64 s2, s[16:17], v[5:6]
	s_and_saveexec_b32 s0, s2
	s_cbranch_execz .LBB53_8
; %bb.7:                                ;   in Loop: Header=BB53_4 Depth=1
	global_load_dwordx2 v[7:8], v[3:4], off
.LBB53_8:                               ;   in Loop: Header=BB53_4 Depth=1
	s_or_b32 exec_lo, exec_lo, s0
	v_add_co_u32 v9, s0, v17, s18
	v_add_co_ci_u32_e64 v10, null, s19, v18, s0
	v_mov_b32_e32 v5, 0
	v_mov_b32_e32 v6, 0
	v_cmp_gt_u64_e64 s1, s[16:17], v[9:10]
	v_mov_b32_e32 v9, 0
	v_mov_b32_e32 v10, 0
	s_and_saveexec_b32 s3, s1
	s_cbranch_execz .LBB53_10
; %bb.9:                                ;   in Loop: Header=BB53_4 Depth=1
	v_add_co_u32 v9, s0, v1, s23
	v_add_co_ci_u32_e64 v10, null, 0, v2, s0
	global_load_dwordx2 v[9:10], v[9:10], off
.LBB53_10:                              ;   in Loop: Header=BB53_4 Depth=1
	s_or_b32 exec_lo, exec_lo, s3
	v_add_co_u32 v19, s0, v14, s18
	v_add_co_ci_u32_e64 v20, null, s19, v15, s0
	v_cmp_gt_u64_e64 s0, s[16:17], v[19:20]
	s_and_saveexec_b32 s24, s0
	s_cbranch_execnz .LBB53_15
; %bb.11:                               ;   in Loop: Header=BB53_4 Depth=1
	s_or_b32 exec_lo, exec_lo, s24
	s_and_saveexec_b32 s3, vcc_lo
	s_cbranch_execnz .LBB53_16
.LBB53_12:                              ;   in Loop: Header=BB53_4 Depth=1
	s_or_b32 exec_lo, exec_lo, s3
	s_and_saveexec_b32 s3, s2
	s_cbranch_execnz .LBB53_17
.LBB53_13:                              ;   in Loop: Header=BB53_4 Depth=1
	s_or_b32 exec_lo, exec_lo, s3
	s_and_saveexec_b32 s2, s1
	s_cbranch_execnz .LBB53_18
.LBB53_14:                              ;   in Loop: Header=BB53_4 Depth=1
	s_or_b32 exec_lo, exec_lo, s2
	s_and_saveexec_b32 s1, s0
	s_cbranch_execz .LBB53_3
	s_branch .LBB53_19
.LBB53_15:                              ;   in Loop: Header=BB53_4 Depth=1
	v_add_co_u32 v5, s3, v1, s22
	v_add_co_ci_u32_e64 v6, null, 0, v2, s3
	global_load_dwordx2 v[5:6], v[5:6], off
	s_or_b32 exec_lo, exec_lo, s24
	s_and_saveexec_b32 s3, vcc_lo
	s_cbranch_execz .LBB53_12
.LBB53_16:                              ;   in Loop: Header=BB53_4 Depth=1
	s_waitcnt vmcnt(0)
	v_div_scale_f64 v[19:20], null, s[8:9], s[8:9], v[11:12]
	v_rcp_f64_e32 v[21:22], v[19:20]
	v_fma_f64 v[23:24], -v[19:20], v[21:22], 1.0
	v_fma_f64 v[21:22], v[21:22], v[23:24], v[21:22]
	v_fma_f64 v[23:24], -v[19:20], v[21:22], 1.0
	v_fma_f64 v[21:22], v[21:22], v[23:24], v[21:22]
	v_div_scale_f64 v[23:24], vcc_lo, v[11:12], s[8:9], v[11:12]
	v_mul_f64 v[25:26], v[23:24], v[21:22]
	v_fma_f64 v[19:20], -v[19:20], v[25:26], v[23:24]
	v_div_fmas_f64 v[19:20], v[19:20], v[21:22], v[25:26]
	v_div_fixup_f64 v[11:12], v[19:20], s[8:9], v[11:12]
	global_store_dwordx2 v[1:2], v[11:12], off
	s_or_b32 exec_lo, exec_lo, s3
	s_and_saveexec_b32 s3, s2
	s_cbranch_execz .LBB53_13
.LBB53_17:                              ;   in Loop: Header=BB53_4 Depth=1
	s_waitcnt vmcnt(0)
	v_div_scale_f64 v[11:12], null, s[8:9], s[8:9], v[7:8]
	v_rcp_f64_e32 v[19:20], v[11:12]
	v_fma_f64 v[21:22], -v[11:12], v[19:20], 1.0
	v_fma_f64 v[19:20], v[19:20], v[21:22], v[19:20]
	v_fma_f64 v[21:22], -v[11:12], v[19:20], 1.0
	v_fma_f64 v[19:20], v[19:20], v[21:22], v[19:20]
	v_div_scale_f64 v[21:22], vcc_lo, v[7:8], s[8:9], v[7:8]
	v_mul_f64 v[23:24], v[21:22], v[19:20]
	v_fma_f64 v[11:12], -v[11:12], v[23:24], v[21:22]
	v_div_fmas_f64 v[11:12], v[11:12], v[19:20], v[23:24]
	v_div_fixup_f64 v[7:8], v[11:12], s[8:9], v[7:8]
	global_store_dwordx2 v[3:4], v[7:8], off
	s_or_b32 exec_lo, exec_lo, s3
	s_and_saveexec_b32 s2, s1
	s_cbranch_execz .LBB53_14
.LBB53_18:                              ;   in Loop: Header=BB53_4 Depth=1
	s_waitcnt vmcnt(0)
	v_div_scale_f64 v[7:8], null, s[8:9], s[8:9], v[9:10]
	v_rcp_f64_e32 v[11:12], v[7:8]
	v_fma_f64 v[19:20], -v[7:8], v[11:12], 1.0
	v_fma_f64 v[11:12], v[11:12], v[19:20], v[11:12]
	v_fma_f64 v[19:20], -v[7:8], v[11:12], 1.0
	v_fma_f64 v[11:12], v[11:12], v[19:20], v[11:12]
	v_div_scale_f64 v[19:20], vcc_lo, v[9:10], s[8:9], v[9:10]
	v_mul_f64 v[21:22], v[19:20], v[11:12]
	v_fma_f64 v[7:8], -v[7:8], v[21:22], v[19:20]
	v_div_fmas_f64 v[7:8], v[7:8], v[11:12], v[21:22]
	v_div_fixup_f64 v[7:8], v[7:8], s[8:9], v[9:10]
	v_add_co_u32 v9, vcc_lo, v1, s23
	v_add_co_ci_u32_e64 v10, null, 0, v2, vcc_lo
	global_store_dwordx2 v[9:10], v[7:8], off
	s_or_b32 exec_lo, exec_lo, s2
	s_and_saveexec_b32 s1, s0
	s_cbranch_execz .LBB53_3
.LBB53_19:                              ;   in Loop: Header=BB53_4 Depth=1
	s_waitcnt vmcnt(0)
	v_div_scale_f64 v[7:8], null, s[8:9], s[8:9], v[5:6]
	v_rcp_f64_e32 v[9:10], v[7:8]
	v_fma_f64 v[11:12], -v[7:8], v[9:10], 1.0
	v_fma_f64 v[9:10], v[9:10], v[11:12], v[9:10]
	v_fma_f64 v[11:12], -v[7:8], v[9:10], 1.0
	v_fma_f64 v[9:10], v[9:10], v[11:12], v[9:10]
	v_div_scale_f64 v[11:12], vcc_lo, v[5:6], s[8:9], v[5:6]
	v_mul_f64 v[19:20], v[11:12], v[9:10]
	v_fma_f64 v[7:8], -v[7:8], v[19:20], v[11:12]
	v_div_fmas_f64 v[7:8], v[7:8], v[9:10], v[19:20]
	v_div_fixup_f64 v[5:6], v[7:8], s[8:9], v[5:6]
	v_add_co_u32 v7, vcc_lo, v1, s22
	v_add_co_ci_u32_e64 v8, null, 0, v2, vcc_lo
	global_store_dwordx2 v[7:8], v[5:6], off
	s_branch .LBB53_3
.LBB53_20:
	s_cbranch_execz .LBB53_22
	s_branch .LBB53_25
.LBB53_21:
.LBB53_22:
	v_cmp_gt_i64_e64 s0, 0x10000, s[14:15]
	v_mov_b32_e32 v2, 0
	v_lshlrev_b32_e32 v1, 2, v0
	s_mov_b32 s3, 0
	s_and_b32 s0, s0, exec_lo
	s_cselect_b32 s7, s15, 0
	s_cselect_b32 s6, s14, 0x10000
	s_mov_b32 s0, exec_lo
	v_cmpx_gt_i64_e64 s[6:7], v[1:2]
	s_cbranch_execz .LBB53_25
; %bb.23:
	s_load_dword s0, s[4:5], 0xf54
	v_lshlrev_b32_e32 v1, 5, v0
	s_waitcnt lgkmcnt(0)
	s_and_b32 s4, s0, 0xffff
	s_add_u32 s0, s10, s12
	s_addc_u32 s1, s11, s13
	v_add_co_u32 v3, s0, s0, v1
	v_add_co_ci_u32_e64 v4, null, s1, 0, s0
	v_mov_b32_e32 v1, v2
	v_add_co_u32 v2, vcc_lo, v3, 16
	v_add_co_ci_u32_e64 v3, null, 0, v4, vcc_lo
	s_lshl_b32 s5, s4, 5
.LBB53_24:                              ; =>This Inner Loop Header: Depth=1
	s_clause 0x1
	global_load_dwordx4 v[4:7], v[2:3], off offset:-16
	global_load_dwordx4 v[8:11], v[2:3], off
	s_waitcnt vmcnt(1)
	v_div_scale_f64 v[12:13], null, s[8:9], s[8:9], v[4:5]
	v_div_scale_f64 v[14:15], null, s[8:9], s[8:9], v[6:7]
	s_waitcnt vmcnt(0)
	v_div_scale_f64 v[16:17], null, s[8:9], s[8:9], v[8:9]
	v_div_scale_f64 v[18:19], null, s[8:9], s[8:9], v[10:11]
	v_div_scale_f64 v[36:37], vcc_lo, v[4:5], s[8:9], v[4:5]
	v_rcp_f64_e32 v[20:21], v[12:13]
	v_rcp_f64_e32 v[22:23], v[14:15]
	;; [unrolled: 1-line block ×4, first 2 shown]
	v_fma_f64 v[28:29], -v[12:13], v[20:21], 1.0
	v_fma_f64 v[30:31], -v[14:15], v[22:23], 1.0
	v_fma_f64 v[32:33], -v[16:17], v[24:25], 1.0
	v_fma_f64 v[34:35], -v[18:19], v[26:27], 1.0
	v_fma_f64 v[20:21], v[20:21], v[28:29], v[20:21]
	v_fma_f64 v[22:23], v[22:23], v[30:31], v[22:23]
	;; [unrolled: 1-line block ×4, first 2 shown]
	v_fma_f64 v[28:29], -v[12:13], v[20:21], 1.0
	v_fma_f64 v[30:31], -v[14:15], v[22:23], 1.0
	;; [unrolled: 1-line block ×4, first 2 shown]
	v_fma_f64 v[20:21], v[20:21], v[28:29], v[20:21]
	v_div_scale_f64 v[28:29], s0, v[6:7], s[8:9], v[6:7]
	v_fma_f64 v[22:23], v[22:23], v[30:31], v[22:23]
	v_div_scale_f64 v[30:31], s1, v[8:9], s[8:9], v[8:9]
	;; [unrolled: 2-line block ×3, first 2 shown]
	v_fma_f64 v[26:27], v[26:27], v[34:35], v[26:27]
	v_mul_f64 v[34:35], v[36:37], v[20:21]
	v_mul_f64 v[38:39], v[28:29], v[22:23]
	;; [unrolled: 1-line block ×4, first 2 shown]
	v_fma_f64 v[12:13], -v[12:13], v[34:35], v[36:37]
	v_fma_f64 v[14:15], -v[14:15], v[38:39], v[28:29]
	;; [unrolled: 1-line block ×4, first 2 shown]
	v_div_fmas_f64 v[12:13], v[12:13], v[20:21], v[34:35]
	s_mov_b32 vcc_lo, s0
	v_div_fmas_f64 v[14:15], v[14:15], v[22:23], v[38:39]
	s_mov_b32 vcc_lo, s1
	;; [unrolled: 2-line block ×3, first 2 shown]
	v_div_fmas_f64 v[18:19], v[18:19], v[26:27], v[42:43]
	v_add_co_u32 v0, vcc_lo, v0, s4
	v_add_co_ci_u32_e64 v1, null, 0, v1, vcc_lo
	v_div_fixup_f64 v[4:5], v[12:13], s[8:9], v[4:5]
	v_lshlrev_b64 v[12:13], 2, v[0:1]
	v_div_fixup_f64 v[6:7], v[14:15], s[8:9], v[6:7]
	v_div_fixup_f64 v[8:9], v[16:17], s[8:9], v[8:9]
	v_cmp_le_i64_e32 vcc_lo, s[6:7], v[12:13]
	v_div_fixup_f64 v[10:11], v[18:19], s[8:9], v[10:11]
	global_store_dwordx4 v[2:3], v[4:7], off offset:-16
	global_store_dwordx4 v[2:3], v[8:11], off
	v_add_co_u32 v2, s0, v2, s5
	v_add_co_ci_u32_e64 v3, null, 0, v3, s0
	s_or_b32 s3, vcc_lo, s3
	s_andn2_b32 exec_lo, exec_lo, s3
	s_cbranch_execnz .LBB53_24
.LBB53_25:
	s_endpgm
	.section	.rodata,"a",@progbits
	.p2align	6, 0x0
	.amdhsa_kernel _ZN2at6native12_GLOBAL__N_125multi_tensor_apply_kernelINS1_28TensorListScalarListMetadataIdLi1EEENS1_25BinaryOpScalarListFunctorIdLi1ELi1ELi0EEEJSt7dividesIdEEEEvT_T0_DpT1_
		.amdhsa_group_segment_fixed_size 0
		.amdhsa_private_segment_fixed_size 0
		.amdhsa_kernarg_size 4168
		.amdhsa_user_sgpr_count 6
		.amdhsa_user_sgpr_private_segment_buffer 1
		.amdhsa_user_sgpr_dispatch_ptr 0
		.amdhsa_user_sgpr_queue_ptr 0
		.amdhsa_user_sgpr_kernarg_segment_ptr 1
		.amdhsa_user_sgpr_dispatch_id 0
		.amdhsa_user_sgpr_flat_scratch_init 0
		.amdhsa_user_sgpr_private_segment_size 0
		.amdhsa_wavefront_size32 1
		.amdhsa_uses_dynamic_stack 0
		.amdhsa_system_sgpr_private_segment_wavefront_offset 0
		.amdhsa_system_sgpr_workgroup_id_x 1
		.amdhsa_system_sgpr_workgroup_id_y 0
		.amdhsa_system_sgpr_workgroup_id_z 0
		.amdhsa_system_sgpr_workgroup_info 0
		.amdhsa_system_vgpr_workitem_id 0
		.amdhsa_next_free_vgpr 44
		.amdhsa_next_free_sgpr 25
		.amdhsa_reserve_vcc 1
		.amdhsa_reserve_flat_scratch 0
		.amdhsa_float_round_mode_32 0
		.amdhsa_float_round_mode_16_64 0
		.amdhsa_float_denorm_mode_32 3
		.amdhsa_float_denorm_mode_16_64 3
		.amdhsa_dx10_clamp 1
		.amdhsa_ieee_mode 1
		.amdhsa_fp16_overflow 0
		.amdhsa_workgroup_processor_mode 1
		.amdhsa_memory_ordered 1
		.amdhsa_forward_progress 1
		.amdhsa_shared_vgpr_count 0
		.amdhsa_exception_fp_ieee_invalid_op 0
		.amdhsa_exception_fp_denorm_src 0
		.amdhsa_exception_fp_ieee_div_zero 0
		.amdhsa_exception_fp_ieee_overflow 0
		.amdhsa_exception_fp_ieee_underflow 0
		.amdhsa_exception_fp_ieee_inexact 0
		.amdhsa_exception_int_div_zero 0
	.end_amdhsa_kernel
	.section	.text._ZN2at6native12_GLOBAL__N_125multi_tensor_apply_kernelINS1_28TensorListScalarListMetadataIdLi1EEENS1_25BinaryOpScalarListFunctorIdLi1ELi1ELi0EEEJSt7dividesIdEEEEvT_T0_DpT1_,"axG",@progbits,_ZN2at6native12_GLOBAL__N_125multi_tensor_apply_kernelINS1_28TensorListScalarListMetadataIdLi1EEENS1_25BinaryOpScalarListFunctorIdLi1ELi1ELi0EEEJSt7dividesIdEEEEvT_T0_DpT1_,comdat
.Lfunc_end53:
	.size	_ZN2at6native12_GLOBAL__N_125multi_tensor_apply_kernelINS1_28TensorListScalarListMetadataIdLi1EEENS1_25BinaryOpScalarListFunctorIdLi1ELi1ELi0EEEJSt7dividesIdEEEEvT_T0_DpT1_, .Lfunc_end53-_ZN2at6native12_GLOBAL__N_125multi_tensor_apply_kernelINS1_28TensorListScalarListMetadataIdLi1EEENS1_25BinaryOpScalarListFunctorIdLi1ELi1ELi0EEEJSt7dividesIdEEEEvT_T0_DpT1_
                                        ; -- End function
	.set _ZN2at6native12_GLOBAL__N_125multi_tensor_apply_kernelINS1_28TensorListScalarListMetadataIdLi1EEENS1_25BinaryOpScalarListFunctorIdLi1ELi1ELi0EEEJSt7dividesIdEEEEvT_T0_DpT1_.num_vgpr, 44
	.set _ZN2at6native12_GLOBAL__N_125multi_tensor_apply_kernelINS1_28TensorListScalarListMetadataIdLi1EEENS1_25BinaryOpScalarListFunctorIdLi1ELi1ELi0EEEJSt7dividesIdEEEEvT_T0_DpT1_.num_agpr, 0
	.set _ZN2at6native12_GLOBAL__N_125multi_tensor_apply_kernelINS1_28TensorListScalarListMetadataIdLi1EEENS1_25BinaryOpScalarListFunctorIdLi1ELi1ELi0EEEJSt7dividesIdEEEEvT_T0_DpT1_.numbered_sgpr, 25
	.set _ZN2at6native12_GLOBAL__N_125multi_tensor_apply_kernelINS1_28TensorListScalarListMetadataIdLi1EEENS1_25BinaryOpScalarListFunctorIdLi1ELi1ELi0EEEJSt7dividesIdEEEEvT_T0_DpT1_.num_named_barrier, 0
	.set _ZN2at6native12_GLOBAL__N_125multi_tensor_apply_kernelINS1_28TensorListScalarListMetadataIdLi1EEENS1_25BinaryOpScalarListFunctorIdLi1ELi1ELi0EEEJSt7dividesIdEEEEvT_T0_DpT1_.private_seg_size, 0
	.set _ZN2at6native12_GLOBAL__N_125multi_tensor_apply_kernelINS1_28TensorListScalarListMetadataIdLi1EEENS1_25BinaryOpScalarListFunctorIdLi1ELi1ELi0EEEJSt7dividesIdEEEEvT_T0_DpT1_.uses_vcc, 1
	.set _ZN2at6native12_GLOBAL__N_125multi_tensor_apply_kernelINS1_28TensorListScalarListMetadataIdLi1EEENS1_25BinaryOpScalarListFunctorIdLi1ELi1ELi0EEEJSt7dividesIdEEEEvT_T0_DpT1_.uses_flat_scratch, 0
	.set _ZN2at6native12_GLOBAL__N_125multi_tensor_apply_kernelINS1_28TensorListScalarListMetadataIdLi1EEENS1_25BinaryOpScalarListFunctorIdLi1ELi1ELi0EEEJSt7dividesIdEEEEvT_T0_DpT1_.has_dyn_sized_stack, 0
	.set _ZN2at6native12_GLOBAL__N_125multi_tensor_apply_kernelINS1_28TensorListScalarListMetadataIdLi1EEENS1_25BinaryOpScalarListFunctorIdLi1ELi1ELi0EEEJSt7dividesIdEEEEvT_T0_DpT1_.has_recursion, 0
	.set _ZN2at6native12_GLOBAL__N_125multi_tensor_apply_kernelINS1_28TensorListScalarListMetadataIdLi1EEENS1_25BinaryOpScalarListFunctorIdLi1ELi1ELi0EEEJSt7dividesIdEEEEvT_T0_DpT1_.has_indirect_call, 0
	.section	.AMDGPU.csdata,"",@progbits
; Kernel info:
; codeLenInByte = 1760
; TotalNumSgprs: 27
; NumVgprs: 44
; ScratchSize: 0
; MemoryBound: 0
; FloatMode: 240
; IeeeMode: 1
; LDSByteSize: 0 bytes/workgroup (compile time only)
; SGPRBlocks: 0
; VGPRBlocks: 5
; NumSGPRsForWavesPerEU: 27
; NumVGPRsForWavesPerEU: 44
; Occupancy: 16
; WaveLimiterHint : 1
; COMPUTE_PGM_RSRC2:SCRATCH_EN: 0
; COMPUTE_PGM_RSRC2:USER_SGPR: 6
; COMPUTE_PGM_RSRC2:TRAP_HANDLER: 0
; COMPUTE_PGM_RSRC2:TGID_X_EN: 1
; COMPUTE_PGM_RSRC2:TGID_Y_EN: 0
; COMPUTE_PGM_RSRC2:TGID_Z_EN: 0
; COMPUTE_PGM_RSRC2:TIDIG_COMP_CNT: 0
	.section	.text._ZN2at6native12_GLOBAL__N_125multi_tensor_apply_kernelINS1_28TensorListScalarListMetadataIfLi1EEENS1_25BinaryOpScalarListFunctorIfLi1ELi1ELi0EEEJSt7dividesIfEEEEvT_T0_DpT1_,"axG",@progbits,_ZN2at6native12_GLOBAL__N_125multi_tensor_apply_kernelINS1_28TensorListScalarListMetadataIfLi1EEENS1_25BinaryOpScalarListFunctorIfLi1ELi1ELi0EEEJSt7dividesIfEEEEvT_T0_DpT1_,comdat
	.globl	_ZN2at6native12_GLOBAL__N_125multi_tensor_apply_kernelINS1_28TensorListScalarListMetadataIfLi1EEENS1_25BinaryOpScalarListFunctorIfLi1ELi1ELi0EEEJSt7dividesIfEEEEvT_T0_DpT1_ ; -- Begin function _ZN2at6native12_GLOBAL__N_125multi_tensor_apply_kernelINS1_28TensorListScalarListMetadataIfLi1EEENS1_25BinaryOpScalarListFunctorIfLi1ELi1ELi0EEEJSt7dividesIfEEEEvT_T0_DpT1_
	.p2align	8
	.type	_ZN2at6native12_GLOBAL__N_125multi_tensor_apply_kernelINS1_28TensorListScalarListMetadataIfLi1EEENS1_25BinaryOpScalarListFunctorIfLi1ELi1ELi0EEEJSt7dividesIfEEEEvT_T0_DpT1_,@function
_ZN2at6native12_GLOBAL__N_125multi_tensor_apply_kernelINS1_28TensorListScalarListMetadataIfLi1EEENS1_25BinaryOpScalarListFunctorIfLi1ELi1ELi0EEEJSt7dividesIfEEEEvT_T0_DpT1_: ; @_ZN2at6native12_GLOBAL__N_125multi_tensor_apply_kernelINS1_28TensorListScalarListMetadataIfLi1EEENS1_25BinaryOpScalarListFunctorIfLi1ELi1ELi0EEEJSt7dividesIfEEEEvT_T0_DpT1_
; %bb.0:
	v_mov_b32_e32 v1, s6
	s_add_u32 s0, s4, s6
	s_mul_i32 s1, s6, 3
	s_mul_hi_u32 s2, s6, 3
	s_addc_u32 s3, s5, 0
	global_load_ubyte v1, v1, s[4:5] offset:1920
	s_add_u32 s0, s0, s1
	s_addc_u32 s1, s3, s2
	s_mov_b32 s13, 0
	s_load_dword s0, s[0:1], 0x8c0
	s_waitcnt vmcnt(0)
	v_readfirstlane_b32 s1, v1
	v_lshlrev_b32_e32 v1, 2, v1
	s_lshl_b32 s8, s1, 3
	v_sub_co_u32 v1, s1, 0, v1
	v_sub_co_ci_u32_e64 v2, null, 0, 0, s1
	s_waitcnt lgkmcnt(0)
	s_ashr_i32 s1, s0, 31
	s_clause 0x1
	s_load_dwordx2 s[2:3], s[4:5], s8 offset:0x300
	s_load_dwordx2 s[6:7], s[4:5], s8 offset:0x0
	s_add_u32 s8, s4, s8
	s_addc_u32 s9, s5, 0
	v_add_co_u32 v1, vcc_lo, s8, v1
	v_add_co_ci_u32_e64 v2, null, s9, v2, vcc_lo
	v_readfirstlane_b32 s8, v1
	v_readfirstlane_b32 s9, v2
	s_load_dword s18, s[8:9], 0x600
	s_lshl_b64 s[8:9], s[0:1], 18
	s_lshl_b64 s[0:1], s[0:1], 16
	s_waitcnt lgkmcnt(0)
	s_and_b32 s12, s6, 15
	s_sub_u32 s10, s2, s0
	s_subb_u32 s11, s3, s1
	s_and_b32 s0, s2, 3
	s_mov_b32 s1, s13
	s_or_b64 s[0:1], s[12:13], s[0:1]
	s_cmp_eq_u64 s[0:1], 0
	s_cbranch_scc1 .LBB54_21
; %bb.1:
	v_cmp_lt_i64_e64 s0, s[10:11], 1
	s_and_b32 vcc_lo, exec_lo, s0
	s_cbranch_vccnz .LBB54_20
; %bb.2:
	s_load_dword s0, s[4:5], 0xdd4
	v_cmp_gt_i64_e64 s1, 0x10000, s[10:11]
	v_cmp_gt_u64_e64 s2, 0x10000, s[10:11]
	v_lshlrev_b32_e32 v1, 2, v0
	s_and_b32 s1, s1, exec_lo
	s_cselect_b32 s13, s11, 0
	s_cselect_b32 s12, s10, 0x10000
	s_waitcnt lgkmcnt(0)
	s_and_b32 s0, s0, 0xffff
	s_and_b32 s1, s2, exec_lo
	v_add_co_u32 v5, s3, v0, s0
	s_cselect_b32 s15, s11, 0
	s_cselect_b32 s14, s10, 0x10000
	s_lshl_b32 s1, s0, 1
	v_lshlrev_b32_e32 v3, 2, v5
	s_mul_i32 s2, s0, 3
	s_lshl_b32 s19, s0, 2
	s_add_u32 s16, s6, s8
	v_add_co_u32 v6, s2, s2, v0
	v_add_co_u32 v9, s1, s1, v0
	s_addc_u32 s17, s7, s9
	v_add_co_ci_u32_e64 v7, null, 0, 0, s2
	v_add_co_u32 v1, s2, s16, v1
	v_add_co_ci_u32_e64 v10, null, 0, 0, s1
	v_add_co_u32 v3, s1, s16, v3
	v_add_co_ci_u32_e64 v2, null, s17, 0, s2
	v_add_co_ci_u32_e64 v8, null, 0, 0, s3
	;; [unrolled: 1-line block ×3, first 2 shown]
	s_lshl_b32 s20, s0, 4
	s_mul_i32 s21, s0, 12
	s_lshl_b32 s22, s0, 3
	s_mov_b64 s[16:17], 0
	s_branch .LBB54_4
.LBB54_3:                               ;   in Loop: Header=BB54_4 Depth=1
	s_or_b32 exec_lo, exec_lo, s1
	s_add_u32 s16, s16, s19
	s_addc_u32 s17, s17, 0
	v_add_co_u32 v1, vcc_lo, v1, s20
	v_cmp_lt_i64_e64 s0, s[16:17], s[12:13]
	v_add_co_ci_u32_e64 v2, null, 0, v2, vcc_lo
	v_add_co_u32 v3, vcc_lo, v3, s20
	v_add_co_ci_u32_e64 v4, null, 0, v4, vcc_lo
	s_and_b32 vcc_lo, exec_lo, s0
	s_cbranch_vccz .LBB54_20
.LBB54_4:                               ; =>This Inner Loop Header: Depth=1
	s_waitcnt vmcnt(0)
	v_add_co_u32 v11, s0, v0, s16
	v_add_co_ci_u32_e64 v12, null, 0, s17, s0
	v_mov_b32_e32 v14, 0
	v_cmp_gt_u64_e32 vcc_lo, s[14:15], v[11:12]
	s_and_saveexec_b32 s0, vcc_lo
	s_cbranch_execz .LBB54_6
; %bb.5:                                ;   in Loop: Header=BB54_4 Depth=1
	global_load_dword v14, v[1:2], off
.LBB54_6:                               ;   in Loop: Header=BB54_4 Depth=1
	s_or_b32 exec_lo, exec_lo, s0
	v_add_co_u32 v11, s0, v5, s16
	v_add_co_ci_u32_e64 v12, null, s17, v8, s0
	v_mov_b32_e32 v13, 0
	v_cmp_gt_u64_e64 s2, s[14:15], v[11:12]
	v_mov_b32_e32 v11, 0
	s_and_saveexec_b32 s0, s2
	s_cbranch_execz .LBB54_8
; %bb.7:                                ;   in Loop: Header=BB54_4 Depth=1
	global_load_dword v13, v[3:4], off
.LBB54_8:                               ;   in Loop: Header=BB54_4 Depth=1
	s_or_b32 exec_lo, exec_lo, s0
	v_add_co_u32 v15, s0, v9, s16
	v_add_co_ci_u32_e64 v16, null, s17, v10, s0
	v_cmp_gt_u64_e64 s1, s[14:15], v[15:16]
	s_and_saveexec_b32 s3, s1
	s_cbranch_execz .LBB54_10
; %bb.9:                                ;   in Loop: Header=BB54_4 Depth=1
	v_add_co_u32 v11, s0, v1, s22
	v_add_co_ci_u32_e64 v12, null, 0, v2, s0
	global_load_dword v11, v[11:12], off
.LBB54_10:                              ;   in Loop: Header=BB54_4 Depth=1
	s_or_b32 exec_lo, exec_lo, s3
	v_add_co_u32 v15, s0, v6, s16
	v_add_co_ci_u32_e64 v16, null, s17, v7, s0
	v_mov_b32_e32 v12, 0
	v_cmp_gt_u64_e64 s0, s[14:15], v[15:16]
	s_and_saveexec_b32 s23, s0
	s_cbranch_execnz .LBB54_15
; %bb.11:                               ;   in Loop: Header=BB54_4 Depth=1
	s_or_b32 exec_lo, exec_lo, s23
	s_and_saveexec_b32 s3, vcc_lo
	s_cbranch_execnz .LBB54_16
.LBB54_12:                              ;   in Loop: Header=BB54_4 Depth=1
	s_or_b32 exec_lo, exec_lo, s3
	s_and_saveexec_b32 s3, s2
	s_cbranch_execnz .LBB54_17
.LBB54_13:                              ;   in Loop: Header=BB54_4 Depth=1
	s_or_b32 exec_lo, exec_lo, s3
	s_and_saveexec_b32 s2, s1
	s_cbranch_execnz .LBB54_18
.LBB54_14:                              ;   in Loop: Header=BB54_4 Depth=1
	s_or_b32 exec_lo, exec_lo, s2
	s_and_saveexec_b32 s1, s0
	s_cbranch_execz .LBB54_3
	s_branch .LBB54_19
.LBB54_15:                              ;   in Loop: Header=BB54_4 Depth=1
	v_add_co_u32 v15, s3, v1, s21
	v_add_co_ci_u32_e64 v16, null, 0, v2, s3
	global_load_dword v12, v[15:16], off
	s_or_b32 exec_lo, exec_lo, s23
	s_and_saveexec_b32 s3, vcc_lo
	s_cbranch_execz .LBB54_12
.LBB54_16:                              ;   in Loop: Header=BB54_4 Depth=1
	s_waitcnt vmcnt(0)
	v_div_scale_f32 v15, null, s18, s18, v14
	v_rcp_f32_e32 v16, v15
	v_fma_f32 v17, -v15, v16, 1.0
	v_fmac_f32_e32 v16, v17, v16
	v_div_scale_f32 v17, vcc_lo, v14, s18, v14
	v_mul_f32_e32 v18, v17, v16
	v_fma_f32 v19, -v15, v18, v17
	v_fmac_f32_e32 v18, v19, v16
	v_fma_f32 v15, -v15, v18, v17
	v_div_fmas_f32 v15, v15, v16, v18
	v_div_fixup_f32 v14, v15, s18, v14
	global_store_dword v[1:2], v14, off
	s_or_b32 exec_lo, exec_lo, s3
	s_and_saveexec_b32 s3, s2
	s_cbranch_execz .LBB54_13
.LBB54_17:                              ;   in Loop: Header=BB54_4 Depth=1
	s_waitcnt vmcnt(0)
	v_div_scale_f32 v14, null, s18, s18, v13
	v_rcp_f32_e32 v15, v14
	v_fma_f32 v16, -v14, v15, 1.0
	v_fmac_f32_e32 v15, v16, v15
	v_div_scale_f32 v16, vcc_lo, v13, s18, v13
	v_mul_f32_e32 v17, v16, v15
	v_fma_f32 v18, -v14, v17, v16
	v_fmac_f32_e32 v17, v18, v15
	v_fma_f32 v14, -v14, v17, v16
	v_div_fmas_f32 v14, v14, v15, v17
	v_div_fixup_f32 v13, v14, s18, v13
	global_store_dword v[3:4], v13, off
	s_or_b32 exec_lo, exec_lo, s3
	s_and_saveexec_b32 s2, s1
	s_cbranch_execz .LBB54_14
.LBB54_18:                              ;   in Loop: Header=BB54_4 Depth=1
	s_waitcnt vmcnt(0)
	v_div_scale_f32 v13, null, s18, s18, v11
	v_div_scale_f32 v16, vcc_lo, v11, s18, v11
	v_rcp_f32_e32 v14, v13
	v_fma_f32 v15, -v13, v14, 1.0
	v_fmac_f32_e32 v14, v15, v14
	v_mul_f32_e32 v15, v16, v14
	v_fma_f32 v17, -v13, v15, v16
	v_fmac_f32_e32 v15, v17, v14
	v_fma_f32 v13, -v13, v15, v16
	v_div_fmas_f32 v13, v13, v14, v15
	v_div_fixup_f32 v11, v13, s18, v11
	v_add_co_u32 v13, vcc_lo, v1, s22
	v_add_co_ci_u32_e64 v14, null, 0, v2, vcc_lo
	global_store_dword v[13:14], v11, off
	s_or_b32 exec_lo, exec_lo, s2
	s_and_saveexec_b32 s1, s0
	s_cbranch_execz .LBB54_3
.LBB54_19:                              ;   in Loop: Header=BB54_4 Depth=1
	s_waitcnt vmcnt(0)
	v_div_scale_f32 v11, null, s18, s18, v12
	v_div_scale_f32 v15, vcc_lo, v12, s18, v12
	v_rcp_f32_e32 v13, v11
	v_fma_f32 v14, -v11, v13, 1.0
	v_fmac_f32_e32 v13, v14, v13
	v_mul_f32_e32 v14, v15, v13
	v_fma_f32 v16, -v11, v14, v15
	v_fmac_f32_e32 v14, v16, v13
	v_fma_f32 v11, -v11, v14, v15
	v_div_fmas_f32 v11, v11, v13, v14
	v_div_fixup_f32 v13, v11, s18, v12
	v_add_co_u32 v11, vcc_lo, v1, s21
	v_add_co_ci_u32_e64 v12, null, 0, v2, vcc_lo
	global_store_dword v[11:12], v13, off
	s_branch .LBB54_3
.LBB54_20:
	s_cbranch_execz .LBB54_22
	s_branch .LBB54_25
.LBB54_21:
.LBB54_22:
	v_cmp_gt_i64_e64 s0, 0x10000, s[10:11]
	v_mov_b32_e32 v2, 0
	v_lshlrev_b32_e32 v1, 2, v0
	s_mov_b32 s12, 0
	s_and_b32 s0, s0, exec_lo
	s_cselect_b32 s11, s11, 0
	s_cselect_b32 s10, s10, 0x10000
	s_mov_b32 s0, exec_lo
	v_cmpx_gt_i64_e64 s[10:11], v[1:2]
	s_cbranch_execz .LBB54_25
; %bb.23:
	s_load_dword s0, s[4:5], 0xdd4
	v_lshlrev_b32_e32 v1, 4, v0
	s_waitcnt lgkmcnt(0)
	s_and_b32 s4, s0, 0xffff
	s_add_u32 s0, s6, s8
	s_addc_u32 s1, s7, s9
	v_add_co_u32 v3, s0, s0, v1
	v_add_co_ci_u32_e64 v4, null, s1, 0, s0
	v_mov_b32_e32 v1, v2
	v_add_co_u32 v2, vcc_lo, v3, 8
	v_add_co_ci_u32_e64 v3, null, 0, v4, vcc_lo
	s_lshl_b32 s5, s4, 4
.LBB54_24:                              ; =>This Inner Loop Header: Depth=1
	global_load_dwordx4 v[4:7], v[2:3], off offset:-8
	v_add_co_u32 v0, s3, v0, s4
	v_add_co_ci_u32_e64 v1, null, 0, v1, s3
	s_waitcnt vmcnt(0)
	v_div_scale_f32 v8, null, s18, s18, v4
	v_div_scale_f32 v9, null, s18, s18, v5
	v_div_scale_f32 v10, null, s18, s18, v6
	v_rcp_f32_e32 v12, v8
	v_div_scale_f32 v11, null, s18, s18, v7
	v_rcp_f32_e32 v13, v9
	v_rcp_f32_e32 v14, v10
	v_div_scale_f32 v16, vcc_lo, v4, s18, v4
	v_rcp_f32_e32 v15, v11
	v_div_scale_f32 v17, s0, v5, s18, v5
	v_fma_f32 v19, -v8, v12, 1.0
	v_div_scale_f32 v18, s1, v6, s18, v6
	v_fma_f32 v20, -v9, v13, 1.0
	v_fma_f32 v21, -v10, v14, 1.0
	v_fmac_f32_e32 v12, v19, v12
	v_div_scale_f32 v23, s2, v7, s18, v7
	v_fma_f32 v22, -v11, v15, 1.0
	v_fmac_f32_e32 v13, v20, v13
	v_fmac_f32_e32 v14, v21, v14
	v_mul_f32_e32 v19, v16, v12
	v_fmac_f32_e32 v15, v22, v15
	v_mul_f32_e32 v20, v17, v13
	v_mul_f32_e32 v21, v18, v14
	v_fma_f32 v24, -v8, v19, v16
	v_mul_f32_e32 v22, v23, v15
	v_fma_f32 v25, -v9, v20, v17
	v_fma_f32 v26, -v10, v21, v18
	v_fmac_f32_e32 v19, v24, v12
	v_fma_f32 v27, -v11, v22, v23
	v_fmac_f32_e32 v20, v25, v13
	v_fmac_f32_e32 v21, v26, v14
	v_fma_f32 v8, -v8, v19, v16
	v_fmac_f32_e32 v22, v27, v15
	v_fma_f32 v9, -v9, v20, v17
	v_fma_f32 v10, -v10, v21, v18
	v_div_fmas_f32 v12, v8, v12, v19
	s_mov_b32 vcc_lo, s0
	v_fma_f32 v11, -v11, v22, v23
	v_div_fmas_f32 v13, v9, v13, v20
	s_mov_b32 vcc_lo, s1
	v_lshlrev_b64 v[8:9], 2, v[0:1]
	v_div_fmas_f32 v10, v10, v14, v21
	s_mov_b32 vcc_lo, s2
	v_div_fixup_f32 v4, v12, s18, v4
	v_div_fmas_f32 v11, v11, v15, v22
	v_div_fixup_f32 v5, v13, s18, v5
	v_div_fixup_f32 v6, v10, s18, v6
	v_cmp_le_i64_e32 vcc_lo, s[10:11], v[8:9]
	v_div_fixup_f32 v7, v11, s18, v7
	s_or_b32 s12, vcc_lo, s12
	global_store_dwordx4 v[2:3], v[4:7], off offset:-8
	v_add_co_u32 v2, s0, v2, s5
	v_add_co_ci_u32_e64 v3, null, 0, v3, s0
	s_andn2_b32 exec_lo, exec_lo, s12
	s_cbranch_execnz .LBB54_24
.LBB54_25:
	s_endpgm
	.section	.rodata,"a",@progbits
	.p2align	6, 0x0
	.amdhsa_kernel _ZN2at6native12_GLOBAL__N_125multi_tensor_apply_kernelINS1_28TensorListScalarListMetadataIfLi1EEENS1_25BinaryOpScalarListFunctorIfLi1ELi1ELi0EEEJSt7dividesIfEEEEvT_T0_DpT1_
		.amdhsa_group_segment_fixed_size 0
		.amdhsa_private_segment_fixed_size 0
		.amdhsa_kernarg_size 3784
		.amdhsa_user_sgpr_count 6
		.amdhsa_user_sgpr_private_segment_buffer 1
		.amdhsa_user_sgpr_dispatch_ptr 0
		.amdhsa_user_sgpr_queue_ptr 0
		.amdhsa_user_sgpr_kernarg_segment_ptr 1
		.amdhsa_user_sgpr_dispatch_id 0
		.amdhsa_user_sgpr_flat_scratch_init 0
		.amdhsa_user_sgpr_private_segment_size 0
		.amdhsa_wavefront_size32 1
		.amdhsa_uses_dynamic_stack 0
		.amdhsa_system_sgpr_private_segment_wavefront_offset 0
		.amdhsa_system_sgpr_workgroup_id_x 1
		.amdhsa_system_sgpr_workgroup_id_y 0
		.amdhsa_system_sgpr_workgroup_id_z 0
		.amdhsa_system_sgpr_workgroup_info 0
		.amdhsa_system_vgpr_workitem_id 0
		.amdhsa_next_free_vgpr 28
		.amdhsa_next_free_sgpr 24
		.amdhsa_reserve_vcc 1
		.amdhsa_reserve_flat_scratch 0
		.amdhsa_float_round_mode_32 0
		.amdhsa_float_round_mode_16_64 0
		.amdhsa_float_denorm_mode_32 3
		.amdhsa_float_denorm_mode_16_64 3
		.amdhsa_dx10_clamp 1
		.amdhsa_ieee_mode 1
		.amdhsa_fp16_overflow 0
		.amdhsa_workgroup_processor_mode 1
		.amdhsa_memory_ordered 1
		.amdhsa_forward_progress 1
		.amdhsa_shared_vgpr_count 0
		.amdhsa_exception_fp_ieee_invalid_op 0
		.amdhsa_exception_fp_denorm_src 0
		.amdhsa_exception_fp_ieee_div_zero 0
		.amdhsa_exception_fp_ieee_overflow 0
		.amdhsa_exception_fp_ieee_underflow 0
		.amdhsa_exception_fp_ieee_inexact 0
		.amdhsa_exception_int_div_zero 0
	.end_amdhsa_kernel
	.section	.text._ZN2at6native12_GLOBAL__N_125multi_tensor_apply_kernelINS1_28TensorListScalarListMetadataIfLi1EEENS1_25BinaryOpScalarListFunctorIfLi1ELi1ELi0EEEJSt7dividesIfEEEEvT_T0_DpT1_,"axG",@progbits,_ZN2at6native12_GLOBAL__N_125multi_tensor_apply_kernelINS1_28TensorListScalarListMetadataIfLi1EEENS1_25BinaryOpScalarListFunctorIfLi1ELi1ELi0EEEJSt7dividesIfEEEEvT_T0_DpT1_,comdat
.Lfunc_end54:
	.size	_ZN2at6native12_GLOBAL__N_125multi_tensor_apply_kernelINS1_28TensorListScalarListMetadataIfLi1EEENS1_25BinaryOpScalarListFunctorIfLi1ELi1ELi0EEEJSt7dividesIfEEEEvT_T0_DpT1_, .Lfunc_end54-_ZN2at6native12_GLOBAL__N_125multi_tensor_apply_kernelINS1_28TensorListScalarListMetadataIfLi1EEENS1_25BinaryOpScalarListFunctorIfLi1ELi1ELi0EEEJSt7dividesIfEEEEvT_T0_DpT1_
                                        ; -- End function
	.set _ZN2at6native12_GLOBAL__N_125multi_tensor_apply_kernelINS1_28TensorListScalarListMetadataIfLi1EEENS1_25BinaryOpScalarListFunctorIfLi1ELi1ELi0EEEJSt7dividesIfEEEEvT_T0_DpT1_.num_vgpr, 28
	.set _ZN2at6native12_GLOBAL__N_125multi_tensor_apply_kernelINS1_28TensorListScalarListMetadataIfLi1EEENS1_25BinaryOpScalarListFunctorIfLi1ELi1ELi0EEEJSt7dividesIfEEEEvT_T0_DpT1_.num_agpr, 0
	.set _ZN2at6native12_GLOBAL__N_125multi_tensor_apply_kernelINS1_28TensorListScalarListMetadataIfLi1EEENS1_25BinaryOpScalarListFunctorIfLi1ELi1ELi0EEEJSt7dividesIfEEEEvT_T0_DpT1_.numbered_sgpr, 24
	.set _ZN2at6native12_GLOBAL__N_125multi_tensor_apply_kernelINS1_28TensorListScalarListMetadataIfLi1EEENS1_25BinaryOpScalarListFunctorIfLi1ELi1ELi0EEEJSt7dividesIfEEEEvT_T0_DpT1_.num_named_barrier, 0
	.set _ZN2at6native12_GLOBAL__N_125multi_tensor_apply_kernelINS1_28TensorListScalarListMetadataIfLi1EEENS1_25BinaryOpScalarListFunctorIfLi1ELi1ELi0EEEJSt7dividesIfEEEEvT_T0_DpT1_.private_seg_size, 0
	.set _ZN2at6native12_GLOBAL__N_125multi_tensor_apply_kernelINS1_28TensorListScalarListMetadataIfLi1EEENS1_25BinaryOpScalarListFunctorIfLi1ELi1ELi0EEEJSt7dividesIfEEEEvT_T0_DpT1_.uses_vcc, 1
	.set _ZN2at6native12_GLOBAL__N_125multi_tensor_apply_kernelINS1_28TensorListScalarListMetadataIfLi1EEENS1_25BinaryOpScalarListFunctorIfLi1ELi1ELi0EEEJSt7dividesIfEEEEvT_T0_DpT1_.uses_flat_scratch, 0
	.set _ZN2at6native12_GLOBAL__N_125multi_tensor_apply_kernelINS1_28TensorListScalarListMetadataIfLi1EEENS1_25BinaryOpScalarListFunctorIfLi1ELi1ELi0EEEJSt7dividesIfEEEEvT_T0_DpT1_.has_dyn_sized_stack, 0
	.set _ZN2at6native12_GLOBAL__N_125multi_tensor_apply_kernelINS1_28TensorListScalarListMetadataIfLi1EEENS1_25BinaryOpScalarListFunctorIfLi1ELi1ELi0EEEJSt7dividesIfEEEEvT_T0_DpT1_.has_recursion, 0
	.set _ZN2at6native12_GLOBAL__N_125multi_tensor_apply_kernelINS1_28TensorListScalarListMetadataIfLi1EEENS1_25BinaryOpScalarListFunctorIfLi1ELi1ELi0EEEJSt7dividesIfEEEEvT_T0_DpT1_.has_indirect_call, 0
	.section	.AMDGPU.csdata,"",@progbits
; Kernel info:
; codeLenInByte = 1680
; TotalNumSgprs: 26
; NumVgprs: 28
; ScratchSize: 0
; MemoryBound: 0
; FloatMode: 240
; IeeeMode: 1
; LDSByteSize: 0 bytes/workgroup (compile time only)
; SGPRBlocks: 0
; VGPRBlocks: 3
; NumSGPRsForWavesPerEU: 26
; NumVGPRsForWavesPerEU: 28
; Occupancy: 16
; WaveLimiterHint : 0
; COMPUTE_PGM_RSRC2:SCRATCH_EN: 0
; COMPUTE_PGM_RSRC2:USER_SGPR: 6
; COMPUTE_PGM_RSRC2:TRAP_HANDLER: 0
; COMPUTE_PGM_RSRC2:TGID_X_EN: 1
; COMPUTE_PGM_RSRC2:TGID_Y_EN: 0
; COMPUTE_PGM_RSRC2:TGID_Z_EN: 0
; COMPUTE_PGM_RSRC2:TIDIG_COMP_CNT: 0
	.section	.text._ZN2at6native12_GLOBAL__N_125multi_tensor_apply_kernelINS1_28TensorListScalarListMetadataIN3c107complexIdEELi1EEENS1_25BinaryOpScalarListFunctorIS6_Li1ELi1ELi0EEEJSt7dividesIS6_EEEEvT_T0_DpT1_,"axG",@progbits,_ZN2at6native12_GLOBAL__N_125multi_tensor_apply_kernelINS1_28TensorListScalarListMetadataIN3c107complexIdEELi1EEENS1_25BinaryOpScalarListFunctorIS6_Li1ELi1ELi0EEEJSt7dividesIS6_EEEEvT_T0_DpT1_,comdat
	.globl	_ZN2at6native12_GLOBAL__N_125multi_tensor_apply_kernelINS1_28TensorListScalarListMetadataIN3c107complexIdEELi1EEENS1_25BinaryOpScalarListFunctorIS6_Li1ELi1ELi0EEEJSt7dividesIS6_EEEEvT_T0_DpT1_ ; -- Begin function _ZN2at6native12_GLOBAL__N_125multi_tensor_apply_kernelINS1_28TensorListScalarListMetadataIN3c107complexIdEELi1EEENS1_25BinaryOpScalarListFunctorIS6_Li1ELi1ELi0EEEJSt7dividesIS6_EEEEvT_T0_DpT1_
	.p2align	8
	.type	_ZN2at6native12_GLOBAL__N_125multi_tensor_apply_kernelINS1_28TensorListScalarListMetadataIN3c107complexIdEELi1EEENS1_25BinaryOpScalarListFunctorIS6_Li1ELi1ELi0EEEJSt7dividesIS6_EEEEvT_T0_DpT1_,@function
_ZN2at6native12_GLOBAL__N_125multi_tensor_apply_kernelINS1_28TensorListScalarListMetadataIN3c107complexIdEELi1EEENS1_25BinaryOpScalarListFunctorIS6_Li1ELi1ELi0EEEJSt7dividesIS6_EEEEvT_T0_DpT1_: ; @_ZN2at6native12_GLOBAL__N_125multi_tensor_apply_kernelINS1_28TensorListScalarListMetadataIN3c107complexIdEELi1EEENS1_25BinaryOpScalarListFunctorIS6_Li1ELi1ELi0EEEJSt7dividesIS6_EEEEvT_T0_DpT1_
; %bb.0:
	v_mov_b32_e32 v1, 0x800
	s_add_u32 s0, s4, s6
	s_addc_u32 s1, s5, 0
	s_mov_b32 s7, 0
	global_load_ubyte v1, v1, s[0:1] offset:256
	s_lshl_b64 s[0:1], s[6:7], 2
	s_add_u32 s0, s4, s0
	s_addc_u32 s1, s5, s1
	s_load_dword s0, s[0:1], 0xa40
	s_waitcnt vmcnt(0)
	v_readfirstlane_b32 s1, v1
	s_lshl_b32 s6, s1, 3
	s_waitcnt lgkmcnt(0)
	s_ashr_i32 s1, s0, 31
	s_clause 0x1
	s_load_dwordx2 s[12:13], s[4:5], s6 offset:0x0
	s_load_dwordx2 s[2:3], s[4:5], s6 offset:0x240
	s_add_u32 s8, s4, s6
	s_addc_u32 s9, s5, 0
	s_lshl_b64 s[14:15], s[0:1], 20
	s_load_dwordx4 s[8:11], s[8:9], s6 offset:0x480
	s_waitcnt lgkmcnt(0)
	s_add_u32 s28, s12, s14
	s_addc_u32 s29, s13, s15
	s_lshl_b64 s[0:1], s[0:1], 16
	s_and_b32 s6, s28, 63
	s_sub_u32 s16, s2, s0
	s_subb_u32 s17, s3, s1
	s_and_b32 s0, s2, 3
	s_mov_b32 s1, s7
	s_or_b64 s[0:1], s[6:7], s[0:1]
	s_cmp_eq_u64 s[0:1], 0
	s_cbranch_scc1 .LBB55_53
; %bb.1:
	v_cmp_lt_i64_e64 s0, s[16:17], 1
	s_and_b32 vcc_lo, exec_lo, s0
	s_cbranch_vccnz .LBB55_52
; %bb.2:
	v_div_scale_f64 v[1:2], null, s[8:9], s[8:9], s[10:11]
	v_div_scale_f64 v[7:8], vcc_lo, s[10:11], s[8:9], s[10:11]
	v_cmp_lt_f64_e64 s1, s[8:9], 0
	v_cmp_lt_f64_e64 s6, s[10:11], 0
	v_cmp_gt_i64_e64 s2, 0x10000, s[16:17]
	v_cmp_gt_u64_e64 s3, 0x10000, s[16:17]
	v_cmp_neq_f64_e64 s30, s[8:9], 0
	v_cmp_neq_f64_e64 s31, s[10:11], 0
	v_mov_b32_e32 v26, 0
	v_lshlrev_b32_e32 v25, 4, v0
	s_and_b32 s2, s2, exec_lo
	s_cselect_b32 s21, s17, 0
	s_cselect_b32 s20, s16, 0x10000
	s_mov_b64 s[18:19], 0
	v_rcp_f64_e32 v[3:4], v[1:2]
	v_fma_f64 v[5:6], -v[1:2], v[3:4], 1.0
	v_fma_f64 v[3:4], v[3:4], v[5:6], v[3:4]
	v_fma_f64 v[5:6], -v[1:2], v[3:4], 1.0
	v_fma_f64 v[3:4], v[3:4], v[5:6], v[3:4]
	v_mul_f64 v[5:6], v[7:8], v[3:4]
	v_fma_f64 v[1:2], -v[1:2], v[5:6], v[7:8]
	v_div_fmas_f64 v[1:2], v[1:2], v[3:4], v[5:6]
	v_div_scale_f64 v[5:6], null, s[10:11], s[10:11], s[8:9]
	v_div_fixup_f64 v[21:22], v[1:2], s[8:9], s[10:11]
	v_rcp_f64_e32 v[9:10], v[5:6]
	v_fma_f64 v[1:2], s[10:11], v[21:22], s[8:9]
	v_fma_f64 v[13:14], -v[5:6], v[9:10], 1.0
	v_div_scale_f64 v[3:4], null, v[1:2], v[1:2], 1.0
	v_div_scale_f64 v[15:16], vcc_lo, 1.0, v[1:2], 1.0
	v_fma_f64 v[9:10], v[9:10], v[13:14], v[9:10]
	v_rcp_f64_e32 v[7:8], v[3:4]
	v_fma_f64 v[13:14], -v[5:6], v[9:10], 1.0
	v_fma_f64 v[11:12], -v[3:4], v[7:8], 1.0
	v_fma_f64 v[9:10], v[9:10], v[13:14], v[9:10]
	v_fma_f64 v[7:8], v[7:8], v[11:12], v[7:8]
	v_fma_f64 v[11:12], -v[3:4], v[7:8], 1.0
	v_fma_f64 v[7:8], v[7:8], v[11:12], v[7:8]
	v_div_scale_f64 v[11:12], s0, s[8:9], s[10:11], s[8:9]
	v_mul_f64 v[13:14], v[15:16], v[7:8]
	v_mul_f64 v[17:18], v[11:12], v[9:10]
	v_fma_f64 v[3:4], -v[3:4], v[13:14], v[15:16]
	v_fma_f64 v[5:6], -v[5:6], v[17:18], v[11:12]
	v_div_fmas_f64 v[3:4], v[3:4], v[7:8], v[13:14]
	s_mov_b32 vcc_lo, s0
	s_load_dword s0, s[4:5], 0xf54
	v_div_fmas_f64 v[5:6], v[5:6], v[9:10], v[17:18]
	s_waitcnt lgkmcnt(0)
	s_and_b32 s0, s0, 0xffff
	s_and_b32 s2, s3, exec_lo
	s_cselect_b32 s23, s17, 0
	v_div_fixup_f64 v[23:24], v[5:6], s[10:11], s[8:9]
	s_cselect_b32 s22, s16, 0x10000
	s_lshl_b32 s2, s0, 1
	s_xor_b32 s7, s9, 0x80000000
	s_and_b32 s1, s1, exec_lo
	s_cselect_b32 s25, s7, s9
	s_cselect_b32 s24, s8, s8
	s_xor_b32 s1, s11, 0x80000000
	s_and_b32 s6, s6, exec_lo
	s_cselect_b32 s27, s1, s11
	s_cselect_b32 s26, s10, s10
	v_div_fixup_f64 v[28:29], v[3:4], v[1:2], 1.0
	v_cmp_ge_f64_e64 s7, s[24:25], s[26:27]
	v_add_co_u32 v32, s1, v0, s0
	v_mad_u64_u32 v[26:27], null, s0, 48, v[25:26]
	v_add_co_ci_u32_e64 v33, null, 0, 0, s1
	s_lshl_b32 s1, s0, 5
	s_mul_i32 s3, s0, 3
	v_add_co_u32 v1, s1, s1, v25
	v_fma_f64 v[5:6], s[8:9], v[23:24], s[10:11]
	v_add_co_u32 v34, s3, s3, v0
	v_add_co_ci_u32_e64 v37, null, 0, 0, s1
	v_add_co_u32 v39, s1, s2, v0
	v_or_b32_e32 v26, 8, v26
	v_add_co_ci_u32_e64 v35, null, 0, 0, s3
	v_lshlrev_b32_e32 v36, 4, v32
	v_or_b32_e32 v38, 8, v1
	v_add_co_ci_u32_e64 v40, null, 0, 0, s1
	s_or_b32 s30, s30, s31
	s_lshl_b32 s31, s0, 2
	s_lshl_b32 s33, s0, 6
	v_div_scale_f64 v[7:8], null, v[5:6], v[5:6], 1.0
	v_div_scale_f64 v[13:14], vcc_lo, 1.0, v[5:6], 1.0
	v_rcp_f64_e32 v[9:10], v[7:8]
	v_fma_f64 v[11:12], -v[7:8], v[9:10], 1.0
	v_fma_f64 v[9:10], v[9:10], v[11:12], v[9:10]
	v_fma_f64 v[11:12], -v[7:8], v[9:10], 1.0
	v_fma_f64 v[9:10], v[9:10], v[11:12], v[9:10]
	v_mul_f64 v[11:12], v[13:14], v[9:10]
	v_fma_f64 v[7:8], -v[7:8], v[11:12], v[13:14]
	v_div_fmas_f64 v[7:8], v[7:8], v[9:10], v[11:12]
	v_div_fixup_f64 v[30:31], v[7:8], v[5:6], 1.0
	s_branch .LBB55_4
.LBB55_3:                               ;   in Loop: Header=BB55_4 Depth=1
	s_or_b32 exec_lo, exec_lo, s0
	s_add_u32 s18, s18, s31
	s_addc_u32 s19, s19, 0
	s_add_u32 s28, s28, s33
	v_cmp_ge_i64_e64 s0, s[18:19], s[20:21]
	s_addc_u32 s29, s29, 0
	s_and_b32 vcc_lo, exec_lo, s0
	s_cbranch_vccnz .LBB55_52
.LBB55_4:                               ; =>This Inner Loop Header: Depth=1
	v_add_co_u32 v1, s0, v0, s18
	v_add_co_ci_u32_e64 v2, null, 0, s19, s0
	v_mov_b32_e32 v15, 0
	v_mov_b32_e32 v19, 0
	;; [unrolled: 1-line block ×3, first 2 shown]
	v_cmp_gt_u64_e64 s0, s[22:23], v[1:2]
	v_mov_b32_e32 v16, 0
	v_mov_b32_e32 v20, 0
	;; [unrolled: 1-line block ×3, first 2 shown]
	s_and_saveexec_b32 s1, s0
	s_cbranch_execz .LBB55_6
; %bb.5:                                ;   in Loop: Header=BB55_4 Depth=1
	v_add_co_u32 v1, s2, s28, v25
	v_add_co_ci_u32_e64 v2, null, s29, 0, s2
	global_load_dwordx4 v[17:20], v[1:2], off
.LBB55_6:                               ;   in Loop: Header=BB55_4 Depth=1
	s_or_b32 exec_lo, exec_lo, s1
	v_add_co_u32 v1, vcc_lo, v32, s18
	v_add_co_ci_u32_e64 v2, null, s19, v33, vcc_lo
	v_mov_b32_e32 v13, 0
	v_mov_b32_e32 v14, 0
	v_cmp_gt_u64_e64 s1, s[22:23], v[1:2]
	s_and_saveexec_b32 s2, s1
	s_cbranch_execz .LBB55_8
; %bb.7:                                ;   in Loop: Header=BB55_4 Depth=1
	v_add_co_u32 v1, s3, s28, v36
	v_add_co_ci_u32_e64 v2, null, s29, 0, s3
	global_load_dwordx4 v[13:16], v[1:2], off
.LBB55_8:                               ;   in Loop: Header=BB55_4 Depth=1
	s_or_b32 exec_lo, exec_lo, s2
	v_add_co_u32 v1, vcc_lo, v39, s18
	v_add_co_ci_u32_e64 v2, null, s19, v40, vcc_lo
	v_mov_b32_e32 v3, 0
	v_mov_b32_e32 v11, 0
	;; [unrolled: 1-line block ×3, first 2 shown]
	v_cmp_gt_u64_e64 s2, s[22:23], v[1:2]
	v_mov_b32_e32 v4, 0
	v_mov_b32_e32 v12, 0
	;; [unrolled: 1-line block ×3, first 2 shown]
	s_and_saveexec_b32 s3, s2
	s_cbranch_execz .LBB55_10
; %bb.9:                                ;   in Loop: Header=BB55_4 Depth=1
	v_add_co_u32 v1, vcc_lo, s28, v38
	v_add_co_ci_u32_e64 v2, null, s29, v37, vcc_lo
	global_load_dwordx4 v[9:12], v[1:2], off offset:-8
.LBB55_10:                              ;   in Loop: Header=BB55_4 Depth=1
	s_or_b32 exec_lo, exec_lo, s3
	v_add_co_u32 v1, vcc_lo, v34, s18
	v_add_co_ci_u32_e64 v2, null, s19, v35, vcc_lo
	v_cmp_gt_u64_e64 s3, s[22:23], v[1:2]
	v_mov_b32_e32 v1, 0
	v_mov_b32_e32 v2, 0
	s_and_saveexec_b32 s6, s3
	s_cbranch_execz .LBB55_12
; %bb.11:                               ;   in Loop: Header=BB55_4 Depth=1
	v_add_co_u32 v1, vcc_lo, s28, v26
	v_add_co_ci_u32_e64 v2, null, s29, v27, vcc_lo
	global_load_dwordx4 v[1:4], v[1:2], off offset:-8
.LBB55_12:                              ;   in Loop: Header=BB55_4 Depth=1
	s_or_b32 exec_lo, exec_lo, s6
	s_and_b32 vcc_lo, exec_lo, s7
	s_mov_b32 s6, -1
                                        ; implicit-def: $vgpr7_vgpr8
	s_cbranch_vccz .LBB55_18
; %bb.13:                               ;   in Loop: Header=BB55_4 Depth=1
	s_and_b32 vcc_lo, exec_lo, s30
                                        ; implicit-def: $vgpr7_vgpr8
	s_cbranch_vccz .LBB55_15
; %bb.14:                               ;   in Loop: Header=BB55_4 Depth=1
	s_waitcnt vmcnt(0)
	v_fma_f64 v[5:6], v[21:22], v[19:20], v[17:18]
	v_fma_f64 v[7:8], -v[21:22], v[17:18], v[19:20]
	s_mov_b32 s6, 0
	v_mul_f64 v[5:6], v[28:29], v[5:6]
	v_mul_f64 v[7:8], v[28:29], v[7:8]
.LBB55_15:                              ;   in Loop: Header=BB55_4 Depth=1
	s_andn2_b32 vcc_lo, exec_lo, s6
	s_cbranch_vccnz .LBB55_17
; %bb.16:                               ;   in Loop: Header=BB55_4 Depth=1
	s_waitcnt vmcnt(0)
	v_div_scale_f64 v[5:6], null, s[24:25], s[24:25], v[17:18]
	v_div_scale_f64 v[7:8], null, s[26:27], s[26:27], v[19:20]
	v_div_scale_f64 v[49:50], vcc_lo, v[17:18], s[24:25], v[17:18]
	v_rcp_f64_e32 v[41:42], v[5:6]
	v_rcp_f64_e32 v[43:44], v[7:8]
	v_fma_f64 v[45:46], -v[5:6], v[41:42], 1.0
	v_fma_f64 v[47:48], -v[7:8], v[43:44], 1.0
	v_fma_f64 v[41:42], v[41:42], v[45:46], v[41:42]
	v_fma_f64 v[43:44], v[43:44], v[47:48], v[43:44]
	v_fma_f64 v[45:46], -v[5:6], v[41:42], 1.0
	v_fma_f64 v[47:48], -v[7:8], v[43:44], 1.0
	v_fma_f64 v[41:42], v[41:42], v[45:46], v[41:42]
	v_div_scale_f64 v[45:46], s6, v[19:20], s[26:27], v[19:20]
	v_fma_f64 v[43:44], v[43:44], v[47:48], v[43:44]
	v_mul_f64 v[47:48], v[49:50], v[41:42]
	v_mul_f64 v[51:52], v[45:46], v[43:44]
	v_fma_f64 v[5:6], -v[5:6], v[47:48], v[49:50]
	v_fma_f64 v[7:8], -v[7:8], v[51:52], v[45:46]
	v_div_fmas_f64 v[5:6], v[5:6], v[41:42], v[47:48]
	s_mov_b32 vcc_lo, s6
	v_div_fmas_f64 v[7:8], v[7:8], v[43:44], v[51:52]
	v_div_fixup_f64 v[5:6], v[5:6], s[24:25], v[17:18]
	v_div_fixup_f64 v[7:8], v[7:8], s[26:27], v[19:20]
.LBB55_17:                              ;   in Loop: Header=BB55_4 Depth=1
	s_cbranch_execz .LBB55_19
	s_branch .LBB55_20
.LBB55_18:                              ;   in Loop: Header=BB55_4 Depth=1
	s_andn2_b32 vcc_lo, exec_lo, s6
	s_cbranch_vccnz .LBB55_20
.LBB55_19:                              ;   in Loop: Header=BB55_4 Depth=1
	s_waitcnt vmcnt(0)
	v_fma_f64 v[5:6], v[23:24], v[17:18], v[19:20]
	v_fma_f64 v[7:8], v[23:24], v[19:20], -v[17:18]
	v_mul_f64 v[5:6], v[30:31], v[5:6]
	v_mul_f64 v[7:8], v[30:31], v[7:8]
.LBB55_20:                              ;   in Loop: Header=BB55_4 Depth=1
	s_waitcnt vmcnt(0)
	v_cndmask_b32_e64 v17, 0, 1, s30
	s_andn2_b32 vcc_lo, exec_lo, s7
	s_mov_b32 s34, -1
	v_cmp_ne_u32_e64 s6, 1, v17
                                        ; implicit-def: $vgpr19_vgpr20
	s_cbranch_vccnz .LBB55_42
; %bb.21:                               ;   in Loop: Header=BB55_4 Depth=1
	s_and_b32 vcc_lo, exec_lo, s6
	s_mov_b32 s6, -1
                                        ; implicit-def: $vgpr19_vgpr20
	s_cbranch_vccnz .LBB55_23
; %bb.22:                               ;   in Loop: Header=BB55_4 Depth=1
	v_fma_f64 v[17:18], v[21:22], v[15:16], v[13:14]
	v_fma_f64 v[19:20], -v[21:22], v[13:14], v[15:16]
	s_mov_b32 s6, 0
	v_mul_f64 v[17:18], v[28:29], v[17:18]
	v_mul_f64 v[19:20], v[28:29], v[19:20]
.LBB55_23:                              ;   in Loop: Header=BB55_4 Depth=1
	s_andn2_b32 vcc_lo, exec_lo, s6
	s_cbranch_vccnz .LBB55_25
; %bb.24:                               ;   in Loop: Header=BB55_4 Depth=1
	v_div_scale_f64 v[17:18], null, s[24:25], s[24:25], v[13:14]
	v_div_scale_f64 v[19:20], null, s[26:27], s[26:27], v[15:16]
	v_div_scale_f64 v[49:50], vcc_lo, v[13:14], s[24:25], v[13:14]
	v_rcp_f64_e32 v[41:42], v[17:18]
	v_rcp_f64_e32 v[43:44], v[19:20]
	v_fma_f64 v[45:46], -v[17:18], v[41:42], 1.0
	v_fma_f64 v[47:48], -v[19:20], v[43:44], 1.0
	v_fma_f64 v[41:42], v[41:42], v[45:46], v[41:42]
	v_fma_f64 v[43:44], v[43:44], v[47:48], v[43:44]
	v_fma_f64 v[45:46], -v[17:18], v[41:42], 1.0
	v_fma_f64 v[47:48], -v[19:20], v[43:44], 1.0
	v_fma_f64 v[41:42], v[41:42], v[45:46], v[41:42]
	v_div_scale_f64 v[45:46], s6, v[15:16], s[26:27], v[15:16]
	v_fma_f64 v[43:44], v[43:44], v[47:48], v[43:44]
	v_mul_f64 v[47:48], v[49:50], v[41:42]
	v_mul_f64 v[51:52], v[45:46], v[43:44]
	v_fma_f64 v[17:18], -v[17:18], v[47:48], v[49:50]
	v_fma_f64 v[19:20], -v[19:20], v[51:52], v[45:46]
	v_div_fmas_f64 v[17:18], v[17:18], v[41:42], v[47:48]
	s_mov_b32 vcc_lo, s6
	v_div_fmas_f64 v[19:20], v[19:20], v[43:44], v[51:52]
	v_div_fixup_f64 v[17:18], v[17:18], s[24:25], v[13:14]
	v_div_fixup_f64 v[19:20], v[19:20], s[26:27], v[15:16]
.LBB55_25:                              ;   in Loop: Header=BB55_4 Depth=1
	s_cbranch_execz .LBB55_43
.LBB55_26:                              ;   in Loop: Header=BB55_4 Depth=1
	s_andn2_b32 vcc_lo, exec_lo, s7
	s_mov_b32 s6, -1
                                        ; implicit-def: $vgpr15_vgpr16
	s_cbranch_vccnz .LBB55_44
.LBB55_27:                              ;   in Loop: Header=BB55_4 Depth=1
	s_andn2_b32 vcc_lo, exec_lo, s30
                                        ; implicit-def: $vgpr15_vgpr16
	s_cbranch_vccnz .LBB55_29
; %bb.28:                               ;   in Loop: Header=BB55_4 Depth=1
	v_fma_f64 v[13:14], v[21:22], v[11:12], v[9:10]
	v_fma_f64 v[15:16], -v[21:22], v[9:10], v[11:12]
	s_mov_b32 s6, 0
	v_mul_f64 v[13:14], v[28:29], v[13:14]
	v_mul_f64 v[15:16], v[28:29], v[15:16]
.LBB55_29:                              ;   in Loop: Header=BB55_4 Depth=1
	s_andn2_b32 vcc_lo, exec_lo, s6
	s_cbranch_vccnz .LBB55_31
; %bb.30:                               ;   in Loop: Header=BB55_4 Depth=1
	v_div_scale_f64 v[13:14], null, s[24:25], s[24:25], v[9:10]
	v_div_scale_f64 v[15:16], null, s[26:27], s[26:27], v[11:12]
	v_div_scale_f64 v[49:50], vcc_lo, v[9:10], s[24:25], v[9:10]
	v_rcp_f64_e32 v[41:42], v[13:14]
	v_rcp_f64_e32 v[43:44], v[15:16]
	v_fma_f64 v[45:46], -v[13:14], v[41:42], 1.0
	v_fma_f64 v[47:48], -v[15:16], v[43:44], 1.0
	v_fma_f64 v[41:42], v[41:42], v[45:46], v[41:42]
	v_fma_f64 v[43:44], v[43:44], v[47:48], v[43:44]
	v_fma_f64 v[45:46], -v[13:14], v[41:42], 1.0
	v_fma_f64 v[47:48], -v[15:16], v[43:44], 1.0
	v_fma_f64 v[41:42], v[41:42], v[45:46], v[41:42]
	v_div_scale_f64 v[45:46], s6, v[11:12], s[26:27], v[11:12]
	v_fma_f64 v[43:44], v[43:44], v[47:48], v[43:44]
	v_mul_f64 v[47:48], v[49:50], v[41:42]
	v_mul_f64 v[51:52], v[45:46], v[43:44]
	v_fma_f64 v[13:14], -v[13:14], v[47:48], v[49:50]
	v_fma_f64 v[15:16], -v[15:16], v[51:52], v[45:46]
	v_div_fmas_f64 v[13:14], v[13:14], v[41:42], v[47:48]
	s_mov_b32 vcc_lo, s6
	v_div_fmas_f64 v[15:16], v[15:16], v[43:44], v[51:52]
	v_div_fixup_f64 v[13:14], v[13:14], s[24:25], v[9:10]
	v_div_fixup_f64 v[15:16], v[15:16], s[26:27], v[11:12]
.LBB55_31:                              ;   in Loop: Header=BB55_4 Depth=1
	s_cbranch_execz .LBB55_45
.LBB55_32:                              ;   in Loop: Header=BB55_4 Depth=1
	s_andn2_b32 vcc_lo, exec_lo, s7
	s_mov_b32 s6, -1
                                        ; implicit-def: $vgpr11_vgpr12
	s_cbranch_vccnz .LBB55_46
.LBB55_33:                              ;   in Loop: Header=BB55_4 Depth=1
	s_andn2_b32 vcc_lo, exec_lo, s30
                                        ; implicit-def: $vgpr11_vgpr12
	s_cbranch_vccnz .LBB55_35
; %bb.34:                               ;   in Loop: Header=BB55_4 Depth=1
	v_fma_f64 v[9:10], v[21:22], v[3:4], v[1:2]
	v_fma_f64 v[11:12], -v[21:22], v[1:2], v[3:4]
	s_mov_b32 s6, 0
	v_mul_f64 v[9:10], v[28:29], v[9:10]
	v_mul_f64 v[11:12], v[28:29], v[11:12]
.LBB55_35:                              ;   in Loop: Header=BB55_4 Depth=1
	s_andn2_b32 vcc_lo, exec_lo, s6
	s_cbranch_vccnz .LBB55_37
; %bb.36:                               ;   in Loop: Header=BB55_4 Depth=1
	v_div_scale_f64 v[9:10], null, s[24:25], s[24:25], v[1:2]
	v_div_scale_f64 v[11:12], null, s[26:27], s[26:27], v[3:4]
	v_div_scale_f64 v[49:50], vcc_lo, v[1:2], s[24:25], v[1:2]
	v_rcp_f64_e32 v[41:42], v[9:10]
	v_rcp_f64_e32 v[43:44], v[11:12]
	v_fma_f64 v[45:46], -v[9:10], v[41:42], 1.0
	v_fma_f64 v[47:48], -v[11:12], v[43:44], 1.0
	v_fma_f64 v[41:42], v[41:42], v[45:46], v[41:42]
	v_fma_f64 v[43:44], v[43:44], v[47:48], v[43:44]
	v_fma_f64 v[45:46], -v[9:10], v[41:42], 1.0
	v_fma_f64 v[47:48], -v[11:12], v[43:44], 1.0
	v_fma_f64 v[41:42], v[41:42], v[45:46], v[41:42]
	v_div_scale_f64 v[45:46], s6, v[3:4], s[26:27], v[3:4]
	v_fma_f64 v[43:44], v[43:44], v[47:48], v[43:44]
	v_mul_f64 v[47:48], v[49:50], v[41:42]
	v_mul_f64 v[51:52], v[45:46], v[43:44]
	v_fma_f64 v[9:10], -v[9:10], v[47:48], v[49:50]
	v_fma_f64 v[11:12], -v[11:12], v[51:52], v[45:46]
	v_div_fmas_f64 v[9:10], v[9:10], v[41:42], v[47:48]
	s_mov_b32 vcc_lo, s6
	v_div_fmas_f64 v[11:12], v[11:12], v[43:44], v[51:52]
	v_div_fixup_f64 v[9:10], v[9:10], s[24:25], v[1:2]
	v_div_fixup_f64 v[11:12], v[11:12], s[26:27], v[3:4]
.LBB55_37:                              ;   in Loop: Header=BB55_4 Depth=1
	s_cbranch_execz .LBB55_47
.LBB55_38:                              ;   in Loop: Header=BB55_4 Depth=1
	s_and_saveexec_b32 s6, s0
	s_xor_b32 s0, exec_lo, s6
	s_cbranch_execz .LBB55_48
.LBB55_39:                              ;   in Loop: Header=BB55_4 Depth=1
	v_add_co_u32 v1, s6, s28, v25
	v_add_co_ci_u32_e64 v2, null, s29, 0, s6
	global_store_dwordx4 v[1:2], v[5:8], off
	s_or_b32 exec_lo, exec_lo, s0
	s_and_saveexec_b32 s0, s1
	s_cbranch_execnz .LBB55_49
.LBB55_40:                              ;   in Loop: Header=BB55_4 Depth=1
	s_or_b32 exec_lo, exec_lo, s0
	s_and_saveexec_b32 s0, s2
	s_cbranch_execz .LBB55_50
.LBB55_41:                              ;   in Loop: Header=BB55_4 Depth=1
	v_add_co_u32 v1, vcc_lo, s28, v38
	v_add_co_ci_u32_e64 v2, null, s29, v37, vcc_lo
	global_store_dwordx4 v[1:2], v[13:16], off offset:-8
	s_or_b32 exec_lo, exec_lo, s0
	s_and_saveexec_b32 s0, s3
	s_cbranch_execz .LBB55_3
	s_branch .LBB55_51
.LBB55_42:                              ;   in Loop: Header=BB55_4 Depth=1
	s_andn2_b32 vcc_lo, exec_lo, s34
	s_cbranch_vccnz .LBB55_26
.LBB55_43:                              ;   in Loop: Header=BB55_4 Depth=1
	v_fma_f64 v[17:18], v[23:24], v[13:14], v[15:16]
	v_fma_f64 v[13:14], v[23:24], v[15:16], -v[13:14]
	v_mul_f64 v[17:18], v[30:31], v[17:18]
	v_mul_f64 v[19:20], v[30:31], v[13:14]
	s_andn2_b32 vcc_lo, exec_lo, s7
	s_mov_b32 s6, -1
                                        ; implicit-def: $vgpr15_vgpr16
	s_cbranch_vccz .LBB55_27
.LBB55_44:                              ;   in Loop: Header=BB55_4 Depth=1
	s_andn2_b32 vcc_lo, exec_lo, s6
	s_cbranch_vccnz .LBB55_32
.LBB55_45:                              ;   in Loop: Header=BB55_4 Depth=1
	v_fma_f64 v[13:14], v[23:24], v[9:10], v[11:12]
	v_fma_f64 v[9:10], v[23:24], v[11:12], -v[9:10]
	v_mul_f64 v[13:14], v[30:31], v[13:14]
	v_mul_f64 v[15:16], v[30:31], v[9:10]
	s_andn2_b32 vcc_lo, exec_lo, s7
	s_mov_b32 s6, -1
                                        ; implicit-def: $vgpr11_vgpr12
	s_cbranch_vccz .LBB55_33
.LBB55_46:                              ;   in Loop: Header=BB55_4 Depth=1
	s_andn2_b32 vcc_lo, exec_lo, s6
	s_cbranch_vccnz .LBB55_38
.LBB55_47:                              ;   in Loop: Header=BB55_4 Depth=1
	v_fma_f64 v[9:10], v[23:24], v[1:2], v[3:4]
	v_fma_f64 v[1:2], v[23:24], v[3:4], -v[1:2]
	v_mul_f64 v[9:10], v[30:31], v[9:10]
	v_mul_f64 v[11:12], v[30:31], v[1:2]
	s_and_saveexec_b32 s6, s0
	s_xor_b32 s0, exec_lo, s6
	s_cbranch_execnz .LBB55_39
.LBB55_48:                              ;   in Loop: Header=BB55_4 Depth=1
	s_or_b32 exec_lo, exec_lo, s0
	s_and_saveexec_b32 s0, s1
	s_cbranch_execz .LBB55_40
.LBB55_49:                              ;   in Loop: Header=BB55_4 Depth=1
	v_add_co_u32 v1, s1, s28, v36
	v_add_co_ci_u32_e64 v2, null, s29, 0, s1
	global_store_dwordx4 v[1:2], v[17:20], off
	s_or_b32 exec_lo, exec_lo, s0
	s_and_saveexec_b32 s0, s2
	s_cbranch_execnz .LBB55_41
.LBB55_50:                              ;   in Loop: Header=BB55_4 Depth=1
	s_or_b32 exec_lo, exec_lo, s0
	s_and_saveexec_b32 s0, s3
	s_cbranch_execz .LBB55_3
.LBB55_51:                              ;   in Loop: Header=BB55_4 Depth=1
	v_add_co_u32 v1, vcc_lo, s28, v26
	v_add_co_ci_u32_e64 v2, null, s29, v27, vcc_lo
	global_store_dwordx4 v[1:2], v[9:12], off offset:-8
	s_branch .LBB55_3
.LBB55_52:
	s_cbranch_execz .LBB55_54
	s_branch .LBB55_89
.LBB55_53:
.LBB55_54:
	v_cmp_gt_i64_e64 s0, 0x10000, s[16:17]
	v_mov_b32_e32 v2, 0
	v_lshlrev_b32_e32 v1, 2, v0
	s_mov_b32 s1, 0
	s_and_b32 s0, s0, exec_lo
	s_cselect_b32 s3, s17, 0
	s_cselect_b32 s2, s16, 0x10000
	s_mov_b32 s0, exec_lo
	v_cmpx_gt_i64_e64 s[2:3], v[1:2]
	s_cbranch_execz .LBB55_89
; %bb.55:
	v_div_scale_f64 v[3:4], null, s[8:9], s[8:9], s[10:11]
	v_div_scale_f64 v[9:10], vcc_lo, s[10:11], s[8:9], s[10:11]
	v_cmp_lt_f64_e64 s16, s[10:11], 0
	v_cmp_neq_f64_e64 s17, s[8:9], 0
	v_cmp_neq_f64_e64 s18, s[10:11], 0
	s_xor_b32 s6, s9, 0x80000000
	v_mov_b32_e32 v1, v2
	v_lshlrev_b32_e32 v2, 6, v0
	v_rcp_f64_e32 v[5:6], v[3:4]
	v_fma_f64 v[7:8], -v[3:4], v[5:6], 1.0
	v_fma_f64 v[5:6], v[5:6], v[7:8], v[5:6]
	v_fma_f64 v[7:8], -v[3:4], v[5:6], 1.0
	v_fma_f64 v[5:6], v[5:6], v[7:8], v[5:6]
	v_mul_f64 v[7:8], v[9:10], v[5:6]
	v_fma_f64 v[3:4], -v[3:4], v[7:8], v[9:10]
	v_div_fmas_f64 v[3:4], v[3:4], v[5:6], v[7:8]
	v_div_scale_f64 v[7:8], null, s[10:11], s[10:11], s[8:9]
	v_div_fixup_f64 v[22:23], v[3:4], s[8:9], s[10:11]
	v_rcp_f64_e32 v[11:12], v[7:8]
	v_fma_f64 v[3:4], s[10:11], v[22:23], s[8:9]
	v_fma_f64 v[15:16], -v[7:8], v[11:12], 1.0
	v_div_scale_f64 v[5:6], null, v[3:4], v[3:4], 1.0
	v_div_scale_f64 v[17:18], vcc_lo, 1.0, v[3:4], 1.0
	v_fma_f64 v[11:12], v[11:12], v[15:16], v[11:12]
	v_rcp_f64_e32 v[9:10], v[5:6]
	v_fma_f64 v[15:16], -v[7:8], v[11:12], 1.0
	v_fma_f64 v[13:14], -v[5:6], v[9:10], 1.0
	v_fma_f64 v[11:12], v[11:12], v[15:16], v[11:12]
	v_fma_f64 v[9:10], v[9:10], v[13:14], v[9:10]
	v_fma_f64 v[13:14], -v[5:6], v[9:10], 1.0
	v_fma_f64 v[9:10], v[9:10], v[13:14], v[9:10]
	v_div_scale_f64 v[13:14], s0, s[8:9], s[10:11], s[8:9]
	v_mul_f64 v[15:16], v[17:18], v[9:10]
	v_mul_f64 v[19:20], v[13:14], v[11:12]
	v_fma_f64 v[5:6], -v[5:6], v[15:16], v[17:18]
	v_fma_f64 v[7:8], -v[7:8], v[19:20], v[13:14]
	v_div_fmas_f64 v[5:6], v[5:6], v[9:10], v[15:16]
	s_mov_b32 vcc_lo, s0
	v_cmp_lt_f64_e64 s0, s[8:9], 0
	v_div_fmas_f64 v[7:8], v[7:8], v[11:12], v[19:20]
	v_div_fixup_f64 v[26:27], v[5:6], v[3:4], 1.0
	s_and_b32 s0, s0, exec_lo
	v_div_fixup_f64 v[24:25], v[7:8], s[10:11], s[8:9]
	s_load_dword s0, s[4:5], 0xf54
	s_cselect_b32 s7, s6, s9
	s_cselect_b32 s6, s8, s8
	s_xor_b32 s4, s11, 0x80000000
	s_and_b32 s5, s16, exec_lo
	s_cselect_b32 s5, s4, s11
	s_cselect_b32 s4, s10, s10
	v_fma_f64 v[7:8], s[8:9], v[24:25], s[10:11]
	v_cmp_ge_f64_e64 s8, s[6:7], s[4:5]
	s_or_b32 s9, s17, s18
	s_waitcnt lgkmcnt(0)
	s_and_b32 s10, s0, 0xffff
	s_add_u32 s0, s12, s14
	s_addc_u32 s11, s13, s15
	v_add_co_u32 v30, s0, s0, v2
	v_add_co_ci_u32_e64 v31, null, s11, 0, s0
	s_lshl_b32 s11, s10, 6
	v_div_scale_f64 v[9:10], null, v[7:8], v[7:8], 1.0
	v_rcp_f64_e32 v[11:12], v[9:10]
	v_fma_f64 v[13:14], -v[9:10], v[11:12], 1.0
	v_fma_f64 v[11:12], v[11:12], v[13:14], v[11:12]
	v_fma_f64 v[13:14], -v[9:10], v[11:12], 1.0
	v_fma_f64 v[11:12], v[11:12], v[13:14], v[11:12]
	v_div_scale_f64 v[13:14], vcc_lo, 1.0, v[7:8], 1.0
	v_mul_f64 v[15:16], v[13:14], v[11:12]
	v_fma_f64 v[9:10], -v[9:10], v[15:16], v[13:14]
	v_div_fmas_f64 v[9:10], v[9:10], v[11:12], v[15:16]
	v_div_fixup_f64 v[28:29], v[9:10], v[7:8], 1.0
	s_branch .LBB55_57
.LBB55_56:                              ;   in Loop: Header=BB55_57 Depth=1
	v_add_co_u32 v0, vcc_lo, v0, s10
	v_add_co_ci_u32_e64 v1, null, 0, v1, vcc_lo
	global_store_dwordx4 v[30:31], v[6:9], off
	s_waitcnt vmcnt(0)
	global_store_dwordx4 v[30:31], v[14:17], off offset:16
	global_store_dwordx4 v[30:31], v[18:21], off offset:32
	;; [unrolled: 1-line block ×3, first 2 shown]
	v_add_co_u32 v30, s0, v30, s11
	v_lshlrev_b64 v[2:3], 2, v[0:1]
	v_add_co_ci_u32_e64 v31, null, 0, v31, s0
	v_cmp_le_i64_e32 vcc_lo, s[2:3], v[2:3]
	s_or_b32 s1, vcc_lo, s1
	s_andn2_b32 exec_lo, exec_lo, s1
	s_cbranch_execz .LBB55_89
.LBB55_57:                              ; =>This Inner Loop Header: Depth=1
	s_clause 0x3
	global_load_dwordx4 v[2:5], v[30:31], off offset:48
	global_load_dwordx4 v[10:13], v[30:31], off offset:32
	;; [unrolled: 1-line block ×3, first 2 shown]
	global_load_dwordx4 v[14:17], v[30:31], off
	s_andn2_b32 vcc_lo, exec_lo, s8
	s_mov_b32 s0, -1
                                        ; implicit-def: $vgpr8_vgpr9
	s_cbranch_vccnz .LBB55_81
; %bb.58:                               ;   in Loop: Header=BB55_57 Depth=1
	s_and_b32 vcc_lo, exec_lo, s9
                                        ; implicit-def: $vgpr8_vgpr9
	s_cbranch_vccz .LBB55_60
; %bb.59:                               ;   in Loop: Header=BB55_57 Depth=1
	s_waitcnt vmcnt(0)
	v_fma_f64 v[6:7], v[22:23], v[16:17], v[14:15]
	v_fma_f64 v[8:9], -v[22:23], v[14:15], v[16:17]
	s_mov_b32 s0, 0
	v_mul_f64 v[6:7], v[26:27], v[6:7]
	v_mul_f64 v[8:9], v[26:27], v[8:9]
.LBB55_60:                              ;   in Loop: Header=BB55_57 Depth=1
	s_andn2_b32 vcc_lo, exec_lo, s0
	s_cbranch_vccnz .LBB55_62
; %bb.61:                               ;   in Loop: Header=BB55_57 Depth=1
	s_waitcnt vmcnt(0)
	v_div_scale_f64 v[6:7], null, s[6:7], s[6:7], v[14:15]
	v_div_scale_f64 v[8:9], null, s[4:5], s[4:5], v[16:17]
	v_div_scale_f64 v[40:41], vcc_lo, v[14:15], s[6:7], v[14:15]
	v_rcp_f64_e32 v[32:33], v[6:7]
	v_rcp_f64_e32 v[34:35], v[8:9]
	v_fma_f64 v[36:37], -v[6:7], v[32:33], 1.0
	v_fma_f64 v[38:39], -v[8:9], v[34:35], 1.0
	v_fma_f64 v[32:33], v[32:33], v[36:37], v[32:33]
	v_fma_f64 v[34:35], v[34:35], v[38:39], v[34:35]
	v_fma_f64 v[36:37], -v[6:7], v[32:33], 1.0
	v_fma_f64 v[38:39], -v[8:9], v[34:35], 1.0
	v_fma_f64 v[32:33], v[32:33], v[36:37], v[32:33]
	v_div_scale_f64 v[36:37], s0, v[16:17], s[4:5], v[16:17]
	v_fma_f64 v[34:35], v[34:35], v[38:39], v[34:35]
	v_mul_f64 v[38:39], v[40:41], v[32:33]
	v_mul_f64 v[42:43], v[36:37], v[34:35]
	v_fma_f64 v[6:7], -v[6:7], v[38:39], v[40:41]
	v_fma_f64 v[8:9], -v[8:9], v[42:43], v[36:37]
	v_div_fmas_f64 v[6:7], v[6:7], v[32:33], v[38:39]
	s_mov_b32 vcc_lo, s0
	v_div_fmas_f64 v[8:9], v[8:9], v[34:35], v[42:43]
	v_div_fixup_f64 v[6:7], v[6:7], s[6:7], v[14:15]
	v_div_fixup_f64 v[8:9], v[8:9], s[4:5], v[16:17]
.LBB55_62:                              ;   in Loop: Header=BB55_57 Depth=1
	s_cbranch_execz .LBB55_82
.LBB55_63:                              ;   in Loop: Header=BB55_57 Depth=1
	s_andn2_b32 vcc_lo, exec_lo, s8
	s_mov_b32 s0, -1
                                        ; implicit-def: $vgpr16_vgpr17
	s_cbranch_vccnz .LBB55_83
.LBB55_64:                              ;   in Loop: Header=BB55_57 Depth=1
	s_andn2_b32 vcc_lo, exec_lo, s9
                                        ; implicit-def: $vgpr16_vgpr17
	s_cbranch_vccnz .LBB55_66
; %bb.65:                               ;   in Loop: Header=BB55_57 Depth=1
	s_waitcnt vmcnt(0)
	v_fma_f64 v[14:15], v[22:23], v[20:21], v[18:19]
	v_fma_f64 v[16:17], -v[22:23], v[18:19], v[20:21]
	s_mov_b32 s0, 0
	v_mul_f64 v[14:15], v[26:27], v[14:15]
	v_mul_f64 v[16:17], v[26:27], v[16:17]
.LBB55_66:                              ;   in Loop: Header=BB55_57 Depth=1
	s_andn2_b32 vcc_lo, exec_lo, s0
	s_cbranch_vccnz .LBB55_68
; %bb.67:                               ;   in Loop: Header=BB55_57 Depth=1
	s_waitcnt vmcnt(0)
	v_div_scale_f64 v[14:15], null, s[6:7], s[6:7], v[18:19]
	v_div_scale_f64 v[16:17], null, s[4:5], s[4:5], v[20:21]
	v_div_scale_f64 v[40:41], vcc_lo, v[18:19], s[6:7], v[18:19]
	v_rcp_f64_e32 v[32:33], v[14:15]
	v_rcp_f64_e32 v[34:35], v[16:17]
	v_fma_f64 v[36:37], -v[14:15], v[32:33], 1.0
	v_fma_f64 v[38:39], -v[16:17], v[34:35], 1.0
	v_fma_f64 v[32:33], v[32:33], v[36:37], v[32:33]
	v_fma_f64 v[34:35], v[34:35], v[38:39], v[34:35]
	v_fma_f64 v[36:37], -v[14:15], v[32:33], 1.0
	v_fma_f64 v[38:39], -v[16:17], v[34:35], 1.0
	v_fma_f64 v[32:33], v[32:33], v[36:37], v[32:33]
	v_div_scale_f64 v[36:37], s0, v[20:21], s[4:5], v[20:21]
	v_fma_f64 v[34:35], v[34:35], v[38:39], v[34:35]
	v_mul_f64 v[38:39], v[40:41], v[32:33]
	v_mul_f64 v[42:43], v[36:37], v[34:35]
	v_fma_f64 v[14:15], -v[14:15], v[38:39], v[40:41]
	v_fma_f64 v[16:17], -v[16:17], v[42:43], v[36:37]
	v_div_fmas_f64 v[14:15], v[14:15], v[32:33], v[38:39]
	s_mov_b32 vcc_lo, s0
	v_div_fmas_f64 v[16:17], v[16:17], v[34:35], v[42:43]
	v_div_fixup_f64 v[14:15], v[14:15], s[6:7], v[18:19]
	v_div_fixup_f64 v[16:17], v[16:17], s[4:5], v[20:21]
.LBB55_68:                              ;   in Loop: Header=BB55_57 Depth=1
	s_cbranch_execz .LBB55_84
.LBB55_69:                              ;   in Loop: Header=BB55_57 Depth=1
	s_andn2_b32 vcc_lo, exec_lo, s8
	s_mov_b32 s0, -1
                                        ; implicit-def: $vgpr20_vgpr21
	s_cbranch_vccnz .LBB55_85
.LBB55_70:                              ;   in Loop: Header=BB55_57 Depth=1
	s_andn2_b32 vcc_lo, exec_lo, s9
                                        ; implicit-def: $vgpr20_vgpr21
	s_cbranch_vccnz .LBB55_72
; %bb.71:                               ;   in Loop: Header=BB55_57 Depth=1
	s_waitcnt vmcnt(1)
	v_fma_f64 v[18:19], v[22:23], v[12:13], v[10:11]
	v_fma_f64 v[20:21], -v[22:23], v[10:11], v[12:13]
	s_mov_b32 s0, 0
	v_mul_f64 v[18:19], v[26:27], v[18:19]
	v_mul_f64 v[20:21], v[26:27], v[20:21]
.LBB55_72:                              ;   in Loop: Header=BB55_57 Depth=1
	s_andn2_b32 vcc_lo, exec_lo, s0
	s_cbranch_vccnz .LBB55_74
; %bb.73:                               ;   in Loop: Header=BB55_57 Depth=1
	s_waitcnt vmcnt(1)
	v_div_scale_f64 v[18:19], null, s[6:7], s[6:7], v[10:11]
	v_div_scale_f64 v[20:21], null, s[4:5], s[4:5], v[12:13]
	v_div_scale_f64 v[40:41], vcc_lo, v[10:11], s[6:7], v[10:11]
	v_rcp_f64_e32 v[32:33], v[18:19]
	v_rcp_f64_e32 v[34:35], v[20:21]
	v_fma_f64 v[36:37], -v[18:19], v[32:33], 1.0
	v_fma_f64 v[38:39], -v[20:21], v[34:35], 1.0
	v_fma_f64 v[32:33], v[32:33], v[36:37], v[32:33]
	v_fma_f64 v[34:35], v[34:35], v[38:39], v[34:35]
	v_fma_f64 v[36:37], -v[18:19], v[32:33], 1.0
	v_fma_f64 v[38:39], -v[20:21], v[34:35], 1.0
	v_fma_f64 v[32:33], v[32:33], v[36:37], v[32:33]
	v_div_scale_f64 v[36:37], s0, v[12:13], s[4:5], v[12:13]
	v_fma_f64 v[34:35], v[34:35], v[38:39], v[34:35]
	v_mul_f64 v[38:39], v[40:41], v[32:33]
	v_mul_f64 v[42:43], v[36:37], v[34:35]
	v_fma_f64 v[18:19], -v[18:19], v[38:39], v[40:41]
	v_fma_f64 v[20:21], -v[20:21], v[42:43], v[36:37]
	v_div_fmas_f64 v[18:19], v[18:19], v[32:33], v[38:39]
	s_mov_b32 vcc_lo, s0
	v_div_fmas_f64 v[20:21], v[20:21], v[34:35], v[42:43]
	v_div_fixup_f64 v[18:19], v[18:19], s[6:7], v[10:11]
	v_div_fixup_f64 v[20:21], v[20:21], s[4:5], v[12:13]
.LBB55_74:                              ;   in Loop: Header=BB55_57 Depth=1
	s_cbranch_execz .LBB55_86
.LBB55_75:                              ;   in Loop: Header=BB55_57 Depth=1
	s_andn2_b32 vcc_lo, exec_lo, s8
	s_mov_b32 s0, -1
                                        ; implicit-def: $vgpr12_vgpr13
	s_cbranch_vccnz .LBB55_87
.LBB55_76:                              ;   in Loop: Header=BB55_57 Depth=1
	s_andn2_b32 vcc_lo, exec_lo, s9
                                        ; implicit-def: $vgpr12_vgpr13
	s_cbranch_vccnz .LBB55_78
; %bb.77:                               ;   in Loop: Header=BB55_57 Depth=1
	s_waitcnt vmcnt(2)
	v_fma_f64 v[10:11], v[22:23], v[4:5], v[2:3]
	v_fma_f64 v[12:13], -v[22:23], v[2:3], v[4:5]
	s_mov_b32 s0, 0
	v_mul_f64 v[10:11], v[26:27], v[10:11]
	v_mul_f64 v[12:13], v[26:27], v[12:13]
.LBB55_78:                              ;   in Loop: Header=BB55_57 Depth=1
	s_andn2_b32 vcc_lo, exec_lo, s0
	s_cbranch_vccnz .LBB55_80
; %bb.79:                               ;   in Loop: Header=BB55_57 Depth=1
	s_waitcnt vmcnt(2)
	v_div_scale_f64 v[10:11], null, s[6:7], s[6:7], v[2:3]
	v_div_scale_f64 v[12:13], null, s[4:5], s[4:5], v[4:5]
	v_div_scale_f64 v[40:41], vcc_lo, v[2:3], s[6:7], v[2:3]
	v_rcp_f64_e32 v[32:33], v[10:11]
	v_rcp_f64_e32 v[34:35], v[12:13]
	v_fma_f64 v[36:37], -v[10:11], v[32:33], 1.0
	v_fma_f64 v[38:39], -v[12:13], v[34:35], 1.0
	v_fma_f64 v[32:33], v[32:33], v[36:37], v[32:33]
	v_fma_f64 v[34:35], v[34:35], v[38:39], v[34:35]
	v_fma_f64 v[36:37], -v[10:11], v[32:33], 1.0
	v_fma_f64 v[38:39], -v[12:13], v[34:35], 1.0
	v_fma_f64 v[32:33], v[32:33], v[36:37], v[32:33]
	v_div_scale_f64 v[36:37], s0, v[4:5], s[4:5], v[4:5]
	v_fma_f64 v[34:35], v[34:35], v[38:39], v[34:35]
	v_mul_f64 v[38:39], v[40:41], v[32:33]
	v_mul_f64 v[42:43], v[36:37], v[34:35]
	v_fma_f64 v[10:11], -v[10:11], v[38:39], v[40:41]
	v_fma_f64 v[12:13], -v[12:13], v[42:43], v[36:37]
	v_div_fmas_f64 v[10:11], v[10:11], v[32:33], v[38:39]
	s_mov_b32 vcc_lo, s0
	v_div_fmas_f64 v[12:13], v[12:13], v[34:35], v[42:43]
	v_div_fixup_f64 v[10:11], v[10:11], s[6:7], v[2:3]
	v_div_fixup_f64 v[12:13], v[12:13], s[4:5], v[4:5]
.LBB55_80:                              ;   in Loop: Header=BB55_57 Depth=1
	s_cbranch_execnz .LBB55_56
	s_branch .LBB55_88
.LBB55_81:                              ;   in Loop: Header=BB55_57 Depth=1
	s_andn2_b32 vcc_lo, exec_lo, s0
	s_cbranch_vccnz .LBB55_63
.LBB55_82:                              ;   in Loop: Header=BB55_57 Depth=1
	s_waitcnt vmcnt(0)
	v_fma_f64 v[6:7], v[24:25], v[14:15], v[16:17]
	v_fma_f64 v[8:9], v[24:25], v[16:17], -v[14:15]
	v_mul_f64 v[6:7], v[28:29], v[6:7]
	v_mul_f64 v[8:9], v[28:29], v[8:9]
	s_andn2_b32 vcc_lo, exec_lo, s8
	s_mov_b32 s0, -1
                                        ; implicit-def: $vgpr16_vgpr17
	s_cbranch_vccz .LBB55_64
.LBB55_83:                              ;   in Loop: Header=BB55_57 Depth=1
	s_andn2_b32 vcc_lo, exec_lo, s0
	s_cbranch_vccnz .LBB55_69
.LBB55_84:                              ;   in Loop: Header=BB55_57 Depth=1
	s_waitcnt vmcnt(0)
	v_fma_f64 v[14:15], v[24:25], v[18:19], v[20:21]
	v_fma_f64 v[16:17], v[24:25], v[20:21], -v[18:19]
	v_mul_f64 v[14:15], v[28:29], v[14:15]
	v_mul_f64 v[16:17], v[28:29], v[16:17]
	s_andn2_b32 vcc_lo, exec_lo, s8
	s_mov_b32 s0, -1
                                        ; implicit-def: $vgpr20_vgpr21
	s_cbranch_vccz .LBB55_70
.LBB55_85:                              ;   in Loop: Header=BB55_57 Depth=1
	s_andn2_b32 vcc_lo, exec_lo, s0
	s_cbranch_vccnz .LBB55_75
.LBB55_86:                              ;   in Loop: Header=BB55_57 Depth=1
	s_waitcnt vmcnt(1)
	v_fma_f64 v[18:19], v[24:25], v[10:11], v[12:13]
	v_fma_f64 v[10:11], v[24:25], v[12:13], -v[10:11]
	v_mul_f64 v[18:19], v[28:29], v[18:19]
	v_mul_f64 v[20:21], v[28:29], v[10:11]
	s_andn2_b32 vcc_lo, exec_lo, s8
	s_mov_b32 s0, -1
                                        ; implicit-def: $vgpr12_vgpr13
	s_cbranch_vccz .LBB55_76
.LBB55_87:                              ;   in Loop: Header=BB55_57 Depth=1
	s_andn2_b32 vcc_lo, exec_lo, s0
	s_cbranch_vccnz .LBB55_56
.LBB55_88:                              ;   in Loop: Header=BB55_57 Depth=1
	s_waitcnt vmcnt(2)
	v_fma_f64 v[10:11], v[24:25], v[2:3], v[4:5]
	v_fma_f64 v[2:3], v[24:25], v[4:5], -v[2:3]
	v_mul_f64 v[10:11], v[28:29], v[10:11]
	v_mul_f64 v[12:13], v[28:29], v[2:3]
	s_branch .LBB55_56
.LBB55_89:
	s_endpgm
	.section	.rodata,"a",@progbits
	.p2align	6, 0x0
	.amdhsa_kernel _ZN2at6native12_GLOBAL__N_125multi_tensor_apply_kernelINS1_28TensorListScalarListMetadataIN3c107complexIdEELi1EEENS1_25BinaryOpScalarListFunctorIS6_Li1ELi1ELi0EEEJSt7dividesIS6_EEEEvT_T0_DpT1_
		.amdhsa_group_segment_fixed_size 0
		.amdhsa_private_segment_fixed_size 0
		.amdhsa_kernarg_size 4168
		.amdhsa_user_sgpr_count 6
		.amdhsa_user_sgpr_private_segment_buffer 1
		.amdhsa_user_sgpr_dispatch_ptr 0
		.amdhsa_user_sgpr_queue_ptr 0
		.amdhsa_user_sgpr_kernarg_segment_ptr 1
		.amdhsa_user_sgpr_dispatch_id 0
		.amdhsa_user_sgpr_flat_scratch_init 0
		.amdhsa_user_sgpr_private_segment_size 0
		.amdhsa_wavefront_size32 1
		.amdhsa_uses_dynamic_stack 0
		.amdhsa_system_sgpr_private_segment_wavefront_offset 0
		.amdhsa_system_sgpr_workgroup_id_x 1
		.amdhsa_system_sgpr_workgroup_id_y 0
		.amdhsa_system_sgpr_workgroup_id_z 0
		.amdhsa_system_sgpr_workgroup_info 0
		.amdhsa_system_vgpr_workitem_id 0
		.amdhsa_next_free_vgpr 53
		.amdhsa_next_free_sgpr 35
		.amdhsa_reserve_vcc 1
		.amdhsa_reserve_flat_scratch 0
		.amdhsa_float_round_mode_32 0
		.amdhsa_float_round_mode_16_64 0
		.amdhsa_float_denorm_mode_32 3
		.amdhsa_float_denorm_mode_16_64 3
		.amdhsa_dx10_clamp 1
		.amdhsa_ieee_mode 1
		.amdhsa_fp16_overflow 0
		.amdhsa_workgroup_processor_mode 1
		.amdhsa_memory_ordered 1
		.amdhsa_forward_progress 1
		.amdhsa_shared_vgpr_count 0
		.amdhsa_exception_fp_ieee_invalid_op 0
		.amdhsa_exception_fp_denorm_src 0
		.amdhsa_exception_fp_ieee_div_zero 0
		.amdhsa_exception_fp_ieee_overflow 0
		.amdhsa_exception_fp_ieee_underflow 0
		.amdhsa_exception_fp_ieee_inexact 0
		.amdhsa_exception_int_div_zero 0
	.end_amdhsa_kernel
	.section	.text._ZN2at6native12_GLOBAL__N_125multi_tensor_apply_kernelINS1_28TensorListScalarListMetadataIN3c107complexIdEELi1EEENS1_25BinaryOpScalarListFunctorIS6_Li1ELi1ELi0EEEJSt7dividesIS6_EEEEvT_T0_DpT1_,"axG",@progbits,_ZN2at6native12_GLOBAL__N_125multi_tensor_apply_kernelINS1_28TensorListScalarListMetadataIN3c107complexIdEELi1EEENS1_25BinaryOpScalarListFunctorIS6_Li1ELi1ELi0EEEJSt7dividesIS6_EEEEvT_T0_DpT1_,comdat
.Lfunc_end55:
	.size	_ZN2at6native12_GLOBAL__N_125multi_tensor_apply_kernelINS1_28TensorListScalarListMetadataIN3c107complexIdEELi1EEENS1_25BinaryOpScalarListFunctorIS6_Li1ELi1ELi0EEEJSt7dividesIS6_EEEEvT_T0_DpT1_, .Lfunc_end55-_ZN2at6native12_GLOBAL__N_125multi_tensor_apply_kernelINS1_28TensorListScalarListMetadataIN3c107complexIdEELi1EEENS1_25BinaryOpScalarListFunctorIS6_Li1ELi1ELi0EEEJSt7dividesIS6_EEEEvT_T0_DpT1_
                                        ; -- End function
	.set _ZN2at6native12_GLOBAL__N_125multi_tensor_apply_kernelINS1_28TensorListScalarListMetadataIN3c107complexIdEELi1EEENS1_25BinaryOpScalarListFunctorIS6_Li1ELi1ELi0EEEJSt7dividesIS6_EEEEvT_T0_DpT1_.num_vgpr, 53
	.set _ZN2at6native12_GLOBAL__N_125multi_tensor_apply_kernelINS1_28TensorListScalarListMetadataIN3c107complexIdEELi1EEENS1_25BinaryOpScalarListFunctorIS6_Li1ELi1ELi0EEEJSt7dividesIS6_EEEEvT_T0_DpT1_.num_agpr, 0
	.set _ZN2at6native12_GLOBAL__N_125multi_tensor_apply_kernelINS1_28TensorListScalarListMetadataIN3c107complexIdEELi1EEENS1_25BinaryOpScalarListFunctorIS6_Li1ELi1ELi0EEEJSt7dividesIS6_EEEEvT_T0_DpT1_.numbered_sgpr, 35
	.set _ZN2at6native12_GLOBAL__N_125multi_tensor_apply_kernelINS1_28TensorListScalarListMetadataIN3c107complexIdEELi1EEENS1_25BinaryOpScalarListFunctorIS6_Li1ELi1ELi0EEEJSt7dividesIS6_EEEEvT_T0_DpT1_.num_named_barrier, 0
	.set _ZN2at6native12_GLOBAL__N_125multi_tensor_apply_kernelINS1_28TensorListScalarListMetadataIN3c107complexIdEELi1EEENS1_25BinaryOpScalarListFunctorIS6_Li1ELi1ELi0EEEJSt7dividesIS6_EEEEvT_T0_DpT1_.private_seg_size, 0
	.set _ZN2at6native12_GLOBAL__N_125multi_tensor_apply_kernelINS1_28TensorListScalarListMetadataIN3c107complexIdEELi1EEENS1_25BinaryOpScalarListFunctorIS6_Li1ELi1ELi0EEEJSt7dividesIS6_EEEEvT_T0_DpT1_.uses_vcc, 1
	.set _ZN2at6native12_GLOBAL__N_125multi_tensor_apply_kernelINS1_28TensorListScalarListMetadataIN3c107complexIdEELi1EEENS1_25BinaryOpScalarListFunctorIS6_Li1ELi1ELi0EEEJSt7dividesIS6_EEEEvT_T0_DpT1_.uses_flat_scratch, 0
	.set _ZN2at6native12_GLOBAL__N_125multi_tensor_apply_kernelINS1_28TensorListScalarListMetadataIN3c107complexIdEELi1EEENS1_25BinaryOpScalarListFunctorIS6_Li1ELi1ELi0EEEJSt7dividesIS6_EEEEvT_T0_DpT1_.has_dyn_sized_stack, 0
	.set _ZN2at6native12_GLOBAL__N_125multi_tensor_apply_kernelINS1_28TensorListScalarListMetadataIN3c107complexIdEELi1EEENS1_25BinaryOpScalarListFunctorIS6_Li1ELi1ELi0EEEJSt7dividesIS6_EEEEvT_T0_DpT1_.has_recursion, 0
	.set _ZN2at6native12_GLOBAL__N_125multi_tensor_apply_kernelINS1_28TensorListScalarListMetadataIN3c107complexIdEELi1EEENS1_25BinaryOpScalarListFunctorIS6_Li1ELi1ELi0EEEJSt7dividesIS6_EEEEvT_T0_DpT1_.has_indirect_call, 0
	.section	.AMDGPU.csdata,"",@progbits
; Kernel info:
; codeLenInByte = 4440
; TotalNumSgprs: 37
; NumVgprs: 53
; ScratchSize: 0
; MemoryBound: 1
; FloatMode: 240
; IeeeMode: 1
; LDSByteSize: 0 bytes/workgroup (compile time only)
; SGPRBlocks: 0
; VGPRBlocks: 6
; NumSGPRsForWavesPerEU: 37
; NumVGPRsForWavesPerEU: 53
; Occupancy: 16
; WaveLimiterHint : 0
; COMPUTE_PGM_RSRC2:SCRATCH_EN: 0
; COMPUTE_PGM_RSRC2:USER_SGPR: 6
; COMPUTE_PGM_RSRC2:TRAP_HANDLER: 0
; COMPUTE_PGM_RSRC2:TGID_X_EN: 1
; COMPUTE_PGM_RSRC2:TGID_Y_EN: 0
; COMPUTE_PGM_RSRC2:TGID_Z_EN: 0
; COMPUTE_PGM_RSRC2:TIDIG_COMP_CNT: 0
	.section	.text._ZN2at6native12_GLOBAL__N_125multi_tensor_apply_kernelINS1_28TensorListScalarListMetadataIN3c107complexIfEELi1EEENS1_25BinaryOpScalarListFunctorIS6_Li1ELi1ELi0EEEJSt7dividesIS6_EEEEvT_T0_DpT1_,"axG",@progbits,_ZN2at6native12_GLOBAL__N_125multi_tensor_apply_kernelINS1_28TensorListScalarListMetadataIN3c107complexIfEELi1EEENS1_25BinaryOpScalarListFunctorIS6_Li1ELi1ELi0EEEJSt7dividesIS6_EEEEvT_T0_DpT1_,comdat
	.globl	_ZN2at6native12_GLOBAL__N_125multi_tensor_apply_kernelINS1_28TensorListScalarListMetadataIN3c107complexIfEELi1EEENS1_25BinaryOpScalarListFunctorIS6_Li1ELi1ELi0EEEJSt7dividesIS6_EEEEvT_T0_DpT1_ ; -- Begin function _ZN2at6native12_GLOBAL__N_125multi_tensor_apply_kernelINS1_28TensorListScalarListMetadataIN3c107complexIfEELi1EEENS1_25BinaryOpScalarListFunctorIS6_Li1ELi1ELi0EEEJSt7dividesIS6_EEEEvT_T0_DpT1_
	.p2align	8
	.type	_ZN2at6native12_GLOBAL__N_125multi_tensor_apply_kernelINS1_28TensorListScalarListMetadataIN3c107complexIfEELi1EEENS1_25BinaryOpScalarListFunctorIS6_Li1ELi1ELi0EEEJSt7dividesIS6_EEEEvT_T0_DpT1_,@function
_ZN2at6native12_GLOBAL__N_125multi_tensor_apply_kernelINS1_28TensorListScalarListMetadataIN3c107complexIfEELi1EEENS1_25BinaryOpScalarListFunctorIS6_Li1ELi1ELi0EEEJSt7dividesIS6_EEEEvT_T0_DpT1_: ; @_ZN2at6native12_GLOBAL__N_125multi_tensor_apply_kernelINS1_28TensorListScalarListMetadataIN3c107complexIfEELi1EEENS1_25BinaryOpScalarListFunctorIS6_Li1ELi1ELi0EEEJSt7dividesIS6_EEEEvT_T0_DpT1_
; %bb.0:
	v_mov_b32_e32 v1, 0x800
	s_add_u32 s0, s4, s6
	s_addc_u32 s1, s5, 0
	s_mov_b32 s7, 0
	global_load_ubyte v1, v1, s[0:1] offset:256
	s_lshl_b64 s[0:1], s[6:7], 2
	s_add_u32 s0, s4, s0
	s_addc_u32 s1, s5, s1
	s_load_dword s0, s[0:1], 0xa40
	s_waitcnt vmcnt(0)
	v_readfirstlane_b32 s2, v1
	s_lshl_b32 s1, s2, 3
	s_clause 0x2
	s_load_dwordx2 s[12:13], s[4:5], s1 offset:0x600
	s_load_dwordx2 s[8:9], s[4:5], s1 offset:0x0
	;; [unrolled: 1-line block ×3, first 2 shown]
	s_waitcnt lgkmcnt(0)
	s_ashr_i32 s1, s0, 31
	s_lshl_b64 s[10:11], s[0:1], 19
	s_add_u32 s22, s8, s10
	s_addc_u32 s23, s9, s11
	s_lshl_b64 s[0:1], s[0:1], 16
	s_and_b32 s6, s22, 31
	s_sub_u32 s14, s2, s0
	s_subb_u32 s15, s3, s1
	s_and_b32 s0, s2, 3
	s_mov_b32 s1, s7
	s_or_b64 s[0:1], s[6:7], s[0:1]
	s_cmp_eq_u64 s[0:1], 0
	s_cbranch_scc1 .LBB56_53
; %bb.1:
	v_cmp_lt_i64_e64 s0, s[14:15], 1
	s_and_b32 vcc_lo, exec_lo, s0
	s_cbranch_vccnz .LBB56_52
; %bb.2:
	v_div_scale_f32 v1, null, s12, s12, s13
	v_div_scale_f32 v4, vcc_lo, s13, s12, s13
	s_load_dword s1, s[4:5], 0xf54
	v_rcp_f32_e32 v2, v1
	v_cmp_gt_i64_e64 s2, 0x10000, s[14:15]
	v_cmp_gt_u64_e64 s3, 0x10000, s[14:15]
	v_cmp_neq_f32_e64 s6, s12, 0
	v_cmp_neq_f32_e64 s7, s13, 0
	s_mov_b64 s[20:21], 0
	s_and_b32 s2, s2, exec_lo
	s_cselect_b32 s17, s15, 0
	s_cselect_b32 s16, s14, 0x10000
	v_fma_f32 v3, -v1, v2, 1.0
	v_fmac_f32_e32 v2, v3, v2
	s_waitcnt lgkmcnt(0)
	s_and_b32 s1, s1, 0xffff
	v_mul_f32_e32 v3, v4, v2
	s_and_b32 s2, s3, exec_lo
	s_cselect_b32 s19, s15, 0
	s_cselect_b32 s18, s14, 0x10000
	s_mul_i32 s3, s1, 3
	v_fma_f32 v5, -v1, v3, v4
	s_or_b32 s24, s6, s7
	v_add_co_u32 v18, s6, v0, s1
	v_add_co_ci_u32_e64 v19, null, 0, 0, s6
	v_fmac_f32_e32 v3, v5, v2
	s_lshl_b32 s6, s1, 4
	v_add_co_u32 v20, s3, s3, v0
	v_add_co_ci_u32_e64 v21, null, 0, 0, s3
	v_fma_f32 v1, -v1, v3, v4
	s_lshl_b32 s2, s1, 1
	v_lshlrev_b32_e32 v23, 3, v18
	v_add_co_u32 v27, s2, s2, v0
	v_div_fmas_f32 v1, v1, v2, v3
	v_div_scale_f32 v2, null, s13, s13, s12
	v_add_co_ci_u32_e64 v28, null, 0, 0, s2
	v_div_fixup_f32 v14, v1, s12, s13
	v_rcp_f32_e32 v5, v2
	s_lshl_b32 s25, s1, 2
	s_lshl_b32 s26, s1, 5
	v_fma_f32 v4, v14, s13, s12
	v_div_scale_f32 v1, null, v4, v4, 1.0
	v_fma_f32 v7, -v2, v5, 1.0
	v_div_scale_f32 v8, vcc_lo, 1.0, v4, 1.0
	v_rcp_f32_e32 v3, v1
	v_fmac_f32_e32 v5, v7, v5
	v_fma_f32 v6, -v1, v3, 1.0
	v_fmac_f32_e32 v3, v6, v3
	v_div_scale_f32 v6, s0, s12, s13, s12
	v_mul_f32_e32 v7, v8, v3
	v_mul_f32_e32 v9, v6, v5
	v_fma_f32 v10, -v1, v7, v8
	v_fma_f32 v11, -v2, v9, v6
	v_fmac_f32_e32 v7, v10, v3
	v_fmac_f32_e32 v9, v11, v5
	v_fma_f32 v1, -v1, v7, v8
	v_fma_f32 v2, -v2, v9, v6
	v_div_fmas_f32 v6, v1, v3, v7
	s_mov_b32 vcc_lo, s0
	v_cmp_lt_f32_e64 s0, s12, 0
	v_div_fmas_f32 v1, v2, v5, v9
	v_mov_b32_e32 v2, 0
	v_div_fixup_f32 v25, v6, v4, 1.0
	v_cndmask_b32_e64 v16, s12, -s12, s0
	v_div_fixup_f32 v15, v1, s13, s12
	v_lshlrev_b32_e32 v1, 3, v0
	v_cmp_lt_f32_e64 s0, s13, 0
	v_fma_f32 v5, v15, s12, s13
	v_cndmask_b32_e64 v17, s13, -s13, s0
	v_div_scale_f32 v7, null, v5, v5, 1.0
	v_div_scale_f32 v9, vcc_lo, 1.0, v5, 1.0
	v_cmp_ge_f32_e64 s0, v16, v17
	v_rcp_f32_e32 v8, v7
	v_fma_f32 v3, -v7, v8, 1.0
	v_fmac_f32_e32 v8, v3, v8
	v_mad_u64_u32 v[2:3], null, s1, 24, v[1:2]
	v_mul_f32_e32 v10, v9, v8
	v_or_b32_e32 v2, 4, v2
	v_fma_f32 v11, -v7, v10, v9
	v_fmac_f32_e32 v10, v11, v8
	v_fma_f32 v7, -v7, v10, v9
	v_add_co_u32 v9, s3, s6, v1
	v_add_co_ci_u32_e64 v22, null, 0, 0, s3
	v_div_fmas_f32 v7, v7, v8, v10
	v_or_b32_e32 v24, 4, v9
	v_div_fixup_f32 v26, v7, v5, 1.0
	s_branch .LBB56_4
.LBB56_3:                               ;   in Loop: Header=BB56_4 Depth=1
	s_or_b32 exec_lo, exec_lo, s1
	s_add_u32 s20, s20, s25
	s_addc_u32 s21, s21, 0
	s_add_u32 s22, s22, s26
	v_cmp_ge_i64_e64 s1, s[20:21], s[16:17]
	s_addc_u32 s23, s23, 0
	s_and_b32 vcc_lo, exec_lo, s1
	s_cbranch_vccnz .LBB56_52
.LBB56_4:                               ; =>This Inner Loop Header: Depth=1
	v_add_co_u32 v4, s1, v0, s20
	v_add_co_ci_u32_e64 v5, null, 0, s21, s1
	v_mov_b32_e32 v11, 0
	v_mov_b32_e32 v10, 0
	v_cmp_gt_u64_e64 s1, s[18:19], v[4:5]
	s_and_saveexec_b32 s2, s1
	s_cbranch_execz .LBB56_6
; %bb.5:                                ;   in Loop: Header=BB56_4 Depth=1
	v_add_co_u32 v4, s3, s22, v1
	v_add_co_ci_u32_e64 v5, null, s23, 0, s3
	global_load_dwordx2 v[10:11], v[4:5], off
.LBB56_6:                               ;   in Loop: Header=BB56_4 Depth=1
	s_or_b32 exec_lo, exec_lo, s2
	v_add_co_u32 v4, vcc_lo, v18, s20
	v_add_co_ci_u32_e64 v5, null, s21, v19, vcc_lo
	v_mov_b32_e32 v9, 0
	v_mov_b32_e32 v13, 0
	;; [unrolled: 1-line block ×3, first 2 shown]
	v_cmp_gt_u64_e64 s2, s[18:19], v[4:5]
	s_and_saveexec_b32 s3, s2
	s_cbranch_execz .LBB56_8
; %bb.7:                                ;   in Loop: Header=BB56_4 Depth=1
	v_add_co_u32 v4, s6, s22, v23
	v_add_co_ci_u32_e64 v5, null, s23, 0, s6
	global_load_dwordx2 v[12:13], v[4:5], off
.LBB56_8:                               ;   in Loop: Header=BB56_4 Depth=1
	s_or_b32 exec_lo, exec_lo, s3
	v_add_co_u32 v4, vcc_lo, v27, s20
	v_add_co_ci_u32_e64 v5, null, s21, v28, vcc_lo
	v_mov_b32_e32 v8, 0
	v_cmp_gt_u64_e64 s3, s[18:19], v[4:5]
	s_and_saveexec_b32 s6, s3
	s_cbranch_execz .LBB56_10
; %bb.9:                                ;   in Loop: Header=BB56_4 Depth=1
	v_add_co_u32 v4, vcc_lo, s22, v24
	v_add_co_ci_u32_e64 v5, null, s23, v22, vcc_lo
	global_load_dwordx2 v[8:9], v[4:5], off offset:-4
.LBB56_10:                              ;   in Loop: Header=BB56_4 Depth=1
	s_or_b32 exec_lo, exec_lo, s6
	v_add_co_u32 v4, vcc_lo, v20, s20
	v_add_co_ci_u32_e64 v5, null, s21, v21, vcc_lo
	v_cmp_gt_u64_e64 s6, s[18:19], v[4:5]
	v_mov_b32_e32 v5, 0
	v_mov_b32_e32 v4, 0
	s_and_saveexec_b32 s7, s6
	s_cbranch_execz .LBB56_12
; %bb.11:                               ;   in Loop: Header=BB56_4 Depth=1
	v_add_co_u32 v4, vcc_lo, s22, v2
	v_add_co_ci_u32_e64 v5, null, s23, v3, vcc_lo
	global_load_dwordx2 v[4:5], v[4:5], off offset:-4
.LBB56_12:                              ;   in Loop: Header=BB56_4 Depth=1
	s_or_b32 exec_lo, exec_lo, s7
	s_and_b32 vcc_lo, exec_lo, s0
	s_mov_b32 s7, -1
                                        ; implicit-def: $vgpr7
	s_cbranch_vccz .LBB56_18
; %bb.13:                               ;   in Loop: Header=BB56_4 Depth=1
	s_and_b32 vcc_lo, exec_lo, s24
                                        ; implicit-def: $vgpr7
	s_cbranch_vccz .LBB56_15
; %bb.14:                               ;   in Loop: Header=BB56_4 Depth=1
	s_waitcnt vmcnt(0)
	v_fma_f32 v6, v14, v11, v10
	v_fma_f32 v7, -v14, v10, v11
	s_mov_b32 s7, 0
	v_mul_f32_e32 v6, v25, v6
	v_mul_f32_e32 v7, v25, v7
.LBB56_15:                              ;   in Loop: Header=BB56_4 Depth=1
	s_andn2_b32 vcc_lo, exec_lo, s7
	s_cbranch_vccnz .LBB56_17
; %bb.16:                               ;   in Loop: Header=BB56_4 Depth=1
	s_waitcnt vmcnt(0)
	v_div_scale_f32 v6, null, v16, v16, v10
	v_div_scale_f32 v7, null, v17, v17, v11
	v_div_scale_f32 v33, vcc_lo, v10, v16, v10
	v_rcp_f32_e32 v29, v6
	v_rcp_f32_e32 v30, v7
	v_fma_f32 v31, -v6, v29, 1.0
	v_fma_f32 v32, -v7, v30, 1.0
	v_fmac_f32_e32 v29, v31, v29
	v_div_scale_f32 v31, s7, v11, v17, v11
	v_fmac_f32_e32 v30, v32, v30
	v_mul_f32_e32 v32, v33, v29
	v_mul_f32_e32 v34, v31, v30
	v_fma_f32 v35, -v6, v32, v33
	v_fma_f32 v36, -v7, v34, v31
	v_fmac_f32_e32 v32, v35, v29
	v_fmac_f32_e32 v34, v36, v30
	v_fma_f32 v6, -v6, v32, v33
	v_fma_f32 v7, -v7, v34, v31
	v_div_fmas_f32 v6, v6, v29, v32
	s_mov_b32 vcc_lo, s7
	v_div_fmas_f32 v7, v7, v30, v34
	v_div_fixup_f32 v6, v6, v16, v10
	v_div_fixup_f32 v7, v7, v17, v11
.LBB56_17:                              ;   in Loop: Header=BB56_4 Depth=1
	s_cbranch_execz .LBB56_19
	s_branch .LBB56_20
.LBB56_18:                              ;   in Loop: Header=BB56_4 Depth=1
	s_andn2_b32 vcc_lo, exec_lo, s7
	s_cbranch_vccnz .LBB56_20
.LBB56_19:                              ;   in Loop: Header=BB56_4 Depth=1
	s_waitcnt vmcnt(0)
	v_fma_f32 v6, v15, v10, v11
	v_fma_f32 v7, v15, v11, -v10
	v_mul_f32_e32 v6, v26, v6
	v_mul_f32_e32 v7, v26, v7
.LBB56_20:                              ;   in Loop: Header=BB56_4 Depth=1
	s_waitcnt vmcnt(0)
	v_cndmask_b32_e64 v10, 0, 1, s24
	s_andn2_b32 vcc_lo, exec_lo, s0
	s_mov_b32 s27, -1
	v_cmp_ne_u32_e64 s7, 1, v10
                                        ; implicit-def: $vgpr11
	s_cbranch_vccnz .LBB56_42
; %bb.21:                               ;   in Loop: Header=BB56_4 Depth=1
	s_and_b32 vcc_lo, exec_lo, s7
	s_mov_b32 s7, -1
                                        ; implicit-def: $vgpr11
	s_cbranch_vccnz .LBB56_23
; %bb.22:                               ;   in Loop: Header=BB56_4 Depth=1
	v_fma_f32 v10, v14, v13, v12
	v_fma_f32 v11, -v14, v12, v13
	s_mov_b32 s7, 0
	v_mul_f32_e32 v10, v25, v10
	v_mul_f32_e32 v11, v25, v11
.LBB56_23:                              ;   in Loop: Header=BB56_4 Depth=1
	s_andn2_b32 vcc_lo, exec_lo, s7
	s_cbranch_vccnz .LBB56_25
; %bb.24:                               ;   in Loop: Header=BB56_4 Depth=1
	v_div_scale_f32 v10, null, v16, v16, v12
	v_div_scale_f32 v11, null, v17, v17, v13
	v_div_scale_f32 v33, vcc_lo, v12, v16, v12
	v_rcp_f32_e32 v29, v10
	v_rcp_f32_e32 v30, v11
	v_fma_f32 v31, -v10, v29, 1.0
	v_fma_f32 v32, -v11, v30, 1.0
	v_fmac_f32_e32 v29, v31, v29
	v_div_scale_f32 v31, s7, v13, v17, v13
	v_fmac_f32_e32 v30, v32, v30
	v_mul_f32_e32 v32, v33, v29
	v_mul_f32_e32 v34, v31, v30
	v_fma_f32 v35, -v10, v32, v33
	v_fma_f32 v36, -v11, v34, v31
	v_fmac_f32_e32 v32, v35, v29
	v_fmac_f32_e32 v34, v36, v30
	v_fma_f32 v10, -v10, v32, v33
	v_fma_f32 v11, -v11, v34, v31
	v_div_fmas_f32 v10, v10, v29, v32
	s_mov_b32 vcc_lo, s7
	v_div_fmas_f32 v11, v11, v30, v34
	v_div_fixup_f32 v10, v10, v16, v12
	v_div_fixup_f32 v11, v11, v17, v13
.LBB56_25:                              ;   in Loop: Header=BB56_4 Depth=1
	s_cbranch_execz .LBB56_43
.LBB56_26:                              ;   in Loop: Header=BB56_4 Depth=1
	s_andn2_b32 vcc_lo, exec_lo, s0
	s_mov_b32 s7, -1
                                        ; implicit-def: $vgpr13
	s_cbranch_vccnz .LBB56_44
.LBB56_27:                              ;   in Loop: Header=BB56_4 Depth=1
	s_andn2_b32 vcc_lo, exec_lo, s24
                                        ; implicit-def: $vgpr13
	s_cbranch_vccnz .LBB56_29
; %bb.28:                               ;   in Loop: Header=BB56_4 Depth=1
	v_fma_f32 v12, v14, v9, v8
	v_fma_f32 v13, -v14, v8, v9
	s_mov_b32 s7, 0
	v_mul_f32_e32 v12, v25, v12
	v_mul_f32_e32 v13, v25, v13
.LBB56_29:                              ;   in Loop: Header=BB56_4 Depth=1
	s_andn2_b32 vcc_lo, exec_lo, s7
	s_cbranch_vccnz .LBB56_31
; %bb.30:                               ;   in Loop: Header=BB56_4 Depth=1
	v_div_scale_f32 v12, null, v16, v16, v8
	v_div_scale_f32 v13, null, v17, v17, v9
	v_div_scale_f32 v33, vcc_lo, v8, v16, v8
	v_rcp_f32_e32 v29, v12
	v_rcp_f32_e32 v30, v13
	v_fma_f32 v31, -v12, v29, 1.0
	v_fma_f32 v32, -v13, v30, 1.0
	v_fmac_f32_e32 v29, v31, v29
	v_div_scale_f32 v31, s7, v9, v17, v9
	v_fmac_f32_e32 v30, v32, v30
	v_mul_f32_e32 v32, v33, v29
	v_mul_f32_e32 v34, v31, v30
	v_fma_f32 v35, -v12, v32, v33
	v_fma_f32 v36, -v13, v34, v31
	v_fmac_f32_e32 v32, v35, v29
	v_fmac_f32_e32 v34, v36, v30
	v_fma_f32 v12, -v12, v32, v33
	v_fma_f32 v13, -v13, v34, v31
	v_div_fmas_f32 v12, v12, v29, v32
	s_mov_b32 vcc_lo, s7
	v_div_fmas_f32 v13, v13, v30, v34
	v_div_fixup_f32 v12, v12, v16, v8
	v_div_fixup_f32 v13, v13, v17, v9
.LBB56_31:                              ;   in Loop: Header=BB56_4 Depth=1
	s_cbranch_execz .LBB56_45
.LBB56_32:                              ;   in Loop: Header=BB56_4 Depth=1
	s_andn2_b32 vcc_lo, exec_lo, s0
	s_mov_b32 s7, -1
                                        ; implicit-def: $vgpr9
	s_cbranch_vccnz .LBB56_46
.LBB56_33:                              ;   in Loop: Header=BB56_4 Depth=1
	s_andn2_b32 vcc_lo, exec_lo, s24
                                        ; implicit-def: $vgpr9
	s_cbranch_vccnz .LBB56_35
; %bb.34:                               ;   in Loop: Header=BB56_4 Depth=1
	v_fma_f32 v8, v14, v5, v4
	v_fma_f32 v9, -v14, v4, v5
	s_mov_b32 s7, 0
	v_mul_f32_e32 v8, v25, v8
	v_mul_f32_e32 v9, v25, v9
.LBB56_35:                              ;   in Loop: Header=BB56_4 Depth=1
	s_andn2_b32 vcc_lo, exec_lo, s7
	s_cbranch_vccnz .LBB56_37
; %bb.36:                               ;   in Loop: Header=BB56_4 Depth=1
	v_div_scale_f32 v8, null, v16, v16, v4
	v_div_scale_f32 v9, null, v17, v17, v5
	v_div_scale_f32 v33, vcc_lo, v4, v16, v4
	v_rcp_f32_e32 v29, v8
	v_rcp_f32_e32 v30, v9
	v_fma_f32 v31, -v8, v29, 1.0
	v_fma_f32 v32, -v9, v30, 1.0
	v_fmac_f32_e32 v29, v31, v29
	v_div_scale_f32 v31, s7, v5, v17, v5
	v_fmac_f32_e32 v30, v32, v30
	v_mul_f32_e32 v32, v33, v29
	v_mul_f32_e32 v34, v31, v30
	v_fma_f32 v35, -v8, v32, v33
	v_fma_f32 v36, -v9, v34, v31
	v_fmac_f32_e32 v32, v35, v29
	v_fmac_f32_e32 v34, v36, v30
	v_fma_f32 v8, -v8, v32, v33
	v_fma_f32 v9, -v9, v34, v31
	v_div_fmas_f32 v8, v8, v29, v32
	s_mov_b32 vcc_lo, s7
	v_div_fmas_f32 v9, v9, v30, v34
	v_div_fixup_f32 v8, v8, v16, v4
	v_div_fixup_f32 v9, v9, v17, v5
.LBB56_37:                              ;   in Loop: Header=BB56_4 Depth=1
	s_cbranch_execz .LBB56_47
.LBB56_38:                              ;   in Loop: Header=BB56_4 Depth=1
	s_and_saveexec_b32 s7, s1
	s_xor_b32 s1, exec_lo, s7
	s_cbranch_execz .LBB56_48
.LBB56_39:                              ;   in Loop: Header=BB56_4 Depth=1
	v_add_co_u32 v4, s7, s22, v1
	v_add_co_ci_u32_e64 v5, null, s23, 0, s7
	global_store_dwordx2 v[4:5], v[6:7], off
	s_or_b32 exec_lo, exec_lo, s1
	s_and_saveexec_b32 s1, s2
	s_cbranch_execnz .LBB56_49
.LBB56_40:                              ;   in Loop: Header=BB56_4 Depth=1
	s_or_b32 exec_lo, exec_lo, s1
	s_and_saveexec_b32 s1, s3
	s_cbranch_execz .LBB56_50
.LBB56_41:                              ;   in Loop: Header=BB56_4 Depth=1
	v_add_co_u32 v4, vcc_lo, s22, v24
	v_add_co_ci_u32_e64 v5, null, s23, v22, vcc_lo
	global_store_dwordx2 v[4:5], v[12:13], off offset:-4
	s_or_b32 exec_lo, exec_lo, s1
	s_and_saveexec_b32 s1, s6
	s_cbranch_execz .LBB56_3
	s_branch .LBB56_51
.LBB56_42:                              ;   in Loop: Header=BB56_4 Depth=1
	s_andn2_b32 vcc_lo, exec_lo, s27
	s_cbranch_vccnz .LBB56_26
.LBB56_43:                              ;   in Loop: Header=BB56_4 Depth=1
	v_fma_f32 v10, v15, v12, v13
	v_fma_f32 v11, v15, v13, -v12
	v_mul_f32_e32 v10, v26, v10
	v_mul_f32_e32 v11, v26, v11
	s_andn2_b32 vcc_lo, exec_lo, s0
	s_mov_b32 s7, -1
                                        ; implicit-def: $vgpr13
	s_cbranch_vccz .LBB56_27
.LBB56_44:                              ;   in Loop: Header=BB56_4 Depth=1
	s_andn2_b32 vcc_lo, exec_lo, s7
	s_cbranch_vccnz .LBB56_32
.LBB56_45:                              ;   in Loop: Header=BB56_4 Depth=1
	v_fma_f32 v12, v15, v8, v9
	v_fma_f32 v8, v15, v9, -v8
	v_mul_f32_e32 v12, v26, v12
	v_mul_f32_e32 v13, v26, v8
	s_andn2_b32 vcc_lo, exec_lo, s0
	s_mov_b32 s7, -1
                                        ; implicit-def: $vgpr9
	s_cbranch_vccz .LBB56_33
.LBB56_46:                              ;   in Loop: Header=BB56_4 Depth=1
	s_andn2_b32 vcc_lo, exec_lo, s7
	s_cbranch_vccnz .LBB56_38
.LBB56_47:                              ;   in Loop: Header=BB56_4 Depth=1
	v_fma_f32 v8, v15, v4, v5
	v_fma_f32 v4, v15, v5, -v4
	v_mul_f32_e32 v8, v26, v8
	v_mul_f32_e32 v9, v26, v4
	s_and_saveexec_b32 s7, s1
	s_xor_b32 s1, exec_lo, s7
	s_cbranch_execnz .LBB56_39
.LBB56_48:                              ;   in Loop: Header=BB56_4 Depth=1
	s_or_b32 exec_lo, exec_lo, s1
	s_and_saveexec_b32 s1, s2
	s_cbranch_execz .LBB56_40
.LBB56_49:                              ;   in Loop: Header=BB56_4 Depth=1
	v_add_co_u32 v4, s2, s22, v23
	v_add_co_ci_u32_e64 v5, null, s23, 0, s2
	global_store_dwordx2 v[4:5], v[10:11], off
	s_or_b32 exec_lo, exec_lo, s1
	s_and_saveexec_b32 s1, s3
	s_cbranch_execnz .LBB56_41
.LBB56_50:                              ;   in Loop: Header=BB56_4 Depth=1
	s_or_b32 exec_lo, exec_lo, s1
	s_and_saveexec_b32 s1, s6
	s_cbranch_execz .LBB56_3
.LBB56_51:                              ;   in Loop: Header=BB56_4 Depth=1
	v_add_co_u32 v4, vcc_lo, s22, v2
	v_add_co_ci_u32_e64 v5, null, s23, v3, vcc_lo
	global_store_dwordx2 v[4:5], v[8:9], off offset:-4
	s_branch .LBB56_3
.LBB56_52:
	s_cbranch_execz .LBB56_54
	s_branch .LBB56_89
.LBB56_53:
.LBB56_54:
	v_cmp_gt_i64_e64 s0, 0x10000, s[14:15]
	v_mov_b32_e32 v2, 0
	v_lshlrev_b32_e32 v1, 2, v0
	s_mov_b32 s6, 0
	s_and_b32 s0, s0, exec_lo
	s_cselect_b32 s3, s15, 0
	s_cselect_b32 s2, s14, 0x10000
	s_mov_b32 s0, exec_lo
	v_cmpx_gt_i64_e64 s[2:3], v[1:2]
	s_cbranch_execz .LBB56_89
; %bb.55:
	v_div_scale_f32 v1, null, s12, s12, s13
	v_div_scale_f32 v5, vcc_lo, s13, s12, s13
	v_cmp_lt_f32_e64 s1, s12, 0
	v_rcp_f32_e32 v3, v1
	v_cndmask_b32_e64 v18, s12, -s12, s1
	v_cmp_neq_f32_e64 s1, s12, 0
	v_fma_f32 v4, -v1, v3, 1.0
	v_fmac_f32_e32 v3, v4, v3
	v_mul_f32_e32 v4, v5, v3
	v_fma_f32 v6, -v1, v4, v5
	v_fmac_f32_e32 v4, v6, v3
	v_fma_f32 v1, -v1, v4, v5
	v_div_fmas_f32 v1, v1, v3, v4
	v_div_scale_f32 v4, null, s13, s13, s12
	v_div_fixup_f32 v16, v1, s12, s13
	v_rcp_f32_e32 v6, v4
	v_fma_f32 v3, v16, s13, s12
	v_div_scale_f32 v1, null, v3, v3, 1.0
	v_fma_f32 v8, -v4, v6, 1.0
	v_div_scale_f32 v9, vcc_lo, 1.0, v3, 1.0
	v_rcp_f32_e32 v5, v1
	v_fmac_f32_e32 v6, v8, v6
	v_fma_f32 v7, -v1, v5, 1.0
	v_fmac_f32_e32 v5, v7, v5
	v_div_scale_f32 v7, s0, s12, s13, s12
	v_mul_f32_e32 v8, v9, v5
	v_mul_f32_e32 v10, v7, v6
	v_fma_f32 v11, -v1, v8, v9
	v_fma_f32 v12, -v4, v10, v7
	v_fmac_f32_e32 v8, v11, v5
	v_fmac_f32_e32 v10, v12, v6
	v_fma_f32 v1, -v1, v8, v9
	v_fma_f32 v4, -v4, v10, v7
	v_div_fmas_f32 v5, v1, v5, v8
	s_mov_b32 vcc_lo, s0
	s_load_dword s0, s[4:5], 0xf54
	v_div_fmas_f32 v1, v4, v6, v10
	v_cmp_neq_f32_e64 s4, s13, 0
	v_cmp_lt_f32_e64 s5, s13, 0
	v_div_fixup_f32 v20, v5, v3, 1.0
	v_div_fixup_f32 v17, v1, s13, s12
	s_or_b32 s4, s1, s4
	v_cndmask_b32_e64 v19, s13, -s13, s5
	v_fma_f32 v4, v17, s12, s13
	v_div_scale_f32 v6, null, v4, v4, 1.0
	v_div_scale_f32 v8, vcc_lo, 1.0, v4, 1.0
	s_waitcnt lgkmcnt(0)
	s_and_b32 s5, s0, 0xffff
	v_rcp_f32_e32 v7, v6
	s_add_u32 s0, s8, s10
	s_addc_u32 s1, s9, s11
	s_lshl_b32 s7, s5, 5
	v_fma_f32 v1, -v6, v7, 1.0
	v_fmac_f32_e32 v7, v1, v7
	v_mov_b32_e32 v1, v2
	v_mul_f32_e32 v9, v8, v7
	v_fma_f32 v2, -v6, v9, v8
	v_fmac_f32_e32 v9, v2, v7
	v_lshlrev_b32_e32 v2, 5, v0
	v_fma_f32 v6, -v6, v9, v8
	v_add_co_u32 v14, s0, s0, v2
	v_add_co_ci_u32_e64 v15, null, s1, 0, s0
	v_div_fmas_f32 v6, v6, v7, v9
	v_cmp_ge_f32_e64 s0, v18, v19
	v_div_fixup_f32 v21, v6, v4, 1.0
	s_branch .LBB56_57
.LBB56_56:                              ;   in Loop: Header=BB56_57 Depth=1
	v_add_co_u32 v0, vcc_lo, v0, s5
	v_add_co_ci_u32_e64 v1, null, 0, v1, vcc_lo
	s_waitcnt vmcnt(0)
	global_store_dwordx4 v[14:15], v[6:9], off
	global_store_dwordx4 v[14:15], v[10:13], off offset:16
	v_add_co_u32 v14, s1, v14, s7
	v_lshlrev_b64 v[2:3], 2, v[0:1]
	v_add_co_ci_u32_e64 v15, null, 0, v15, s1
	v_cmp_le_i64_e32 vcc_lo, s[2:3], v[2:3]
	s_or_b32 s6, vcc_lo, s6
	s_andn2_b32 exec_lo, exec_lo, s6
	s_cbranch_execz .LBB56_89
.LBB56_57:                              ; =>This Inner Loop Header: Depth=1
	s_clause 0x1
	global_load_dwordx4 v[2:5], v[14:15], off offset:16
	global_load_dwordx4 v[8:11], v[14:15], off
	s_andn2_b32 vcc_lo, exec_lo, s0
	s_mov_b32 s1, -1
                                        ; implicit-def: $vgpr7
	s_cbranch_vccnz .LBB56_81
; %bb.58:                               ;   in Loop: Header=BB56_57 Depth=1
	s_and_b32 vcc_lo, exec_lo, s4
                                        ; implicit-def: $vgpr7
	s_cbranch_vccz .LBB56_60
; %bb.59:                               ;   in Loop: Header=BB56_57 Depth=1
	s_waitcnt vmcnt(0)
	v_fma_f32 v6, v16, v9, v8
	v_fma_f32 v7, -v16, v8, v9
	s_mov_b32 s1, 0
	v_mul_f32_e32 v6, v20, v6
	v_mul_f32_e32 v7, v20, v7
.LBB56_60:                              ;   in Loop: Header=BB56_57 Depth=1
	s_andn2_b32 vcc_lo, exec_lo, s1
	s_cbranch_vccnz .LBB56_62
; %bb.61:                               ;   in Loop: Header=BB56_57 Depth=1
	s_waitcnt vmcnt(0)
	v_div_scale_f32 v6, null, v18, v18, v8
	v_div_scale_f32 v7, null, v19, v19, v9
	v_div_scale_f32 v24, vcc_lo, v8, v18, v8
	v_rcp_f32_e32 v12, v6
	v_rcp_f32_e32 v13, v7
	v_fma_f32 v22, -v6, v12, 1.0
	v_fma_f32 v23, -v7, v13, 1.0
	v_fmac_f32_e32 v12, v22, v12
	v_div_scale_f32 v22, s1, v9, v19, v9
	v_fmac_f32_e32 v13, v23, v13
	v_mul_f32_e32 v23, v24, v12
	v_mul_f32_e32 v25, v22, v13
	v_fma_f32 v26, -v6, v23, v24
	v_fma_f32 v27, -v7, v25, v22
	v_fmac_f32_e32 v23, v26, v12
	v_fmac_f32_e32 v25, v27, v13
	v_fma_f32 v6, -v6, v23, v24
	v_fma_f32 v7, -v7, v25, v22
	v_div_fmas_f32 v6, v6, v12, v23
	s_mov_b32 vcc_lo, s1
	v_div_fmas_f32 v7, v7, v13, v25
	v_div_fixup_f32 v6, v6, v18, v8
	v_div_fixup_f32 v7, v7, v19, v9
.LBB56_62:                              ;   in Loop: Header=BB56_57 Depth=1
	s_cbranch_execz .LBB56_82
.LBB56_63:                              ;   in Loop: Header=BB56_57 Depth=1
	s_andn2_b32 vcc_lo, exec_lo, s0
	s_mov_b32 s1, -1
	s_cbranch_vccnz .LBB56_83
.LBB56_64:                              ;   in Loop: Header=BB56_57 Depth=1
	s_andn2_b32 vcc_lo, exec_lo, s4
	s_cbranch_vccnz .LBB56_66
; %bb.65:                               ;   in Loop: Header=BB56_57 Depth=1
	s_waitcnt vmcnt(0)
	v_fma_f32 v8, v16, v11, v10
	v_fma_f32 v9, -v16, v10, v11
	s_mov_b32 s1, 0
	v_mul_f32_e32 v8, v20, v8
	v_mul_f32_e32 v9, v20, v9
.LBB56_66:                              ;   in Loop: Header=BB56_57 Depth=1
	s_andn2_b32 vcc_lo, exec_lo, s1
	s_cbranch_vccnz .LBB56_68
; %bb.67:                               ;   in Loop: Header=BB56_57 Depth=1
	s_waitcnt vmcnt(0)
	v_div_scale_f32 v8, null, v18, v18, v10
	v_div_scale_f32 v9, null, v19, v19, v11
	v_div_scale_f32 v24, vcc_lo, v10, v18, v10
	v_rcp_f32_e32 v12, v8
	v_rcp_f32_e32 v13, v9
	v_fma_f32 v22, -v8, v12, 1.0
	v_fma_f32 v23, -v9, v13, 1.0
	v_fmac_f32_e32 v12, v22, v12
	v_div_scale_f32 v22, s1, v11, v19, v11
	v_fmac_f32_e32 v13, v23, v13
	v_mul_f32_e32 v23, v24, v12
	v_mul_f32_e32 v25, v22, v13
	v_fma_f32 v26, -v8, v23, v24
	v_fma_f32 v27, -v9, v25, v22
	v_fmac_f32_e32 v23, v26, v12
	v_fmac_f32_e32 v25, v27, v13
	v_fma_f32 v8, -v8, v23, v24
	v_fma_f32 v9, -v9, v25, v22
	v_div_fmas_f32 v8, v8, v12, v23
	s_mov_b32 vcc_lo, s1
	v_div_fmas_f32 v9, v9, v13, v25
	v_div_fixup_f32 v8, v8, v18, v10
	v_div_fixup_f32 v9, v9, v19, v11
.LBB56_68:                              ;   in Loop: Header=BB56_57 Depth=1
	s_cbranch_execz .LBB56_84
.LBB56_69:                              ;   in Loop: Header=BB56_57 Depth=1
	s_andn2_b32 vcc_lo, exec_lo, s0
	s_mov_b32 s1, -1
                                        ; implicit-def: $vgpr11
	s_cbranch_vccnz .LBB56_85
.LBB56_70:                              ;   in Loop: Header=BB56_57 Depth=1
	s_andn2_b32 vcc_lo, exec_lo, s4
                                        ; implicit-def: $vgpr11
	s_cbranch_vccnz .LBB56_72
; %bb.71:                               ;   in Loop: Header=BB56_57 Depth=1
	s_waitcnt vmcnt(0)
	v_fma_f32 v10, v16, v3, v2
	v_fma_f32 v11, -v16, v2, v3
	s_mov_b32 s1, 0
	v_mul_f32_e32 v10, v20, v10
	v_mul_f32_e32 v11, v20, v11
.LBB56_72:                              ;   in Loop: Header=BB56_57 Depth=1
	s_andn2_b32 vcc_lo, exec_lo, s1
	s_cbranch_vccnz .LBB56_74
; %bb.73:                               ;   in Loop: Header=BB56_57 Depth=1
	s_waitcnt vmcnt(0)
	v_div_scale_f32 v10, null, v18, v18, v2
	v_div_scale_f32 v11, null, v19, v19, v3
	v_div_scale_f32 v24, vcc_lo, v2, v18, v2
	v_rcp_f32_e32 v12, v10
	v_rcp_f32_e32 v13, v11
	v_fma_f32 v22, -v10, v12, 1.0
	v_fma_f32 v23, -v11, v13, 1.0
	v_fmac_f32_e32 v12, v22, v12
	v_div_scale_f32 v22, s1, v3, v19, v3
	v_fmac_f32_e32 v13, v23, v13
	v_mul_f32_e32 v23, v24, v12
	v_mul_f32_e32 v25, v22, v13
	v_fma_f32 v26, -v10, v23, v24
	v_fma_f32 v27, -v11, v25, v22
	v_fmac_f32_e32 v23, v26, v12
	v_fmac_f32_e32 v25, v27, v13
	v_fma_f32 v10, -v10, v23, v24
	v_fma_f32 v11, -v11, v25, v22
	v_div_fmas_f32 v10, v10, v12, v23
	s_mov_b32 vcc_lo, s1
	v_div_fmas_f32 v11, v11, v13, v25
	v_div_fixup_f32 v10, v10, v18, v2
	v_div_fixup_f32 v11, v11, v19, v3
.LBB56_74:                              ;   in Loop: Header=BB56_57 Depth=1
	s_cbranch_execz .LBB56_86
.LBB56_75:                              ;   in Loop: Header=BB56_57 Depth=1
	s_andn2_b32 vcc_lo, exec_lo, s0
	s_mov_b32 s1, -1
	s_cbranch_vccnz .LBB56_87
.LBB56_76:                              ;   in Loop: Header=BB56_57 Depth=1
	s_andn2_b32 vcc_lo, exec_lo, s4
	s_cbranch_vccnz .LBB56_78
; %bb.77:                               ;   in Loop: Header=BB56_57 Depth=1
	s_waitcnt vmcnt(1)
	v_fma_f32 v2, v16, v5, v4
	v_fma_f32 v3, -v16, v4, v5
	s_mov_b32 s1, 0
	v_mul_f32_e32 v12, v20, v2
	v_mul_f32_e32 v13, v20, v3
.LBB56_78:                              ;   in Loop: Header=BB56_57 Depth=1
	s_andn2_b32 vcc_lo, exec_lo, s1
	s_cbranch_vccnz .LBB56_80
; %bb.79:                               ;   in Loop: Header=BB56_57 Depth=1
	s_waitcnt vmcnt(1)
	v_div_scale_f32 v2, null, v18, v18, v4
	v_div_scale_f32 v3, null, v19, v19, v5
	v_div_scale_f32 v24, vcc_lo, v4, v18, v4
	v_rcp_f32_e32 v12, v2
	v_rcp_f32_e32 v13, v3
	v_fma_f32 v22, -v2, v12, 1.0
	v_fma_f32 v23, -v3, v13, 1.0
	v_fmac_f32_e32 v12, v22, v12
	v_div_scale_f32 v22, s1, v5, v19, v5
	v_fmac_f32_e32 v13, v23, v13
	v_mul_f32_e32 v23, v24, v12
	v_mul_f32_e32 v25, v22, v13
	v_fma_f32 v26, -v2, v23, v24
	v_fma_f32 v27, -v3, v25, v22
	v_fmac_f32_e32 v23, v26, v12
	v_fmac_f32_e32 v25, v27, v13
	v_fma_f32 v2, -v2, v23, v24
	v_fma_f32 v3, -v3, v25, v22
	v_div_fmas_f32 v2, v2, v12, v23
	s_mov_b32 vcc_lo, s1
	v_div_fmas_f32 v3, v3, v13, v25
	v_div_fixup_f32 v12, v2, v18, v4
	v_div_fixup_f32 v13, v3, v19, v5
.LBB56_80:                              ;   in Loop: Header=BB56_57 Depth=1
	s_cbranch_execnz .LBB56_56
	s_branch .LBB56_88
.LBB56_81:                              ;   in Loop: Header=BB56_57 Depth=1
	s_andn2_b32 vcc_lo, exec_lo, s1
	s_cbranch_vccnz .LBB56_63
.LBB56_82:                              ;   in Loop: Header=BB56_57 Depth=1
	s_waitcnt vmcnt(0)
	v_fma_f32 v6, v17, v8, v9
	v_fma_f32 v7, v17, v9, -v8
	v_mul_f32_e32 v6, v21, v6
	v_mul_f32_e32 v7, v21, v7
	s_andn2_b32 vcc_lo, exec_lo, s0
	s_mov_b32 s1, -1
	s_cbranch_vccz .LBB56_64
.LBB56_83:                              ;   in Loop: Header=BB56_57 Depth=1
	s_andn2_b32 vcc_lo, exec_lo, s1
	s_cbranch_vccnz .LBB56_69
.LBB56_84:                              ;   in Loop: Header=BB56_57 Depth=1
	s_waitcnt vmcnt(0)
	v_fma_f32 v8, v17, v10, v11
	v_fma_f32 v9, v17, v11, -v10
	v_mul_f32_e32 v8, v21, v8
	v_mul_f32_e32 v9, v21, v9
	s_andn2_b32 vcc_lo, exec_lo, s0
	s_mov_b32 s1, -1
                                        ; implicit-def: $vgpr11
	s_cbranch_vccz .LBB56_70
.LBB56_85:                              ;   in Loop: Header=BB56_57 Depth=1
	s_andn2_b32 vcc_lo, exec_lo, s1
	s_cbranch_vccnz .LBB56_75
.LBB56_86:                              ;   in Loop: Header=BB56_57 Depth=1
	s_waitcnt vmcnt(0)
	v_fma_f32 v10, v17, v2, v3
	v_fma_f32 v2, v17, v3, -v2
	v_mul_f32_e32 v10, v21, v10
	v_mul_f32_e32 v11, v21, v2
	s_andn2_b32 vcc_lo, exec_lo, s0
	s_mov_b32 s1, -1
	s_cbranch_vccz .LBB56_76
.LBB56_87:                              ;   in Loop: Header=BB56_57 Depth=1
	s_andn2_b32 vcc_lo, exec_lo, s1
	s_cbranch_vccnz .LBB56_56
.LBB56_88:                              ;   in Loop: Header=BB56_57 Depth=1
	s_waitcnt vmcnt(1)
	v_fma_f32 v2, v17, v4, v5
	v_fma_f32 v3, v17, v5, -v4
	v_mul_f32_e32 v12, v21, v2
	v_mul_f32_e32 v13, v21, v3
	s_branch .LBB56_56
.LBB56_89:
	s_endpgm
	.section	.rodata,"a",@progbits
	.p2align	6, 0x0
	.amdhsa_kernel _ZN2at6native12_GLOBAL__N_125multi_tensor_apply_kernelINS1_28TensorListScalarListMetadataIN3c107complexIfEELi1EEENS1_25BinaryOpScalarListFunctorIS6_Li1ELi1ELi0EEEJSt7dividesIS6_EEEEvT_T0_DpT1_
		.amdhsa_group_segment_fixed_size 0
		.amdhsa_private_segment_fixed_size 0
		.amdhsa_kernarg_size 4168
		.amdhsa_user_sgpr_count 6
		.amdhsa_user_sgpr_private_segment_buffer 1
		.amdhsa_user_sgpr_dispatch_ptr 0
		.amdhsa_user_sgpr_queue_ptr 0
		.amdhsa_user_sgpr_kernarg_segment_ptr 1
		.amdhsa_user_sgpr_dispatch_id 0
		.amdhsa_user_sgpr_flat_scratch_init 0
		.amdhsa_user_sgpr_private_segment_size 0
		.amdhsa_wavefront_size32 1
		.amdhsa_uses_dynamic_stack 0
		.amdhsa_system_sgpr_private_segment_wavefront_offset 0
		.amdhsa_system_sgpr_workgroup_id_x 1
		.amdhsa_system_sgpr_workgroup_id_y 0
		.amdhsa_system_sgpr_workgroup_id_z 0
		.amdhsa_system_sgpr_workgroup_info 0
		.amdhsa_system_vgpr_workitem_id 0
		.amdhsa_next_free_vgpr 37
		.amdhsa_next_free_sgpr 28
		.amdhsa_reserve_vcc 1
		.amdhsa_reserve_flat_scratch 0
		.amdhsa_float_round_mode_32 0
		.amdhsa_float_round_mode_16_64 0
		.amdhsa_float_denorm_mode_32 3
		.amdhsa_float_denorm_mode_16_64 3
		.amdhsa_dx10_clamp 1
		.amdhsa_ieee_mode 1
		.amdhsa_fp16_overflow 0
		.amdhsa_workgroup_processor_mode 1
		.amdhsa_memory_ordered 1
		.amdhsa_forward_progress 1
		.amdhsa_shared_vgpr_count 0
		.amdhsa_exception_fp_ieee_invalid_op 0
		.amdhsa_exception_fp_denorm_src 0
		.amdhsa_exception_fp_ieee_div_zero 0
		.amdhsa_exception_fp_ieee_overflow 0
		.amdhsa_exception_fp_ieee_underflow 0
		.amdhsa_exception_fp_ieee_inexact 0
		.amdhsa_exception_int_div_zero 0
	.end_amdhsa_kernel
	.section	.text._ZN2at6native12_GLOBAL__N_125multi_tensor_apply_kernelINS1_28TensorListScalarListMetadataIN3c107complexIfEELi1EEENS1_25BinaryOpScalarListFunctorIS6_Li1ELi1ELi0EEEJSt7dividesIS6_EEEEvT_T0_DpT1_,"axG",@progbits,_ZN2at6native12_GLOBAL__N_125multi_tensor_apply_kernelINS1_28TensorListScalarListMetadataIN3c107complexIfEELi1EEENS1_25BinaryOpScalarListFunctorIS6_Li1ELi1ELi0EEEJSt7dividesIS6_EEEEvT_T0_DpT1_,comdat
.Lfunc_end56:
	.size	_ZN2at6native12_GLOBAL__N_125multi_tensor_apply_kernelINS1_28TensorListScalarListMetadataIN3c107complexIfEELi1EEENS1_25BinaryOpScalarListFunctorIS6_Li1ELi1ELi0EEEJSt7dividesIS6_EEEEvT_T0_DpT1_, .Lfunc_end56-_ZN2at6native12_GLOBAL__N_125multi_tensor_apply_kernelINS1_28TensorListScalarListMetadataIN3c107complexIfEELi1EEENS1_25BinaryOpScalarListFunctorIS6_Li1ELi1ELi0EEEJSt7dividesIS6_EEEEvT_T0_DpT1_
                                        ; -- End function
	.set _ZN2at6native12_GLOBAL__N_125multi_tensor_apply_kernelINS1_28TensorListScalarListMetadataIN3c107complexIfEELi1EEENS1_25BinaryOpScalarListFunctorIS6_Li1ELi1ELi0EEEJSt7dividesIS6_EEEEvT_T0_DpT1_.num_vgpr, 37
	.set _ZN2at6native12_GLOBAL__N_125multi_tensor_apply_kernelINS1_28TensorListScalarListMetadataIN3c107complexIfEELi1EEENS1_25BinaryOpScalarListFunctorIS6_Li1ELi1ELi0EEEJSt7dividesIS6_EEEEvT_T0_DpT1_.num_agpr, 0
	.set _ZN2at6native12_GLOBAL__N_125multi_tensor_apply_kernelINS1_28TensorListScalarListMetadataIN3c107complexIfEELi1EEENS1_25BinaryOpScalarListFunctorIS6_Li1ELi1ELi0EEEJSt7dividesIS6_EEEEvT_T0_DpT1_.numbered_sgpr, 28
	.set _ZN2at6native12_GLOBAL__N_125multi_tensor_apply_kernelINS1_28TensorListScalarListMetadataIN3c107complexIfEELi1EEENS1_25BinaryOpScalarListFunctorIS6_Li1ELi1ELi0EEEJSt7dividesIS6_EEEEvT_T0_DpT1_.num_named_barrier, 0
	.set _ZN2at6native12_GLOBAL__N_125multi_tensor_apply_kernelINS1_28TensorListScalarListMetadataIN3c107complexIfEELi1EEENS1_25BinaryOpScalarListFunctorIS6_Li1ELi1ELi0EEEJSt7dividesIS6_EEEEvT_T0_DpT1_.private_seg_size, 0
	.set _ZN2at6native12_GLOBAL__N_125multi_tensor_apply_kernelINS1_28TensorListScalarListMetadataIN3c107complexIfEELi1EEENS1_25BinaryOpScalarListFunctorIS6_Li1ELi1ELi0EEEJSt7dividesIS6_EEEEvT_T0_DpT1_.uses_vcc, 1
	.set _ZN2at6native12_GLOBAL__N_125multi_tensor_apply_kernelINS1_28TensorListScalarListMetadataIN3c107complexIfEELi1EEENS1_25BinaryOpScalarListFunctorIS6_Li1ELi1ELi0EEEJSt7dividesIS6_EEEEvT_T0_DpT1_.uses_flat_scratch, 0
	.set _ZN2at6native12_GLOBAL__N_125multi_tensor_apply_kernelINS1_28TensorListScalarListMetadataIN3c107complexIfEELi1EEENS1_25BinaryOpScalarListFunctorIS6_Li1ELi1ELi0EEEJSt7dividesIS6_EEEEvT_T0_DpT1_.has_dyn_sized_stack, 0
	.set _ZN2at6native12_GLOBAL__N_125multi_tensor_apply_kernelINS1_28TensorListScalarListMetadataIN3c107complexIfEELi1EEENS1_25BinaryOpScalarListFunctorIS6_Li1ELi1ELi0EEEJSt7dividesIS6_EEEEvT_T0_DpT1_.has_recursion, 0
	.set _ZN2at6native12_GLOBAL__N_125multi_tensor_apply_kernelINS1_28TensorListScalarListMetadataIN3c107complexIfEELi1EEENS1_25BinaryOpScalarListFunctorIS6_Li1ELi1ELi0EEEJSt7dividesIS6_EEEEvT_T0_DpT1_.has_indirect_call, 0
	.section	.AMDGPU.csdata,"",@progbits
; Kernel info:
; codeLenInByte = 3900
; TotalNumSgprs: 30
; NumVgprs: 37
; ScratchSize: 0
; MemoryBound: 1
; FloatMode: 240
; IeeeMode: 1
; LDSByteSize: 0 bytes/workgroup (compile time only)
; SGPRBlocks: 0
; VGPRBlocks: 4
; NumSGPRsForWavesPerEU: 30
; NumVGPRsForWavesPerEU: 37
; Occupancy: 16
; WaveLimiterHint : 1
; COMPUTE_PGM_RSRC2:SCRATCH_EN: 0
; COMPUTE_PGM_RSRC2:USER_SGPR: 6
; COMPUTE_PGM_RSRC2:TRAP_HANDLER: 0
; COMPUTE_PGM_RSRC2:TGID_X_EN: 1
; COMPUTE_PGM_RSRC2:TGID_Y_EN: 0
; COMPUTE_PGM_RSRC2:TGID_Z_EN: 0
; COMPUTE_PGM_RSRC2:TIDIG_COMP_CNT: 0
	.section	.text._ZN2at6native12_GLOBAL__N_125multi_tensor_apply_kernelINS1_28TensorListScalarListMetadataIbLi1EEENS1_25BinaryOpScalarListFunctorIbLi1ELi1ELi0EEEJSt7dividesIbEEEEvT_T0_DpT1_,"axG",@progbits,_ZN2at6native12_GLOBAL__N_125multi_tensor_apply_kernelINS1_28TensorListScalarListMetadataIbLi1EEENS1_25BinaryOpScalarListFunctorIbLi1ELi1ELi0EEEJSt7dividesIbEEEEvT_T0_DpT1_,comdat
	.globl	_ZN2at6native12_GLOBAL__N_125multi_tensor_apply_kernelINS1_28TensorListScalarListMetadataIbLi1EEENS1_25BinaryOpScalarListFunctorIbLi1ELi1ELi0EEEJSt7dividesIbEEEEvT_T0_DpT1_ ; -- Begin function _ZN2at6native12_GLOBAL__N_125multi_tensor_apply_kernelINS1_28TensorListScalarListMetadataIbLi1EEENS1_25BinaryOpScalarListFunctorIbLi1ELi1ELi0EEEJSt7dividesIbEEEEvT_T0_DpT1_
	.p2align	8
	.type	_ZN2at6native12_GLOBAL__N_125multi_tensor_apply_kernelINS1_28TensorListScalarListMetadataIbLi1EEENS1_25BinaryOpScalarListFunctorIbLi1ELi1ELi0EEEJSt7dividesIbEEEEvT_T0_DpT1_,@function
_ZN2at6native12_GLOBAL__N_125multi_tensor_apply_kernelINS1_28TensorListScalarListMetadataIbLi1EEENS1_25BinaryOpScalarListFunctorIbLi1ELi1ELi0EEEJSt7dividesIbEEEEvT_T0_DpT1_: ; @_ZN2at6native12_GLOBAL__N_125multi_tensor_apply_kernelINS1_28TensorListScalarListMetadataIbLi1EEENS1_25BinaryOpScalarListFunctorIbLi1ELi1ELi0EEEJSt7dividesIbEEEEvT_T0_DpT1_
; %bb.0:
	v_mov_b32_e32 v1, s6
	s_add_u32 s0, s4, s6
	s_mul_hi_u32 s1, s6, 3
	s_mul_i32 s6, s6, 3
	s_addc_u32 s3, s5, 0
	global_load_ubyte v1, v1, s[4:5] offset:1632
	s_add_u32 s2, s0, s6
	s_addc_u32 s3, s3, s1
	s_waitcnt vmcnt(0)
	v_readfirstlane_b32 s7, v1
	s_lshl_b32 s0, s7, 3
	s_clause 0x1
	s_load_dwordx2 s[6:7], s[4:5], s0 offset:0x300
	s_load_dwordx2 s[0:1], s[4:5], s0 offset:0x0
	s_waitcnt lgkmcnt(0)
	s_or_b32 s8, s6, s0
	s_and_b32 s8, s8, 3
	s_cmp_eq_u32 s8, 0
	s_cbranch_scc1 .LBB57_20
; %bb.1:
	s_load_dword s2, s[2:3], 0x7a0
	s_waitcnt lgkmcnt(0)
	s_ashr_i32 s3, s2, 31
	s_lshl_b64 s[2:3], s[2:3], 16
	s_sub_u32 s6, s6, s2
	s_subb_u32 s7, s7, s3
	v_cmp_lt_i64_e64 s8, s[6:7], 1
	s_and_b32 vcc_lo, exec_lo, s8
	s_cbranch_vccnz .LBB57_20
; %bb.2:
	s_load_dword s8, s[4:5], 0xcb4
	v_cmp_gt_i64_e64 s4, 0x10000, s[6:7]
	v_cmp_gt_u64_e64 s9, 0x10000, s[6:7]
	v_add_co_u32 v11, s5, s2, v0
	v_add_co_ci_u32_e64 v12, null, s3, 0, s5
	s_and_b32 s4, s4, exec_lo
	s_cselect_b32 s5, s7, 0
	s_cselect_b32 s4, s6, 0x10000
	v_add_co_u32 v1, vcc_lo, s0, v11
	v_add_co_ci_u32_e64 v2, null, s1, v12, vcc_lo
	v_mov_b32_e32 v15, 0
	s_waitcnt lgkmcnt(0)
	s_and_b32 s8, s8, 0xffff
	s_and_b32 s9, s9, exec_lo
	s_mul_i32 s11, s8, 3
	s_cselect_b32 s7, s7, 0
	s_cselect_b32 s6, s6, 0x10000
	s_lshl_b32 s9, s8, 1
	s_lshl_b32 s10, s8, 2
	s_add_u32 s12, s2, s11
	s_addc_u32 s13, s3, 0
	s_add_u32 s12, s0, s12
	s_addc_u32 s13, s1, s13
	;; [unrolled: 2-line block ×4, first 2 shown]
	v_add_co_u32 v7, s2, s2, v0
	s_add_u32 s0, s0, s8
	v_add_co_u32 v3, s12, s12, v0
	v_add_co_u32 v5, s11, s11, v0
	v_add_co_ci_u32_e64 v8, null, s3, 0, s2
	v_add_co_u32 v9, s2, s9, v0
	s_addc_u32 s1, s1, 0
	v_add_co_u32 v11, vcc_lo, s0, v11
	v_add_co_u32 v13, s0, v0, s8
	v_add_co_ci_u32_e64 v4, null, s13, 0, s12
	v_add_co_ci_u32_e64 v6, null, 0, 0, s11
	;; [unrolled: 1-line block ×3, first 2 shown]
	v_add_co_ci_u32_e64 v12, null, s1, v12, vcc_lo
	v_add_co_ci_u32_e64 v14, null, 0, 0, s0
	s_mov_b64 s[8:9], 0
	s_branch .LBB57_4
.LBB57_3:                               ;   in Loop: Header=BB57_4 Depth=1
	s_or_b32 exec_lo, exec_lo, s0
	s_add_u32 s8, s8, s10
	s_addc_u32 s9, s9, 0
	v_cmp_lt_i64_e64 s0, s[8:9], s[4:5]
	s_and_b32 vcc_lo, exec_lo, s0
	s_cbranch_vccz .LBB57_20
.LBB57_4:                               ; =>This Inner Loop Header: Depth=1
	v_add_co_u32 v16, s0, v0, s8
	v_add_co_ci_u32_e64 v17, null, 0, s9, s0
	v_and_b32_e32 v15, 0xffffff00, v15
	v_cmp_gt_u64_e32 vcc_lo, s[6:7], v[16:17]
	v_mov_b32_e32 v16, 0
	s_and_saveexec_b32 s1, vcc_lo
	s_cbranch_execz .LBB57_6
; %bb.5:                                ;   in Loop: Header=BB57_4 Depth=1
	v_add_co_u32 v16, s0, v1, s8
	v_add_co_ci_u32_e64 v17, null, s9, v2, s0
	global_load_ubyte v16, v[16:17], off
	s_waitcnt vmcnt(0)
	v_perm_b32 v15, v16, v15, 0x3020104
.LBB57_6:                               ;   in Loop: Header=BB57_4 Depth=1
	s_or_b32 exec_lo, exec_lo, s1
	v_add_co_u32 v17, s0, v13, s8
	v_add_co_ci_u32_e64 v18, null, s9, v14, s0
	v_and_b32_e32 v15, 0xffff00ff, v15
	v_cmp_gt_u64_e64 s0, s[6:7], v[17:18]
	s_and_saveexec_b32 s2, s0
	s_cbranch_execz .LBB57_8
; %bb.7:                                ;   in Loop: Header=BB57_4 Depth=1
	v_add_co_u32 v17, s1, v11, s8
	v_add_co_ci_u32_e64 v18, null, s9, v12, s1
	global_load_ubyte v17, v[17:18], off
	s_waitcnt vmcnt(0)
	v_perm_b32 v15, v15, v17, 0x7060004
.LBB57_8:                               ;   in Loop: Header=BB57_4 Depth=1
	s_or_b32 exec_lo, exec_lo, s2
	v_add_co_u32 v17, s1, v9, s8
	v_add_co_ci_u32_e64 v18, null, s9, v10, s1
	v_lshrrev_b32_e32 v19, 24, v15
	v_cmp_gt_u64_e64 s1, s[6:7], v[17:18]
	v_perm_b32 v15, v19, v15, 0x40c0100
	s_and_saveexec_b32 s3, s1
	s_cbranch_execz .LBB57_10
; %bb.9:                                ;   in Loop: Header=BB57_4 Depth=1
	v_add_co_u32 v17, s2, v7, s8
	v_add_co_ci_u32_e64 v18, null, s9, v8, s2
	global_load_ubyte v17, v[17:18], off
	s_waitcnt vmcnt(0)
	v_perm_b32 v15, v15, v17, 0x7000504
.LBB57_10:                              ;   in Loop: Header=BB57_4 Depth=1
	s_or_b32 exec_lo, exec_lo, s3
	v_add_co_u32 v17, s2, v5, s8
	v_add_co_ci_u32_e64 v18, null, s9, v6, s2
	v_and_b32_e32 v15, 0xffffff, v15
	v_cmp_gt_u64_e64 s2, s[6:7], v[17:18]
	s_and_saveexec_b32 s11, s2
	s_cbranch_execnz .LBB57_15
; %bb.11:                               ;   in Loop: Header=BB57_4 Depth=1
	s_or_b32 exec_lo, exec_lo, s11
	s_and_saveexec_b32 s3, vcc_lo
	s_cbranch_execnz .LBB57_16
.LBB57_12:                              ;   in Loop: Header=BB57_4 Depth=1
	s_or_b32 exec_lo, exec_lo, s3
	s_and_saveexec_b32 s3, s0
	s_cbranch_execnz .LBB57_17
.LBB57_13:                              ;   in Loop: Header=BB57_4 Depth=1
	s_or_b32 exec_lo, exec_lo, s3
	s_and_saveexec_b32 s0, s1
	s_cbranch_execnz .LBB57_18
.LBB57_14:                              ;   in Loop: Header=BB57_4 Depth=1
	s_or_b32 exec_lo, exec_lo, s0
	s_and_saveexec_b32 s0, s2
	s_cbranch_execz .LBB57_3
	s_branch .LBB57_19
.LBB57_15:                              ;   in Loop: Header=BB57_4 Depth=1
	v_add_co_u32 v17, s3, v3, s8
	v_add_co_ci_u32_e64 v18, null, s9, v4, s3
	global_load_ubyte v17, v[17:18], off
	s_waitcnt vmcnt(0)
	v_lshlrev_b16 v17, 8, v17
	v_or_b32_sdwa v17, v15, v17 dst_sel:WORD_1 dst_unused:UNUSED_PAD src0_sel:WORD_1 src1_sel:DWORD
	v_and_or_b32 v15, 0xffff, v15, v17
	s_or_b32 exec_lo, exec_lo, s11
	s_and_saveexec_b32 s3, vcc_lo
	s_cbranch_execz .LBB57_12
.LBB57_16:                              ;   in Loop: Header=BB57_4 Depth=1
	v_add_co_u32 v17, vcc_lo, v1, s8
	v_add_co_ci_u32_e64 v18, null, s9, v2, vcc_lo
	global_store_byte v[17:18], v16, off
	s_or_b32 exec_lo, exec_lo, s3
	s_and_saveexec_b32 s3, s0
	s_cbranch_execz .LBB57_13
.LBB57_17:                              ;   in Loop: Header=BB57_4 Depth=1
	v_add_co_u32 v16, vcc_lo, v11, s8
	v_add_co_ci_u32_e64 v17, null, s9, v12, vcc_lo
	v_lshrrev_b32_e32 v18, 8, v15
	global_store_byte v[16:17], v18, off
	s_or_b32 exec_lo, exec_lo, s3
	s_and_saveexec_b32 s0, s1
	s_cbranch_execz .LBB57_14
.LBB57_18:                              ;   in Loop: Header=BB57_4 Depth=1
	v_add_co_u32 v16, vcc_lo, v7, s8
	v_add_co_ci_u32_e64 v17, null, s9, v8, vcc_lo
	global_store_byte_d16_hi v[16:17], v15, off
	s_or_b32 exec_lo, exec_lo, s0
	s_and_saveexec_b32 s0, s2
	s_cbranch_execz .LBB57_3
.LBB57_19:                              ;   in Loop: Header=BB57_4 Depth=1
	v_add_co_u32 v16, vcc_lo, v3, s8
	v_add_co_ci_u32_e64 v17, null, s9, v4, vcc_lo
	v_lshrrev_b32_e32 v18, 24, v15
	global_store_byte v[16:17], v18, off
	s_branch .LBB57_3
.LBB57_20:
	s_endpgm
	.section	.rodata,"a",@progbits
	.p2align	6, 0x0
	.amdhsa_kernel _ZN2at6native12_GLOBAL__N_125multi_tensor_apply_kernelINS1_28TensorListScalarListMetadataIbLi1EEENS1_25BinaryOpScalarListFunctorIbLi1ELi1ELi0EEEJSt7dividesIbEEEEvT_T0_DpT1_
		.amdhsa_group_segment_fixed_size 0
		.amdhsa_private_segment_fixed_size 0
		.amdhsa_kernarg_size 3496
		.amdhsa_user_sgpr_count 6
		.amdhsa_user_sgpr_private_segment_buffer 1
		.amdhsa_user_sgpr_dispatch_ptr 0
		.amdhsa_user_sgpr_queue_ptr 0
		.amdhsa_user_sgpr_kernarg_segment_ptr 1
		.amdhsa_user_sgpr_dispatch_id 0
		.amdhsa_user_sgpr_flat_scratch_init 0
		.amdhsa_user_sgpr_private_segment_size 0
		.amdhsa_wavefront_size32 1
		.amdhsa_uses_dynamic_stack 0
		.amdhsa_system_sgpr_private_segment_wavefront_offset 0
		.amdhsa_system_sgpr_workgroup_id_x 1
		.amdhsa_system_sgpr_workgroup_id_y 0
		.amdhsa_system_sgpr_workgroup_id_z 0
		.amdhsa_system_sgpr_workgroup_info 0
		.amdhsa_system_vgpr_workitem_id 0
		.amdhsa_next_free_vgpr 20
		.amdhsa_next_free_sgpr 14
		.amdhsa_reserve_vcc 1
		.amdhsa_reserve_flat_scratch 0
		.amdhsa_float_round_mode_32 0
		.amdhsa_float_round_mode_16_64 0
		.amdhsa_float_denorm_mode_32 3
		.amdhsa_float_denorm_mode_16_64 3
		.amdhsa_dx10_clamp 1
		.amdhsa_ieee_mode 1
		.amdhsa_fp16_overflow 0
		.amdhsa_workgroup_processor_mode 1
		.amdhsa_memory_ordered 1
		.amdhsa_forward_progress 1
		.amdhsa_shared_vgpr_count 0
		.amdhsa_exception_fp_ieee_invalid_op 0
		.amdhsa_exception_fp_denorm_src 0
		.amdhsa_exception_fp_ieee_div_zero 0
		.amdhsa_exception_fp_ieee_overflow 0
		.amdhsa_exception_fp_ieee_underflow 0
		.amdhsa_exception_fp_ieee_inexact 0
		.amdhsa_exception_int_div_zero 0
	.end_amdhsa_kernel
	.section	.text._ZN2at6native12_GLOBAL__N_125multi_tensor_apply_kernelINS1_28TensorListScalarListMetadataIbLi1EEENS1_25BinaryOpScalarListFunctorIbLi1ELi1ELi0EEEJSt7dividesIbEEEEvT_T0_DpT1_,"axG",@progbits,_ZN2at6native12_GLOBAL__N_125multi_tensor_apply_kernelINS1_28TensorListScalarListMetadataIbLi1EEENS1_25BinaryOpScalarListFunctorIbLi1ELi1ELi0EEEJSt7dividesIbEEEEvT_T0_DpT1_,comdat
.Lfunc_end57:
	.size	_ZN2at6native12_GLOBAL__N_125multi_tensor_apply_kernelINS1_28TensorListScalarListMetadataIbLi1EEENS1_25BinaryOpScalarListFunctorIbLi1ELi1ELi0EEEJSt7dividesIbEEEEvT_T0_DpT1_, .Lfunc_end57-_ZN2at6native12_GLOBAL__N_125multi_tensor_apply_kernelINS1_28TensorListScalarListMetadataIbLi1EEENS1_25BinaryOpScalarListFunctorIbLi1ELi1ELi0EEEJSt7dividesIbEEEEvT_T0_DpT1_
                                        ; -- End function
	.set _ZN2at6native12_GLOBAL__N_125multi_tensor_apply_kernelINS1_28TensorListScalarListMetadataIbLi1EEENS1_25BinaryOpScalarListFunctorIbLi1ELi1ELi0EEEJSt7dividesIbEEEEvT_T0_DpT1_.num_vgpr, 20
	.set _ZN2at6native12_GLOBAL__N_125multi_tensor_apply_kernelINS1_28TensorListScalarListMetadataIbLi1EEENS1_25BinaryOpScalarListFunctorIbLi1ELi1ELi0EEEJSt7dividesIbEEEEvT_T0_DpT1_.num_agpr, 0
	.set _ZN2at6native12_GLOBAL__N_125multi_tensor_apply_kernelINS1_28TensorListScalarListMetadataIbLi1EEENS1_25BinaryOpScalarListFunctorIbLi1ELi1ELi0EEEJSt7dividesIbEEEEvT_T0_DpT1_.numbered_sgpr, 14
	.set _ZN2at6native12_GLOBAL__N_125multi_tensor_apply_kernelINS1_28TensorListScalarListMetadataIbLi1EEENS1_25BinaryOpScalarListFunctorIbLi1ELi1ELi0EEEJSt7dividesIbEEEEvT_T0_DpT1_.num_named_barrier, 0
	.set _ZN2at6native12_GLOBAL__N_125multi_tensor_apply_kernelINS1_28TensorListScalarListMetadataIbLi1EEENS1_25BinaryOpScalarListFunctorIbLi1ELi1ELi0EEEJSt7dividesIbEEEEvT_T0_DpT1_.private_seg_size, 0
	.set _ZN2at6native12_GLOBAL__N_125multi_tensor_apply_kernelINS1_28TensorListScalarListMetadataIbLi1EEENS1_25BinaryOpScalarListFunctorIbLi1ELi1ELi0EEEJSt7dividesIbEEEEvT_T0_DpT1_.uses_vcc, 1
	.set _ZN2at6native12_GLOBAL__N_125multi_tensor_apply_kernelINS1_28TensorListScalarListMetadataIbLi1EEENS1_25BinaryOpScalarListFunctorIbLi1ELi1ELi0EEEJSt7dividesIbEEEEvT_T0_DpT1_.uses_flat_scratch, 0
	.set _ZN2at6native12_GLOBAL__N_125multi_tensor_apply_kernelINS1_28TensorListScalarListMetadataIbLi1EEENS1_25BinaryOpScalarListFunctorIbLi1ELi1ELi0EEEJSt7dividesIbEEEEvT_T0_DpT1_.has_dyn_sized_stack, 0
	.set _ZN2at6native12_GLOBAL__N_125multi_tensor_apply_kernelINS1_28TensorListScalarListMetadataIbLi1EEENS1_25BinaryOpScalarListFunctorIbLi1ELi1ELi0EEEJSt7dividesIbEEEEvT_T0_DpT1_.has_recursion, 0
	.set _ZN2at6native12_GLOBAL__N_125multi_tensor_apply_kernelINS1_28TensorListScalarListMetadataIbLi1EEENS1_25BinaryOpScalarListFunctorIbLi1ELi1ELi0EEEJSt7dividesIbEEEEvT_T0_DpT1_.has_indirect_call, 0
	.section	.AMDGPU.csdata,"",@progbits
; Kernel info:
; codeLenInByte = 996
; TotalNumSgprs: 16
; NumVgprs: 20
; ScratchSize: 0
; MemoryBound: 0
; FloatMode: 240
; IeeeMode: 1
; LDSByteSize: 0 bytes/workgroup (compile time only)
; SGPRBlocks: 0
; VGPRBlocks: 2
; NumSGPRsForWavesPerEU: 16
; NumVGPRsForWavesPerEU: 20
; Occupancy: 16
; WaveLimiterHint : 0
; COMPUTE_PGM_RSRC2:SCRATCH_EN: 0
; COMPUTE_PGM_RSRC2:USER_SGPR: 6
; COMPUTE_PGM_RSRC2:TRAP_HANDLER: 0
; COMPUTE_PGM_RSRC2:TGID_X_EN: 1
; COMPUTE_PGM_RSRC2:TGID_Y_EN: 0
; COMPUTE_PGM_RSRC2:TGID_Z_EN: 0
; COMPUTE_PGM_RSRC2:TIDIG_COMP_CNT: 0
	.section	.text._ZN2at6native12_GLOBAL__N_125multi_tensor_apply_kernelINS1_28TensorListScalarListMetadataIfLi1EEENS1_25BinaryOpScalarListFunctorIN3c104HalfELi1ELi1ELi0EEEJSt7dividesIfEEEEvT_T0_DpT1_,"axG",@progbits,_ZN2at6native12_GLOBAL__N_125multi_tensor_apply_kernelINS1_28TensorListScalarListMetadataIfLi1EEENS1_25BinaryOpScalarListFunctorIN3c104HalfELi1ELi1ELi0EEEJSt7dividesIfEEEEvT_T0_DpT1_,comdat
	.globl	_ZN2at6native12_GLOBAL__N_125multi_tensor_apply_kernelINS1_28TensorListScalarListMetadataIfLi1EEENS1_25BinaryOpScalarListFunctorIN3c104HalfELi1ELi1ELi0EEEJSt7dividesIfEEEEvT_T0_DpT1_ ; -- Begin function _ZN2at6native12_GLOBAL__N_125multi_tensor_apply_kernelINS1_28TensorListScalarListMetadataIfLi1EEENS1_25BinaryOpScalarListFunctorIN3c104HalfELi1ELi1ELi0EEEJSt7dividesIfEEEEvT_T0_DpT1_
	.p2align	8
	.type	_ZN2at6native12_GLOBAL__N_125multi_tensor_apply_kernelINS1_28TensorListScalarListMetadataIfLi1EEENS1_25BinaryOpScalarListFunctorIN3c104HalfELi1ELi1ELi0EEEJSt7dividesIfEEEEvT_T0_DpT1_,@function
_ZN2at6native12_GLOBAL__N_125multi_tensor_apply_kernelINS1_28TensorListScalarListMetadataIfLi1EEENS1_25BinaryOpScalarListFunctorIN3c104HalfELi1ELi1ELi0EEEJSt7dividesIfEEEEvT_T0_DpT1_: ; @_ZN2at6native12_GLOBAL__N_125multi_tensor_apply_kernelINS1_28TensorListScalarListMetadataIfLi1EEENS1_25BinaryOpScalarListFunctorIN3c104HalfELi1ELi1ELi0EEEJSt7dividesIfEEEEvT_T0_DpT1_
; %bb.0:
	v_mov_b32_e32 v1, s6
	s_add_u32 s0, s4, s6
	s_mul_i32 s1, s6, 3
	s_mul_hi_u32 s2, s6, 3
	s_addc_u32 s3, s5, 0
	global_load_ubyte v1, v1, s[4:5] offset:1920
	s_add_u32 s0, s0, s1
	s_addc_u32 s1, s3, s2
	s_mov_b32 s13, 0
	s_load_dword s0, s[0:1], 0x8c0
	s_waitcnt vmcnt(0)
	v_readfirstlane_b32 s1, v1
	v_lshlrev_b32_e32 v1, 2, v1
	s_lshl_b32 s8, s1, 3
	v_sub_co_u32 v1, s1, 0, v1
	v_sub_co_ci_u32_e64 v2, null, 0, 0, s1
	s_waitcnt lgkmcnt(0)
	s_ashr_i32 s1, s0, 31
	s_clause 0x1
	s_load_dwordx2 s[2:3], s[4:5], s8 offset:0x300
	s_load_dwordx2 s[6:7], s[4:5], s8 offset:0x0
	s_add_u32 s8, s4, s8
	s_addc_u32 s9, s5, 0
	v_add_co_u32 v1, vcc_lo, s8, v1
	v_add_co_ci_u32_e64 v2, null, s9, v2, vcc_lo
	v_readfirstlane_b32 s8, v1
	v_readfirstlane_b32 s9, v2
	s_load_dword s18, s[8:9], 0x600
	s_lshl_b64 s[8:9], s[0:1], 17
	s_lshl_b64 s[0:1], s[0:1], 16
	s_waitcnt lgkmcnt(0)
	s_and_b32 s12, s6, 7
	s_sub_u32 s10, s2, s0
	s_subb_u32 s11, s3, s1
	s_and_b32 s0, s2, 3
	s_mov_b32 s1, s13
	s_or_b64 s[0:1], s[12:13], s[0:1]
	s_cmp_eq_u64 s[0:1], 0
	s_cbranch_scc1 .LBB58_21
; %bb.1:
	v_cmp_lt_i64_e64 s0, s[10:11], 1
	s_and_b32 vcc_lo, exec_lo, s0
	s_cbranch_vccnz .LBB58_20
; %bb.2:
	s_load_dword s0, s[4:5], 0xdd4
	v_cmp_gt_i64_e64 s1, 0x10000, s[10:11]
	v_cmp_gt_u64_e64 s2, 0x10000, s[10:11]
	v_lshlrev_b32_e32 v1, 1, v0
	s_and_b32 s1, s1, exec_lo
	s_cselect_b32 s13, s11, 0
	s_cselect_b32 s12, s10, 0x10000
	s_waitcnt lgkmcnt(0)
	s_and_b32 s0, s0, 0xffff
	s_and_b32 s1, s2, exec_lo
	v_add_co_u32 v5, s3, v0, s0
	s_cselect_b32 s15, s11, 0
	s_cselect_b32 s14, s10, 0x10000
	s_lshl_b32 s1, s0, 1
	v_lshlrev_b32_e32 v3, 1, v5
	s_mul_i32 s2, s0, 3
	s_lshl_b32 s19, s0, 2
	s_add_u32 s16, s6, s8
	v_add_co_u32 v6, s2, s2, v0
	v_add_co_u32 v9, s1, s1, v0
	s_addc_u32 s17, s7, s9
	v_add_co_ci_u32_e64 v7, null, 0, 0, s2
	v_add_co_u32 v1, s2, s16, v1
	v_add_co_ci_u32_e64 v10, null, 0, 0, s1
	v_add_co_u32 v3, s1, s16, v3
	v_add_co_ci_u32_e64 v2, null, s17, 0, s2
	v_add_co_ci_u32_e64 v8, null, 0, 0, s3
	;; [unrolled: 1-line block ×3, first 2 shown]
	s_lshl_b32 s20, s0, 3
	s_mul_i32 s21, s0, 6
	s_mov_b64 s[16:17], 0
	s_branch .LBB58_4
.LBB58_3:                               ;   in Loop: Header=BB58_4 Depth=1
	s_or_b32 exec_lo, exec_lo, s1
	s_add_u32 s16, s16, s19
	s_addc_u32 s17, s17, 0
	v_add_co_u32 v1, vcc_lo, v1, s20
	v_cmp_lt_i64_e64 s0, s[16:17], s[12:13]
	v_add_co_ci_u32_e64 v2, null, 0, v2, vcc_lo
	v_add_co_u32 v3, vcc_lo, v3, s20
	v_add_co_ci_u32_e64 v4, null, 0, v4, vcc_lo
	s_and_b32 vcc_lo, exec_lo, s0
	s_cbranch_vccz .LBB58_20
.LBB58_4:                               ; =>This Inner Loop Header: Depth=1
	v_add_co_u32 v11, s0, v0, s16
	v_add_co_ci_u32_e64 v12, null, 0, s17, s0
	v_mov_b32_e32 v14, 0
	v_cmp_gt_u64_e32 vcc_lo, s[14:15], v[11:12]
	s_and_saveexec_b32 s0, vcc_lo
	s_cbranch_execz .LBB58_6
; %bb.5:                                ;   in Loop: Header=BB58_4 Depth=1
	global_load_ushort v11, v[1:2], off
	s_waitcnt vmcnt(0)
	v_cvt_f32_f16_e32 v14, v11
.LBB58_6:                               ;   in Loop: Header=BB58_4 Depth=1
	s_or_b32 exec_lo, exec_lo, s0
	v_add_co_u32 v11, s0, v5, s16
	v_add_co_ci_u32_e64 v12, null, s17, v8, s0
	v_mov_b32_e32 v13, 0
	v_cmp_gt_u64_e64 s2, s[14:15], v[11:12]
	v_mov_b32_e32 v11, 0
	s_and_saveexec_b32 s0, s2
	s_cbranch_execz .LBB58_8
; %bb.7:                                ;   in Loop: Header=BB58_4 Depth=1
	global_load_ushort v12, v[3:4], off
	s_waitcnt vmcnt(0)
	v_cvt_f32_f16_e32 v13, v12
.LBB58_8:                               ;   in Loop: Header=BB58_4 Depth=1
	s_or_b32 exec_lo, exec_lo, s0
	v_add_co_u32 v15, s0, v9, s16
	v_add_co_ci_u32_e64 v16, null, s17, v10, s0
	v_cmp_gt_u64_e64 s1, s[14:15], v[15:16]
	s_and_saveexec_b32 s3, s1
	s_cbranch_execz .LBB58_10
; %bb.9:                                ;   in Loop: Header=BB58_4 Depth=1
	v_add_co_u32 v11, s0, v1, s19
	v_add_co_ci_u32_e64 v12, null, 0, v2, s0
	global_load_ushort v11, v[11:12], off
	s_waitcnt vmcnt(0)
	v_cvt_f32_f16_e32 v11, v11
.LBB58_10:                              ;   in Loop: Header=BB58_4 Depth=1
	s_or_b32 exec_lo, exec_lo, s3
	v_add_co_u32 v15, s0, v6, s16
	v_add_co_ci_u32_e64 v16, null, s17, v7, s0
	v_mov_b32_e32 v12, 0
	v_cmp_gt_u64_e64 s0, s[14:15], v[15:16]
	s_and_saveexec_b32 s22, s0
	s_cbranch_execnz .LBB58_15
; %bb.11:                               ;   in Loop: Header=BB58_4 Depth=1
	s_or_b32 exec_lo, exec_lo, s22
	s_and_saveexec_b32 s3, vcc_lo
	s_cbranch_execnz .LBB58_16
.LBB58_12:                              ;   in Loop: Header=BB58_4 Depth=1
	s_or_b32 exec_lo, exec_lo, s3
	s_and_saveexec_b32 s3, s2
	s_cbranch_execnz .LBB58_17
.LBB58_13:                              ;   in Loop: Header=BB58_4 Depth=1
	s_or_b32 exec_lo, exec_lo, s3
	s_and_saveexec_b32 s2, s1
	s_cbranch_execnz .LBB58_18
.LBB58_14:                              ;   in Loop: Header=BB58_4 Depth=1
	s_or_b32 exec_lo, exec_lo, s2
	s_and_saveexec_b32 s1, s0
	s_cbranch_execz .LBB58_3
	s_branch .LBB58_19
.LBB58_15:                              ;   in Loop: Header=BB58_4 Depth=1
	v_add_co_u32 v15, s3, v1, s21
	v_add_co_ci_u32_e64 v16, null, 0, v2, s3
	global_load_ushort v12, v[15:16], off
	s_waitcnt vmcnt(0)
	v_cvt_f32_f16_e32 v12, v12
	s_or_b32 exec_lo, exec_lo, s22
	s_and_saveexec_b32 s3, vcc_lo
	s_cbranch_execz .LBB58_12
.LBB58_16:                              ;   in Loop: Header=BB58_4 Depth=1
	v_div_scale_f32 v15, null, s18, s18, v14
	v_rcp_f32_e32 v16, v15
	v_fma_f32 v17, -v15, v16, 1.0
	v_fmac_f32_e32 v16, v17, v16
	v_div_scale_f32 v17, vcc_lo, v14, s18, v14
	v_mul_f32_e32 v18, v17, v16
	v_fma_f32 v19, -v15, v18, v17
	v_fmac_f32_e32 v18, v19, v16
	v_fma_f32 v15, -v15, v18, v17
	v_div_fmas_f32 v15, v15, v16, v18
	v_div_fixup_f32 v14, v15, s18, v14
	v_cvt_f16_f32_e32 v14, v14
	global_store_short v[1:2], v14, off
	s_or_b32 exec_lo, exec_lo, s3
	s_and_saveexec_b32 s3, s2
	s_cbranch_execz .LBB58_13
.LBB58_17:                              ;   in Loop: Header=BB58_4 Depth=1
	v_div_scale_f32 v14, null, s18, s18, v13
	v_rcp_f32_e32 v15, v14
	v_fma_f32 v16, -v14, v15, 1.0
	v_fmac_f32_e32 v15, v16, v15
	v_div_scale_f32 v16, vcc_lo, v13, s18, v13
	v_mul_f32_e32 v17, v16, v15
	v_fma_f32 v18, -v14, v17, v16
	v_fmac_f32_e32 v17, v18, v15
	v_fma_f32 v14, -v14, v17, v16
	v_div_fmas_f32 v14, v14, v15, v17
	v_div_fixup_f32 v13, v14, s18, v13
	v_cvt_f16_f32_e32 v13, v13
	global_store_short v[3:4], v13, off
	s_or_b32 exec_lo, exec_lo, s3
	s_and_saveexec_b32 s2, s1
	s_cbranch_execz .LBB58_14
.LBB58_18:                              ;   in Loop: Header=BB58_4 Depth=1
	v_div_scale_f32 v13, null, s18, s18, v11
	v_div_scale_f32 v16, vcc_lo, v11, s18, v11
	v_rcp_f32_e32 v14, v13
	v_fma_f32 v15, -v13, v14, 1.0
	v_fmac_f32_e32 v14, v15, v14
	v_mul_f32_e32 v15, v16, v14
	v_fma_f32 v17, -v13, v15, v16
	v_fmac_f32_e32 v15, v17, v14
	v_fma_f32 v13, -v13, v15, v16
	v_div_fmas_f32 v13, v13, v14, v15
	v_div_fixup_f32 v11, v13, s18, v11
	v_add_co_u32 v13, vcc_lo, v1, s19
	v_add_co_ci_u32_e64 v14, null, 0, v2, vcc_lo
	v_cvt_f16_f32_e32 v11, v11
	global_store_short v[13:14], v11, off
	s_or_b32 exec_lo, exec_lo, s2
	s_and_saveexec_b32 s1, s0
	s_cbranch_execz .LBB58_3
.LBB58_19:                              ;   in Loop: Header=BB58_4 Depth=1
	v_div_scale_f32 v11, null, s18, s18, v12
	v_div_scale_f32 v15, vcc_lo, v12, s18, v12
	v_rcp_f32_e32 v13, v11
	v_fma_f32 v14, -v11, v13, 1.0
	v_fmac_f32_e32 v13, v14, v13
	v_mul_f32_e32 v14, v15, v13
	v_fma_f32 v16, -v11, v14, v15
	v_fmac_f32_e32 v14, v16, v13
	v_fma_f32 v11, -v11, v14, v15
	v_div_fmas_f32 v11, v11, v13, v14
	v_div_fixup_f32 v11, v11, s18, v12
	v_cvt_f16_f32_e32 v13, v11
	v_add_co_u32 v11, vcc_lo, v1, s21
	v_add_co_ci_u32_e64 v12, null, 0, v2, vcc_lo
	global_store_short v[11:12], v13, off
	s_branch .LBB58_3
.LBB58_20:
	s_cbranch_execz .LBB58_22
	s_branch .LBB58_25
.LBB58_21:
.LBB58_22:
	v_cmp_gt_i64_e64 s0, 0x10000, s[10:11]
	v_mov_b32_e32 v2, 0
	v_lshlrev_b32_e32 v1, 2, v0
	s_mov_b32 s3, 0
	s_and_b32 s0, s0, exec_lo
	s_cselect_b32 s11, s11, 0
	s_cselect_b32 s10, s10, 0x10000
	s_mov_b32 s0, exec_lo
	v_cmpx_gt_i64_e64 s[10:11], v[1:2]
	s_cbranch_execz .LBB58_25
; %bb.23:
	s_load_dword s0, s[4:5], 0xdd4
	v_lshlrev_b32_e32 v1, 3, v0
	s_mov_b32 s5, s18
	s_waitcnt lgkmcnt(0)
	s_and_b32 s4, s0, 0xffff
	s_add_u32 s0, s6, s8
	s_addc_u32 s1, s7, s9
	v_add_co_u32 v3, s0, s0, v1
	v_add_co_ci_u32_e64 v4, null, s1, 0, s0
	v_mov_b32_e32 v1, v2
	v_add_co_u32 v2, vcc_lo, v3, 6
	v_add_co_ci_u32_e64 v3, null, 0, v4, vcc_lo
	s_lshl_b32 s6, s4, 3
.LBB58_24:                              ; =>This Inner Loop Header: Depth=1
	global_load_dwordx2 v[4:5], v[2:3], off offset:-6
	s_waitcnt vmcnt(0)
	v_cvt_f32_f16_e32 v6, v4
	v_cvt_f32_f16_sdwa v7, v5 dst_sel:DWORD dst_unused:UNUSED_PAD src0_sel:WORD_1
	v_cvt_f32_f16_e32 v5, v5
	v_cvt_f32_f16_sdwa v4, v4 dst_sel:DWORD dst_unused:UNUSED_PAD src0_sel:WORD_1
	v_div_scale_f32 v8, null, s18, s18, v6
	v_div_scale_f32 v9, null, s18, s18, v7
	;; [unrolled: 1-line block ×3, first 2 shown]
	v_rcp_f32_e32 v12, v8
	v_div_scale_f32 v11, null, s18, s18, v4
	v_rcp_f32_e32 v13, v9
	v_rcp_f32_e32 v14, v10
	v_div_scale_f32 v16, vcc_lo, v6, s18, v6
	v_rcp_f32_e32 v15, v11
	v_div_scale_f32 v17, s0, v7, s18, v7
	v_fma_f32 v19, -v8, v12, 1.0
	v_div_scale_f32 v18, s1, v5, s5, v5
	v_fma_f32 v20, -v9, v13, 1.0
	v_fma_f32 v21, -v10, v14, 1.0
	v_fmac_f32_e32 v12, v19, v12
	v_div_scale_f32 v23, s2, v4, s18, v4
	v_fma_f32 v22, -v11, v15, 1.0
	v_fmac_f32_e32 v13, v20, v13
	v_fmac_f32_e32 v14, v21, v14
	v_mul_f32_e32 v19, v16, v12
	v_fmac_f32_e32 v15, v22, v15
	v_mul_f32_e32 v20, v17, v13
	v_mul_f32_e32 v21, v18, v14
	v_fma_f32 v24, -v8, v19, v16
	v_mul_f32_e32 v22, v23, v15
	v_fma_f32 v25, -v9, v20, v17
	v_fma_f32 v26, -v10, v21, v18
	v_fmac_f32_e32 v19, v24, v12
	v_fma_f32 v27, -v11, v22, v23
	v_fmac_f32_e32 v20, v25, v13
	v_fmac_f32_e32 v21, v26, v14
	v_fma_f32 v8, -v8, v19, v16
	v_fmac_f32_e32 v22, v27, v15
	v_fma_f32 v9, -v9, v20, v17
	v_fma_f32 v10, -v10, v21, v18
	v_div_fmas_f32 v8, v8, v12, v19
	s_mov_b32 vcc_lo, s0
	v_fma_f32 v11, -v11, v22, v23
	v_div_fmas_f32 v9, v9, v13, v20
	s_mov_b32 vcc_lo, s1
	v_div_fixup_f32 v6, v8, s18, v6
	v_div_fmas_f32 v10, v10, v14, v21
	s_mov_b32 vcc_lo, s2
	v_div_fixup_f32 v7, v9, s18, v7
	v_div_fmas_f32 v11, v11, v15, v22
	v_add_co_u32 v0, vcc_lo, v0, s4
	v_div_fixup_f32 v5, v10, s5, v5
	v_add_co_ci_u32_e64 v1, null, 0, v1, vcc_lo
	v_div_fixup_f32 v4, v11, s18, v4
	v_cvt_f16_f32_e32 v6, v6
	v_cvt_f16_f32_e32 v7, v7
	;; [unrolled: 1-line block ×4, first 2 shown]
	v_lshlrev_b64 v[4:5], 2, v[0:1]
	v_pack_b32_f16 v7, v8, v7
	v_pack_b32_f16 v6, v6, v9
	v_cmp_le_i64_e32 vcc_lo, s[10:11], v[4:5]
	global_store_dwordx2 v[2:3], v[6:7], off offset:-6
	v_add_co_u32 v2, s0, v2, s6
	v_add_co_ci_u32_e64 v3, null, 0, v3, s0
	s_or_b32 s3, vcc_lo, s3
	s_andn2_b32 exec_lo, exec_lo, s3
	s_cbranch_execnz .LBB58_24
.LBB58_25:
	s_endpgm
	.section	.rodata,"a",@progbits
	.p2align	6, 0x0
	.amdhsa_kernel _ZN2at6native12_GLOBAL__N_125multi_tensor_apply_kernelINS1_28TensorListScalarListMetadataIfLi1EEENS1_25BinaryOpScalarListFunctorIN3c104HalfELi1ELi1ELi0EEEJSt7dividesIfEEEEvT_T0_DpT1_
		.amdhsa_group_segment_fixed_size 0
		.amdhsa_private_segment_fixed_size 0
		.amdhsa_kernarg_size 3784
		.amdhsa_user_sgpr_count 6
		.amdhsa_user_sgpr_private_segment_buffer 1
		.amdhsa_user_sgpr_dispatch_ptr 0
		.amdhsa_user_sgpr_queue_ptr 0
		.amdhsa_user_sgpr_kernarg_segment_ptr 1
		.amdhsa_user_sgpr_dispatch_id 0
		.amdhsa_user_sgpr_flat_scratch_init 0
		.amdhsa_user_sgpr_private_segment_size 0
		.amdhsa_wavefront_size32 1
		.amdhsa_uses_dynamic_stack 0
		.amdhsa_system_sgpr_private_segment_wavefront_offset 0
		.amdhsa_system_sgpr_workgroup_id_x 1
		.amdhsa_system_sgpr_workgroup_id_y 0
		.amdhsa_system_sgpr_workgroup_id_z 0
		.amdhsa_system_sgpr_workgroup_info 0
		.amdhsa_system_vgpr_workitem_id 0
		.amdhsa_next_free_vgpr 28
		.amdhsa_next_free_sgpr 23
		.amdhsa_reserve_vcc 1
		.amdhsa_reserve_flat_scratch 0
		.amdhsa_float_round_mode_32 0
		.amdhsa_float_round_mode_16_64 0
		.amdhsa_float_denorm_mode_32 3
		.amdhsa_float_denorm_mode_16_64 3
		.amdhsa_dx10_clamp 1
		.amdhsa_ieee_mode 1
		.amdhsa_fp16_overflow 0
		.amdhsa_workgroup_processor_mode 1
		.amdhsa_memory_ordered 1
		.amdhsa_forward_progress 1
		.amdhsa_shared_vgpr_count 0
		.amdhsa_exception_fp_ieee_invalid_op 0
		.amdhsa_exception_fp_denorm_src 0
		.amdhsa_exception_fp_ieee_div_zero 0
		.amdhsa_exception_fp_ieee_overflow 0
		.amdhsa_exception_fp_ieee_underflow 0
		.amdhsa_exception_fp_ieee_inexact 0
		.amdhsa_exception_int_div_zero 0
	.end_amdhsa_kernel
	.section	.text._ZN2at6native12_GLOBAL__N_125multi_tensor_apply_kernelINS1_28TensorListScalarListMetadataIfLi1EEENS1_25BinaryOpScalarListFunctorIN3c104HalfELi1ELi1ELi0EEEJSt7dividesIfEEEEvT_T0_DpT1_,"axG",@progbits,_ZN2at6native12_GLOBAL__N_125multi_tensor_apply_kernelINS1_28TensorListScalarListMetadataIfLi1EEENS1_25BinaryOpScalarListFunctorIN3c104HalfELi1ELi1ELi0EEEJSt7dividesIfEEEEvT_T0_DpT1_,comdat
.Lfunc_end58:
	.size	_ZN2at6native12_GLOBAL__N_125multi_tensor_apply_kernelINS1_28TensorListScalarListMetadataIfLi1EEENS1_25BinaryOpScalarListFunctorIN3c104HalfELi1ELi1ELi0EEEJSt7dividesIfEEEEvT_T0_DpT1_, .Lfunc_end58-_ZN2at6native12_GLOBAL__N_125multi_tensor_apply_kernelINS1_28TensorListScalarListMetadataIfLi1EEENS1_25BinaryOpScalarListFunctorIN3c104HalfELi1ELi1ELi0EEEJSt7dividesIfEEEEvT_T0_DpT1_
                                        ; -- End function
	.set _ZN2at6native12_GLOBAL__N_125multi_tensor_apply_kernelINS1_28TensorListScalarListMetadataIfLi1EEENS1_25BinaryOpScalarListFunctorIN3c104HalfELi1ELi1ELi0EEEJSt7dividesIfEEEEvT_T0_DpT1_.num_vgpr, 28
	.set _ZN2at6native12_GLOBAL__N_125multi_tensor_apply_kernelINS1_28TensorListScalarListMetadataIfLi1EEENS1_25BinaryOpScalarListFunctorIN3c104HalfELi1ELi1ELi0EEEJSt7dividesIfEEEEvT_T0_DpT1_.num_agpr, 0
	.set _ZN2at6native12_GLOBAL__N_125multi_tensor_apply_kernelINS1_28TensorListScalarListMetadataIfLi1EEENS1_25BinaryOpScalarListFunctorIN3c104HalfELi1ELi1ELi0EEEJSt7dividesIfEEEEvT_T0_DpT1_.numbered_sgpr, 23
	.set _ZN2at6native12_GLOBAL__N_125multi_tensor_apply_kernelINS1_28TensorListScalarListMetadataIfLi1EEENS1_25BinaryOpScalarListFunctorIN3c104HalfELi1ELi1ELi0EEEJSt7dividesIfEEEEvT_T0_DpT1_.num_named_barrier, 0
	.set _ZN2at6native12_GLOBAL__N_125multi_tensor_apply_kernelINS1_28TensorListScalarListMetadataIfLi1EEENS1_25BinaryOpScalarListFunctorIN3c104HalfELi1ELi1ELi0EEEJSt7dividesIfEEEEvT_T0_DpT1_.private_seg_size, 0
	.set _ZN2at6native12_GLOBAL__N_125multi_tensor_apply_kernelINS1_28TensorListScalarListMetadataIfLi1EEENS1_25BinaryOpScalarListFunctorIN3c104HalfELi1ELi1ELi0EEEJSt7dividesIfEEEEvT_T0_DpT1_.uses_vcc, 1
	.set _ZN2at6native12_GLOBAL__N_125multi_tensor_apply_kernelINS1_28TensorListScalarListMetadataIfLi1EEENS1_25BinaryOpScalarListFunctorIN3c104HalfELi1ELi1ELi0EEEJSt7dividesIfEEEEvT_T0_DpT1_.uses_flat_scratch, 0
	.set _ZN2at6native12_GLOBAL__N_125multi_tensor_apply_kernelINS1_28TensorListScalarListMetadataIfLi1EEENS1_25BinaryOpScalarListFunctorIN3c104HalfELi1ELi1ELi0EEEJSt7dividesIfEEEEvT_T0_DpT1_.has_dyn_sized_stack, 0
	.set _ZN2at6native12_GLOBAL__N_125multi_tensor_apply_kernelINS1_28TensorListScalarListMetadataIfLi1EEENS1_25BinaryOpScalarListFunctorIN3c104HalfELi1ELi1ELi0EEEJSt7dividesIfEEEEvT_T0_DpT1_.has_recursion, 0
	.set _ZN2at6native12_GLOBAL__N_125multi_tensor_apply_kernelINS1_28TensorListScalarListMetadataIfLi1EEENS1_25BinaryOpScalarListFunctorIN3c104HalfELi1ELi1ELi0EEEJSt7dividesIfEEEEvT_T0_DpT1_.has_indirect_call, 0
	.section	.AMDGPU.csdata,"",@progbits
; Kernel info:
; codeLenInByte = 1764
; TotalNumSgprs: 25
; NumVgprs: 28
; ScratchSize: 0
; MemoryBound: 0
; FloatMode: 240
; IeeeMode: 1
; LDSByteSize: 0 bytes/workgroup (compile time only)
; SGPRBlocks: 0
; VGPRBlocks: 3
; NumSGPRsForWavesPerEU: 25
; NumVGPRsForWavesPerEU: 28
; Occupancy: 16
; WaveLimiterHint : 0
; COMPUTE_PGM_RSRC2:SCRATCH_EN: 0
; COMPUTE_PGM_RSRC2:USER_SGPR: 6
; COMPUTE_PGM_RSRC2:TRAP_HANDLER: 0
; COMPUTE_PGM_RSRC2:TGID_X_EN: 1
; COMPUTE_PGM_RSRC2:TGID_Y_EN: 0
; COMPUTE_PGM_RSRC2:TGID_Z_EN: 0
; COMPUTE_PGM_RSRC2:TIDIG_COMP_CNT: 0
	.section	.text._ZN2at6native12_GLOBAL__N_125multi_tensor_apply_kernelINS1_28TensorListScalarListMetadataIfLi1EEENS1_25BinaryOpScalarListFunctorIN3c108BFloat16ELi1ELi1ELi0EEEJSt7dividesIfEEEEvT_T0_DpT1_,"axG",@progbits,_ZN2at6native12_GLOBAL__N_125multi_tensor_apply_kernelINS1_28TensorListScalarListMetadataIfLi1EEENS1_25BinaryOpScalarListFunctorIN3c108BFloat16ELi1ELi1ELi0EEEJSt7dividesIfEEEEvT_T0_DpT1_,comdat
	.globl	_ZN2at6native12_GLOBAL__N_125multi_tensor_apply_kernelINS1_28TensorListScalarListMetadataIfLi1EEENS1_25BinaryOpScalarListFunctorIN3c108BFloat16ELi1ELi1ELi0EEEJSt7dividesIfEEEEvT_T0_DpT1_ ; -- Begin function _ZN2at6native12_GLOBAL__N_125multi_tensor_apply_kernelINS1_28TensorListScalarListMetadataIfLi1EEENS1_25BinaryOpScalarListFunctorIN3c108BFloat16ELi1ELi1ELi0EEEJSt7dividesIfEEEEvT_T0_DpT1_
	.p2align	8
	.type	_ZN2at6native12_GLOBAL__N_125multi_tensor_apply_kernelINS1_28TensorListScalarListMetadataIfLi1EEENS1_25BinaryOpScalarListFunctorIN3c108BFloat16ELi1ELi1ELi0EEEJSt7dividesIfEEEEvT_T0_DpT1_,@function
_ZN2at6native12_GLOBAL__N_125multi_tensor_apply_kernelINS1_28TensorListScalarListMetadataIfLi1EEENS1_25BinaryOpScalarListFunctorIN3c108BFloat16ELi1ELi1ELi0EEEJSt7dividesIfEEEEvT_T0_DpT1_: ; @_ZN2at6native12_GLOBAL__N_125multi_tensor_apply_kernelINS1_28TensorListScalarListMetadataIfLi1EEENS1_25BinaryOpScalarListFunctorIN3c108BFloat16ELi1ELi1ELi0EEEJSt7dividesIfEEEEvT_T0_DpT1_
; %bb.0:
	v_mov_b32_e32 v1, s6
	s_add_u32 s0, s4, s6
	s_mul_i32 s1, s6, 3
	s_mul_hi_u32 s2, s6, 3
	s_addc_u32 s3, s5, 0
	global_load_ubyte v1, v1, s[4:5] offset:1920
	s_add_u32 s0, s0, s1
	s_addc_u32 s1, s3, s2
	s_mov_b32 s13, 0
	s_load_dword s0, s[0:1], 0x8c0
	s_waitcnt vmcnt(0)
	v_readfirstlane_b32 s1, v1
	v_lshlrev_b32_e32 v1, 2, v1
	s_lshl_b32 s8, s1, 3
	v_sub_co_u32 v1, s1, 0, v1
	v_sub_co_ci_u32_e64 v2, null, 0, 0, s1
	s_waitcnt lgkmcnt(0)
	s_ashr_i32 s1, s0, 31
	s_clause 0x1
	s_load_dwordx2 s[2:3], s[4:5], s8 offset:0x300
	s_load_dwordx2 s[6:7], s[4:5], s8 offset:0x0
	s_add_u32 s8, s4, s8
	s_addc_u32 s9, s5, 0
	v_add_co_u32 v1, vcc_lo, s8, v1
	v_add_co_ci_u32_e64 v2, null, s9, v2, vcc_lo
	v_readfirstlane_b32 s8, v1
	v_readfirstlane_b32 s9, v2
	s_load_dword s18, s[8:9], 0x600
	s_lshl_b64 s[8:9], s[0:1], 17
	s_lshl_b64 s[0:1], s[0:1], 16
	s_waitcnt lgkmcnt(0)
	s_and_b32 s12, s6, 7
	s_sub_u32 s10, s2, s0
	s_subb_u32 s11, s3, s1
	s_and_b32 s0, s2, 3
	s_mov_b32 s1, s13
	s_or_b64 s[0:1], s[12:13], s[0:1]
	s_cmp_eq_u64 s[0:1], 0
	s_cbranch_scc1 .LBB59_21
; %bb.1:
	v_cmp_lt_i64_e64 s0, s[10:11], 1
	s_and_b32 vcc_lo, exec_lo, s0
	s_cbranch_vccnz .LBB59_20
; %bb.2:
	s_load_dword s0, s[4:5], 0xdd4
	v_cmp_gt_i64_e64 s1, 0x10000, s[10:11]
	v_cmp_gt_u64_e64 s2, 0x10000, s[10:11]
	v_lshlrev_b32_e32 v1, 1, v0
	v_mov_b32_e32 v11, 0x7fc0
	s_and_b32 s1, s1, exec_lo
	s_cselect_b32 s13, s11, 0
	s_cselect_b32 s12, s10, 0x10000
	s_waitcnt lgkmcnt(0)
	s_and_b32 s0, s0, 0xffff
	s_and_b32 s1, s2, exec_lo
	v_add_co_u32 v5, s3, v0, s0
	s_cselect_b32 s15, s11, 0
	s_cselect_b32 s14, s10, 0x10000
	s_lshl_b32 s1, s0, 1
	v_lshlrev_b32_e32 v3, 1, v5
	s_mul_i32 s2, s0, 3
	s_lshl_b32 s19, s0, 2
	s_add_u32 s16, s6, s8
	v_add_co_u32 v6, s2, s2, v0
	v_add_co_u32 v9, s1, s1, v0
	s_addc_u32 s17, s7, s9
	v_add_co_ci_u32_e64 v7, null, 0, 0, s2
	v_add_co_u32 v1, s2, s16, v1
	v_add_co_ci_u32_e64 v10, null, 0, 0, s1
	v_add_co_u32 v3, s1, s16, v3
	v_add_co_ci_u32_e64 v2, null, s17, 0, s2
	v_add_co_ci_u32_e64 v8, null, 0, 0, s3
	;; [unrolled: 1-line block ×3, first 2 shown]
	s_lshl_b32 s20, s0, 3
	s_mul_i32 s21, s0, 6
	s_mov_b64 s[16:17], 0
	s_branch .LBB59_4
.LBB59_3:                               ;   in Loop: Header=BB59_4 Depth=1
	s_or_b32 exec_lo, exec_lo, s1
	s_add_u32 s16, s16, s19
	s_addc_u32 s17, s17, 0
	v_add_co_u32 v1, vcc_lo, v1, s20
	v_cmp_lt_i64_e64 s0, s[16:17], s[12:13]
	v_add_co_ci_u32_e64 v2, null, 0, v2, vcc_lo
	v_add_co_u32 v3, vcc_lo, v3, s20
	v_add_co_ci_u32_e64 v4, null, 0, v4, vcc_lo
	s_and_b32 vcc_lo, exec_lo, s0
	s_cbranch_vccz .LBB59_20
.LBB59_4:                               ; =>This Inner Loop Header: Depth=1
	v_add_co_u32 v12, s0, v0, s16
	v_add_co_ci_u32_e64 v13, null, 0, s17, s0
	v_mov_b32_e32 v15, 0
	v_cmp_gt_u64_e32 vcc_lo, s[14:15], v[12:13]
	s_and_saveexec_b32 s0, vcc_lo
	s_cbranch_execz .LBB59_6
; %bb.5:                                ;   in Loop: Header=BB59_4 Depth=1
	global_load_ushort v12, v[1:2], off
	s_waitcnt vmcnt(0)
	v_lshlrev_b32_e32 v15, 16, v12
.LBB59_6:                               ;   in Loop: Header=BB59_4 Depth=1
	s_or_b32 exec_lo, exec_lo, s0
	v_add_co_u32 v12, s0, v5, s16
	v_add_co_ci_u32_e64 v13, null, s17, v8, s0
	v_mov_b32_e32 v14, 0
	v_cmp_gt_u64_e64 s2, s[14:15], v[12:13]
	v_mov_b32_e32 v12, 0
	s_and_saveexec_b32 s0, s2
	s_cbranch_execz .LBB59_8
; %bb.7:                                ;   in Loop: Header=BB59_4 Depth=1
	global_load_ushort v13, v[3:4], off
	s_waitcnt vmcnt(0)
	v_lshlrev_b32_e32 v14, 16, v13
.LBB59_8:                               ;   in Loop: Header=BB59_4 Depth=1
	s_or_b32 exec_lo, exec_lo, s0
	v_add_co_u32 v16, s0, v9, s16
	v_add_co_ci_u32_e64 v17, null, s17, v10, s0
	v_cmp_gt_u64_e64 s1, s[14:15], v[16:17]
	s_and_saveexec_b32 s3, s1
	s_cbranch_execz .LBB59_10
; %bb.9:                                ;   in Loop: Header=BB59_4 Depth=1
	v_add_co_u32 v12, s0, v1, s19
	v_add_co_ci_u32_e64 v13, null, 0, v2, s0
	global_load_ushort v12, v[12:13], off
	s_waitcnt vmcnt(0)
	v_lshlrev_b32_e32 v12, 16, v12
.LBB59_10:                              ;   in Loop: Header=BB59_4 Depth=1
	s_or_b32 exec_lo, exec_lo, s3
	v_add_co_u32 v16, s0, v6, s16
	v_add_co_ci_u32_e64 v17, null, s17, v7, s0
	v_mov_b32_e32 v13, 0
	v_cmp_gt_u64_e64 s0, s[14:15], v[16:17]
	s_and_saveexec_b32 s22, s0
	s_cbranch_execnz .LBB59_15
; %bb.11:                               ;   in Loop: Header=BB59_4 Depth=1
	s_or_b32 exec_lo, exec_lo, s22
	s_and_saveexec_b32 s3, vcc_lo
	s_cbranch_execnz .LBB59_16
.LBB59_12:                              ;   in Loop: Header=BB59_4 Depth=1
	s_or_b32 exec_lo, exec_lo, s3
	s_and_saveexec_b32 s3, s2
	s_cbranch_execnz .LBB59_17
.LBB59_13:                              ;   in Loop: Header=BB59_4 Depth=1
	s_or_b32 exec_lo, exec_lo, s3
	s_and_saveexec_b32 s2, s1
	s_cbranch_execnz .LBB59_18
.LBB59_14:                              ;   in Loop: Header=BB59_4 Depth=1
	s_or_b32 exec_lo, exec_lo, s2
	s_and_saveexec_b32 s1, s0
	s_cbranch_execz .LBB59_3
	s_branch .LBB59_19
.LBB59_15:                              ;   in Loop: Header=BB59_4 Depth=1
	v_add_co_u32 v16, s3, v1, s21
	v_add_co_ci_u32_e64 v17, null, 0, v2, s3
	global_load_ushort v13, v[16:17], off
	s_waitcnt vmcnt(0)
	v_lshlrev_b32_e32 v13, 16, v13
	s_or_b32 exec_lo, exec_lo, s22
	s_and_saveexec_b32 s3, vcc_lo
	s_cbranch_execz .LBB59_12
.LBB59_16:                              ;   in Loop: Header=BB59_4 Depth=1
	v_div_scale_f32 v16, null, s18, s18, v15
	v_rcp_f32_e32 v17, v16
	v_fma_f32 v18, -v16, v17, 1.0
	v_fmac_f32_e32 v17, v18, v17
	v_div_scale_f32 v18, vcc_lo, v15, s18, v15
	v_mul_f32_e32 v19, v18, v17
	v_fma_f32 v20, -v16, v19, v18
	v_fmac_f32_e32 v19, v20, v17
	v_fma_f32 v16, -v16, v19, v18
	v_div_fmas_f32 v16, v16, v17, v19
	v_div_fixup_f32 v15, v16, s18, v15
	v_bfe_u32 v16, v15, 16, 1
	v_cmp_o_f32_e32 vcc_lo, v15, v15
	v_add3_u32 v15, v15, v16, 0x7fff
	v_cndmask_b32_sdwa v15, v11, v15, vcc_lo dst_sel:DWORD dst_unused:UNUSED_PAD src0_sel:DWORD src1_sel:WORD_1
	global_store_short v[1:2], v15, off
	s_or_b32 exec_lo, exec_lo, s3
	s_and_saveexec_b32 s3, s2
	s_cbranch_execz .LBB59_13
.LBB59_17:                              ;   in Loop: Header=BB59_4 Depth=1
	v_div_scale_f32 v15, null, s18, s18, v14
	v_rcp_f32_e32 v16, v15
	v_fma_f32 v17, -v15, v16, 1.0
	v_fmac_f32_e32 v16, v17, v16
	v_div_scale_f32 v17, vcc_lo, v14, s18, v14
	v_mul_f32_e32 v18, v17, v16
	v_fma_f32 v19, -v15, v18, v17
	v_fmac_f32_e32 v18, v19, v16
	v_fma_f32 v15, -v15, v18, v17
	v_div_fmas_f32 v15, v15, v16, v18
	v_div_fixup_f32 v14, v15, s18, v14
	v_bfe_u32 v15, v14, 16, 1
	v_cmp_o_f32_e32 vcc_lo, v14, v14
	v_add3_u32 v14, v14, v15, 0x7fff
	v_cndmask_b32_sdwa v14, v11, v14, vcc_lo dst_sel:DWORD dst_unused:UNUSED_PAD src0_sel:DWORD src1_sel:WORD_1
	global_store_short v[3:4], v14, off
	s_or_b32 exec_lo, exec_lo, s3
	s_and_saveexec_b32 s2, s1
	s_cbranch_execz .LBB59_14
.LBB59_18:                              ;   in Loop: Header=BB59_4 Depth=1
	v_div_scale_f32 v14, null, s18, s18, v12
	v_div_scale_f32 v17, vcc_lo, v12, s18, v12
	v_rcp_f32_e32 v15, v14
	v_fma_f32 v16, -v14, v15, 1.0
	v_fmac_f32_e32 v15, v16, v15
	v_mul_f32_e32 v16, v17, v15
	v_fma_f32 v18, -v14, v16, v17
	v_fmac_f32_e32 v16, v18, v15
	v_fma_f32 v14, -v14, v16, v17
	v_div_fmas_f32 v14, v14, v15, v16
	v_div_fixup_f32 v12, v14, s18, v12
	v_bfe_u32 v14, v12, 16, 1
	v_cmp_o_f32_e32 vcc_lo, v12, v12
	v_add3_u32 v12, v12, v14, 0x7fff
	v_cndmask_b32_sdwa v12, v11, v12, vcc_lo dst_sel:DWORD dst_unused:UNUSED_PAD src0_sel:DWORD src1_sel:WORD_1
	v_add_co_u32 v14, vcc_lo, v1, s19
	v_add_co_ci_u32_e64 v15, null, 0, v2, vcc_lo
	global_store_short v[14:15], v12, off
	s_or_b32 exec_lo, exec_lo, s2
	s_and_saveexec_b32 s1, s0
	s_cbranch_execz .LBB59_3
.LBB59_19:                              ;   in Loop: Header=BB59_4 Depth=1
	v_div_scale_f32 v12, null, s18, s18, v13
	v_div_scale_f32 v16, vcc_lo, v13, s18, v13
	v_rcp_f32_e32 v14, v12
	v_fma_f32 v15, -v12, v14, 1.0
	v_fmac_f32_e32 v14, v15, v14
	v_mul_f32_e32 v15, v16, v14
	v_fma_f32 v17, -v12, v15, v16
	v_fmac_f32_e32 v15, v17, v14
	v_fma_f32 v12, -v12, v15, v16
	v_div_fmas_f32 v12, v12, v14, v15
	v_div_fixup_f32 v12, v12, s18, v13
	v_bfe_u32 v13, v12, 16, 1
	v_cmp_o_f32_e32 vcc_lo, v12, v12
	v_add3_u32 v12, v12, v13, 0x7fff
	v_cndmask_b32_sdwa v14, v11, v12, vcc_lo dst_sel:DWORD dst_unused:UNUSED_PAD src0_sel:DWORD src1_sel:WORD_1
	v_add_co_u32 v12, vcc_lo, v1, s21
	v_add_co_ci_u32_e64 v13, null, 0, v2, vcc_lo
	global_store_short v[12:13], v14, off
	s_branch .LBB59_3
.LBB59_20:
	s_cbranch_execz .LBB59_22
	s_branch .LBB59_25
.LBB59_21:
.LBB59_22:
	v_cmp_gt_i64_e64 s0, 0x10000, s[10:11]
	v_mov_b32_e32 v2, 0
	v_lshlrev_b32_e32 v1, 2, v0
	s_mov_b32 s3, 0
	s_and_b32 s0, s0, exec_lo
	s_cselect_b32 s11, s11, 0
	s_cselect_b32 s10, s10, 0x10000
	s_mov_b32 s0, exec_lo
	v_cmpx_gt_i64_e64 s[10:11], v[1:2]
	s_cbranch_execz .LBB59_25
; %bb.23:
	s_load_dword s0, s[4:5], 0xdd4
	v_mov_b32_e32 v1, v2
	v_lshlrev_b32_e32 v2, 3, v0
	s_waitcnt lgkmcnt(0)
	s_and_b32 s4, s0, 0xffff
	s_add_u32 s0, s6, s8
	s_addc_u32 s1, s7, s9
	v_add_co_u32 v2, s0, s0, v2
	v_add_co_ci_u32_e64 v3, null, s1, 0, s0
	s_lshl_b32 s5, s4, 3
.LBB59_24:                              ; =>This Inner Loop Header: Depth=1
	global_load_dwordx2 v[4:5], v[2:3], off
	s_waitcnt vmcnt(0)
	v_lshlrev_b32_e32 v6, 16, v4
	v_and_b32_e32 v7, 0xffff0000, v4
	v_alignbit_b32 v4, v5, v4, 16
	v_and_b32_e32 v5, 0xffff0000, v5
	v_div_scale_f32 v8, null, s18, s18, v6
	v_and_b32_e32 v4, 0xffff0000, v4
	v_div_scale_f32 v9, null, s18, s18, v7
	v_div_scale_f32 v10, null, s18, s18, v5
	v_rcp_f32_e32 v11, v8
	v_div_scale_f32 v13, null, s18, s18, v4
	v_rcp_f32_e32 v12, v9
	v_rcp_f32_e32 v14, v10
	v_div_scale_f32 v15, vcc_lo, v6, s18, v6
	v_rcp_f32_e32 v16, v13
	v_div_scale_f32 v17, s0, v7, s18, v7
	v_fma_f32 v18, -v8, v11, 1.0
	v_div_scale_f32 v21, s1, v5, s18, v5
	v_fma_f32 v19, -v9, v12, 1.0
	v_fma_f32 v20, -v10, v14, 1.0
	v_fmac_f32_e32 v11, v18, v11
	v_fma_f32 v18, -v13, v16, 1.0
	v_fmac_f32_e32 v12, v19, v12
	v_fmac_f32_e32 v14, v20, v14
	v_div_scale_f32 v19, s2, v4, s18, v4
	v_mul_f32_e32 v20, v15, v11
	v_fmac_f32_e32 v16, v18, v16
	v_mul_f32_e32 v22, v17, v12
	v_mul_f32_e32 v18, v21, v14
	v_fma_f32 v23, -v8, v20, v15
	v_mul_f32_e32 v25, v19, v16
	v_fma_f32 v24, -v9, v22, v17
	v_fma_f32 v26, -v10, v18, v21
	v_fmac_f32_e32 v20, v23, v11
	v_fma_f32 v23, -v13, v25, v19
	v_fmac_f32_e32 v22, v24, v12
	v_fmac_f32_e32 v18, v26, v14
	v_fma_f32 v8, -v8, v20, v15
	v_fmac_f32_e32 v25, v23, v16
	v_fma_f32 v9, -v9, v22, v17
	v_fma_f32 v10, -v10, v18, v21
	v_div_fmas_f32 v8, v8, v11, v20
	v_fma_f32 v11, -v13, v25, v19
	s_mov_b32 vcc_lo, s0
	v_div_fmas_f32 v9, v9, v12, v22
	s_mov_b32 vcc_lo, s2
	v_div_fixup_f32 v6, v8, s18, v6
	v_div_fmas_f32 v8, v11, v16, v25
	s_mov_b32 vcc_lo, s1
	v_div_fixup_f32 v7, v9, s18, v7
	v_div_fmas_f32 v9, v10, v14, v18
	v_add_co_u32 v0, vcc_lo, v0, s4
	v_div_fixup_f32 v4, v8, s18, v4
	v_bfe_u32 v8, v6, 16, 1
	v_bfe_u32 v10, v7, 16, 1
	v_div_fixup_f32 v5, v9, s18, v5
	v_add_co_ci_u32_e64 v1, null, 0, v1, vcc_lo
	v_add3_u32 v8, v6, v8, 0x7fff
	v_bfe_u32 v9, v4, 16, 1
	v_add3_u32 v10, v7, v10, 0x7fff
	v_cmp_o_f32_e32 vcc_lo, v6, v6
	v_bfe_u32 v11, v5, 16, 1
	v_lshrrev_b32_e32 v8, 16, v8
	v_add3_u32 v9, v4, v9, 0x7fff
	v_and_b32_e32 v10, 0xffff0000, v10
	v_add3_u32 v11, v5, v11, 0x7fff
	v_cndmask_b32_e32 v6, 0x7fc0, v8, vcc_lo
	v_cmp_o_f32_e32 vcc_lo, v7, v7
	v_lshrrev_b32_e32 v9, 16, v9
	v_and_b32_e32 v8, 0xffff0000, v11
	v_cndmask_b32_e32 v7, 0x7fc00000, v10, vcc_lo
	v_cmp_o_f32_e32 vcc_lo, v4, v4
	v_or_b32_e32 v6, v6, v7
	v_cndmask_b32_e32 v9, 0x7fc0, v9, vcc_lo
	v_cmp_o_f32_e32 vcc_lo, v5, v5
	v_lshlrev_b64 v[4:5], 2, v[0:1]
	v_or3_b32 v6, v6, 0, 0
	v_cndmask_b32_e32 v8, 0x7fc00000, v8, vcc_lo
	v_cmp_le_i64_e32 vcc_lo, s[10:11], v[4:5]
	v_or3_b32 v7, 0, v9, v8
	s_or_b32 s3, vcc_lo, s3
	global_store_dwordx2 v[2:3], v[6:7], off
	v_add_co_u32 v2, s0, v2, s5
	v_add_co_ci_u32_e64 v3, null, 0, v3, s0
	s_andn2_b32 exec_lo, exec_lo, s3
	s_cbranch_execnz .LBB59_24
.LBB59_25:
	s_endpgm
	.section	.rodata,"a",@progbits
	.p2align	6, 0x0
	.amdhsa_kernel _ZN2at6native12_GLOBAL__N_125multi_tensor_apply_kernelINS1_28TensorListScalarListMetadataIfLi1EEENS1_25BinaryOpScalarListFunctorIN3c108BFloat16ELi1ELi1ELi0EEEJSt7dividesIfEEEEvT_T0_DpT1_
		.amdhsa_group_segment_fixed_size 0
		.amdhsa_private_segment_fixed_size 0
		.amdhsa_kernarg_size 3784
		.amdhsa_user_sgpr_count 6
		.amdhsa_user_sgpr_private_segment_buffer 1
		.amdhsa_user_sgpr_dispatch_ptr 0
		.amdhsa_user_sgpr_queue_ptr 0
		.amdhsa_user_sgpr_kernarg_segment_ptr 1
		.amdhsa_user_sgpr_dispatch_id 0
		.amdhsa_user_sgpr_flat_scratch_init 0
		.amdhsa_user_sgpr_private_segment_size 0
		.amdhsa_wavefront_size32 1
		.amdhsa_uses_dynamic_stack 0
		.amdhsa_system_sgpr_private_segment_wavefront_offset 0
		.amdhsa_system_sgpr_workgroup_id_x 1
		.amdhsa_system_sgpr_workgroup_id_y 0
		.amdhsa_system_sgpr_workgroup_id_z 0
		.amdhsa_system_sgpr_workgroup_info 0
		.amdhsa_system_vgpr_workitem_id 0
		.amdhsa_next_free_vgpr 27
		.amdhsa_next_free_sgpr 23
		.amdhsa_reserve_vcc 1
		.amdhsa_reserve_flat_scratch 0
		.amdhsa_float_round_mode_32 0
		.amdhsa_float_round_mode_16_64 0
		.amdhsa_float_denorm_mode_32 3
		.amdhsa_float_denorm_mode_16_64 3
		.amdhsa_dx10_clamp 1
		.amdhsa_ieee_mode 1
		.amdhsa_fp16_overflow 0
		.amdhsa_workgroup_processor_mode 1
		.amdhsa_memory_ordered 1
		.amdhsa_forward_progress 1
		.amdhsa_shared_vgpr_count 0
		.amdhsa_exception_fp_ieee_invalid_op 0
		.amdhsa_exception_fp_denorm_src 0
		.amdhsa_exception_fp_ieee_div_zero 0
		.amdhsa_exception_fp_ieee_overflow 0
		.amdhsa_exception_fp_ieee_underflow 0
		.amdhsa_exception_fp_ieee_inexact 0
		.amdhsa_exception_int_div_zero 0
	.end_amdhsa_kernel
	.section	.text._ZN2at6native12_GLOBAL__N_125multi_tensor_apply_kernelINS1_28TensorListScalarListMetadataIfLi1EEENS1_25BinaryOpScalarListFunctorIN3c108BFloat16ELi1ELi1ELi0EEEJSt7dividesIfEEEEvT_T0_DpT1_,"axG",@progbits,_ZN2at6native12_GLOBAL__N_125multi_tensor_apply_kernelINS1_28TensorListScalarListMetadataIfLi1EEENS1_25BinaryOpScalarListFunctorIN3c108BFloat16ELi1ELi1ELi0EEEJSt7dividesIfEEEEvT_T0_DpT1_,comdat
.Lfunc_end59:
	.size	_ZN2at6native12_GLOBAL__N_125multi_tensor_apply_kernelINS1_28TensorListScalarListMetadataIfLi1EEENS1_25BinaryOpScalarListFunctorIN3c108BFloat16ELi1ELi1ELi0EEEJSt7dividesIfEEEEvT_T0_DpT1_, .Lfunc_end59-_ZN2at6native12_GLOBAL__N_125multi_tensor_apply_kernelINS1_28TensorListScalarListMetadataIfLi1EEENS1_25BinaryOpScalarListFunctorIN3c108BFloat16ELi1ELi1ELi0EEEJSt7dividesIfEEEEvT_T0_DpT1_
                                        ; -- End function
	.set _ZN2at6native12_GLOBAL__N_125multi_tensor_apply_kernelINS1_28TensorListScalarListMetadataIfLi1EEENS1_25BinaryOpScalarListFunctorIN3c108BFloat16ELi1ELi1ELi0EEEJSt7dividesIfEEEEvT_T0_DpT1_.num_vgpr, 27
	.set _ZN2at6native12_GLOBAL__N_125multi_tensor_apply_kernelINS1_28TensorListScalarListMetadataIfLi1EEENS1_25BinaryOpScalarListFunctorIN3c108BFloat16ELi1ELi1ELi0EEEJSt7dividesIfEEEEvT_T0_DpT1_.num_agpr, 0
	.set _ZN2at6native12_GLOBAL__N_125multi_tensor_apply_kernelINS1_28TensorListScalarListMetadataIfLi1EEENS1_25BinaryOpScalarListFunctorIN3c108BFloat16ELi1ELi1ELi0EEEJSt7dividesIfEEEEvT_T0_DpT1_.numbered_sgpr, 23
	.set _ZN2at6native12_GLOBAL__N_125multi_tensor_apply_kernelINS1_28TensorListScalarListMetadataIfLi1EEENS1_25BinaryOpScalarListFunctorIN3c108BFloat16ELi1ELi1ELi0EEEJSt7dividesIfEEEEvT_T0_DpT1_.num_named_barrier, 0
	.set _ZN2at6native12_GLOBAL__N_125multi_tensor_apply_kernelINS1_28TensorListScalarListMetadataIfLi1EEENS1_25BinaryOpScalarListFunctorIN3c108BFloat16ELi1ELi1ELi0EEEJSt7dividesIfEEEEvT_T0_DpT1_.private_seg_size, 0
	.set _ZN2at6native12_GLOBAL__N_125multi_tensor_apply_kernelINS1_28TensorListScalarListMetadataIfLi1EEENS1_25BinaryOpScalarListFunctorIN3c108BFloat16ELi1ELi1ELi0EEEJSt7dividesIfEEEEvT_T0_DpT1_.uses_vcc, 1
	.set _ZN2at6native12_GLOBAL__N_125multi_tensor_apply_kernelINS1_28TensorListScalarListMetadataIfLi1EEENS1_25BinaryOpScalarListFunctorIN3c108BFloat16ELi1ELi1ELi0EEEJSt7dividesIfEEEEvT_T0_DpT1_.uses_flat_scratch, 0
	.set _ZN2at6native12_GLOBAL__N_125multi_tensor_apply_kernelINS1_28TensorListScalarListMetadataIfLi1EEENS1_25BinaryOpScalarListFunctorIN3c108BFloat16ELi1ELi1ELi0EEEJSt7dividesIfEEEEvT_T0_DpT1_.has_dyn_sized_stack, 0
	.set _ZN2at6native12_GLOBAL__N_125multi_tensor_apply_kernelINS1_28TensorListScalarListMetadataIfLi1EEENS1_25BinaryOpScalarListFunctorIN3c108BFloat16ELi1ELi1ELi0EEEJSt7dividesIfEEEEvT_T0_DpT1_.has_recursion, 0
	.set _ZN2at6native12_GLOBAL__N_125multi_tensor_apply_kernelINS1_28TensorListScalarListMetadataIfLi1EEENS1_25BinaryOpScalarListFunctorIN3c108BFloat16ELi1ELi1ELi0EEEJSt7dividesIfEEEEvT_T0_DpT1_.has_indirect_call, 0
	.section	.AMDGPU.csdata,"",@progbits
; Kernel info:
; codeLenInByte = 2016
; TotalNumSgprs: 25
; NumVgprs: 27
; ScratchSize: 0
; MemoryBound: 0
; FloatMode: 240
; IeeeMode: 1
; LDSByteSize: 0 bytes/workgroup (compile time only)
; SGPRBlocks: 0
; VGPRBlocks: 3
; NumSGPRsForWavesPerEU: 25
; NumVGPRsForWavesPerEU: 27
; Occupancy: 16
; WaveLimiterHint : 0
; COMPUTE_PGM_RSRC2:SCRATCH_EN: 0
; COMPUTE_PGM_RSRC2:USER_SGPR: 6
; COMPUTE_PGM_RSRC2:TRAP_HANDLER: 0
; COMPUTE_PGM_RSRC2:TGID_X_EN: 1
; COMPUTE_PGM_RSRC2:TGID_Y_EN: 0
; COMPUTE_PGM_RSRC2:TGID_Z_EN: 0
; COMPUTE_PGM_RSRC2:TIDIG_COMP_CNT: 0
	.section	.text._ZN2at6native12_GLOBAL__N_125multi_tensor_apply_kernelINS1_28TensorListScalarListMetadataIhLi2EEENS1_25BinaryOpScalarListFunctorIhLi2ELi1ELi1EEEJSt7dividesIhEEEEvT_T0_DpT1_,"axG",@progbits,_ZN2at6native12_GLOBAL__N_125multi_tensor_apply_kernelINS1_28TensorListScalarListMetadataIhLi2EEENS1_25BinaryOpScalarListFunctorIhLi2ELi1ELi1EEEJSt7dividesIhEEEEvT_T0_DpT1_,comdat
	.globl	_ZN2at6native12_GLOBAL__N_125multi_tensor_apply_kernelINS1_28TensorListScalarListMetadataIhLi2EEENS1_25BinaryOpScalarListFunctorIhLi2ELi1ELi1EEEJSt7dividesIhEEEEvT_T0_DpT1_ ; -- Begin function _ZN2at6native12_GLOBAL__N_125multi_tensor_apply_kernelINS1_28TensorListScalarListMetadataIhLi2EEENS1_25BinaryOpScalarListFunctorIhLi2ELi1ELi1EEEJSt7dividesIhEEEEvT_T0_DpT1_
	.p2align	8
	.type	_ZN2at6native12_GLOBAL__N_125multi_tensor_apply_kernelINS1_28TensorListScalarListMetadataIhLi2EEENS1_25BinaryOpScalarListFunctorIhLi2ELi1ELi1EEEJSt7dividesIhEEEEvT_T0_DpT1_,@function
_ZN2at6native12_GLOBAL__N_125multi_tensor_apply_kernelINS1_28TensorListScalarListMetadataIhLi2EEENS1_25BinaryOpScalarListFunctorIhLi2ELi1ELi1EEEJSt7dividesIhEEEEvT_T0_DpT1_: ; @_ZN2at6native12_GLOBAL__N_125multi_tensor_apply_kernelINS1_28TensorListScalarListMetadataIhLi2EEENS1_25BinaryOpScalarListFunctorIhLi2ELi1ELi1EEEJSt7dividesIhEEEEvT_T0_DpT1_
; %bb.0:
	v_mov_b32_e32 v1, s6
	s_mul_i32 s2, s6, 3
	s_mul_hi_u32 s3, s6, 3
	global_load_ubyte v3, v1, s[4:5] offset:1600
	s_waitcnt vmcnt(0)
	v_add_co_u32 v1, s0, s4, v3
	v_add_co_ci_u32_e64 v2, null, s5, 0, s0
	s_add_u32 s0, s4, s6
	s_addc_u32 s1, s5, 0
	s_add_u32 s0, s0, s2
	global_load_ubyte v1, v[1:2], off offset:1536
	s_addc_u32 s1, s1, s3
	v_readfirstlane_b32 s2, v3
	s_load_dword s0, s[0:1], 0x780
	s_lshl_b32 s1, s2, 3
	s_clause 0x2
	s_load_dwordx2 s[6:7], s[4:5], s1 offset:0x0
	s_load_dwordx2 s[2:3], s[4:5], s1 offset:0x400
	;; [unrolled: 1-line block ×3, first 2 shown]
	s_waitcnt lgkmcnt(0)
	s_ashr_i32 s1, s0, 31
	s_lshl_b64 s[10:11], s[0:1], 16
	s_add_u32 s0, s6, s10
	s_sub_u32 s12, s2, s10
	s_subb_u32 s13, s3, s11
	s_or_b32 s1, s2, s8
	s_or_b32 s0, s1, s0
	s_and_b32 s0, s0, 3
	s_cmp_eq_u32 s0, 0
	s_mov_b32 s0, -1
	s_cbranch_scc1 .LBB60_21
; %bb.1:
	v_cmp_lt_i64_e64 s0, s[12:13], 1
	s_and_b32 vcc_lo, exec_lo, s0
	s_cbranch_vccnz .LBB60_20
; %bb.2:
	s_load_dword s0, s[4:5], 0xc94
	v_cmp_gt_i64_e64 s1, 0x10000, s[12:13]
	v_cmp_gt_u64_e64 s2, 0x10000, s[12:13]
	v_add_co_u32 v18, s3, s10, v0
	v_add_co_ci_u32_e64 v19, null, s11, 0, s3
	s_and_b32 s1, s1, exec_lo
	s_cselect_b32 s15, s13, 0
	s_cselect_b32 s14, s12, 0x10000
	v_add_co_u32 v4, vcc_lo, s6, v18
	v_add_co_ci_u32_e64 v5, null, s7, v19, vcc_lo
	v_add_co_u32 v6, vcc_lo, s8, v18
	v_add_co_ci_u32_e64 v7, null, s9, v19, vcc_lo
	s_waitcnt vmcnt(0)
	v_cvt_f32_ubyte0_e32 v2, v1
	s_waitcnt lgkmcnt(0)
	s_and_b32 s0, s0, 0xffff
	s_and_b32 s1, s2, exec_lo
	s_mul_i32 s2, s0, 3
	s_cselect_b32 s17, s13, 0
	s_cselect_b32 s16, s12, 0x10000
	s_lshl_b32 s1, s0, 1
	s_lshl_b32 s20, s0, 2
	s_add_u32 s3, s10, s2
	s_addc_u32 s18, s11, 0
	v_add_co_u32 v10, s3, s3, v0
	v_add_co_ci_u32_e64 v11, null, s18, 0, s3
	s_add_u32 s3, s10, s1
	s_addc_u32 s18, s11, 0
	v_add_co_u32 v16, s3, s3, v0
	v_add_co_u32 v8, vcc_lo, s6, v10
	v_add_co_ci_u32_e64 v17, null, s18, 0, s3
	v_add_co_ci_u32_e64 v9, null, s7, v11, vcc_lo
	v_add_co_u32 v10, vcc_lo, s8, v10
	v_add_co_ci_u32_e64 v11, null, s9, v11, vcc_lo
	v_add_co_u32 v14, vcc_lo, s6, v16
	;; [unrolled: 2-line block ×4, first 2 shown]
	v_add_co_ci_u32_e64 v23, null, 0, v19, vcc_lo
	v_rcp_iflag_f32_e32 v3, v2
	v_add_co_u32 v20, vcc_lo, s6, v22
	v_add_co_u32 v12, s2, s2, v0
	v_add_co_u32 v18, s1, s1, v0
	v_add_co_ci_u32_e64 v21, null, s7, v23, vcc_lo
	v_add_co_u32 v22, vcc_lo, s8, v22
	v_add_co_u32 v24, s0, v0, s0
	v_add_co_ci_u32_e64 v13, null, 0, 0, s2
	v_add_co_ci_u32_e64 v19, null, 0, 0, s1
	v_add_co_ci_u32_e64 v23, null, s9, v23, vcc_lo
	v_add_co_ci_u32_e64 v25, null, 0, 0, s0
	s_mov_b64 s[18:19], 0
	s_branch .LBB60_4
.LBB60_3:                               ;   in Loop: Header=BB60_4 Depth=1
	s_or_b32 exec_lo, exec_lo, s0
	s_add_u32 s18, s18, s20
	s_addc_u32 s19, s19, 0
	v_cmp_lt_i64_e64 s0, s[18:19], s[14:15]
	s_and_b32 vcc_lo, exec_lo, s0
	s_cbranch_vccz .LBB60_20
.LBB60_4:                               ; =>This Inner Loop Header: Depth=1
	s_waitcnt vmcnt(0)
	v_add_co_u32 v26, s0, v0, s18
	v_add_co_ci_u32_e64 v27, null, 0, s19, s0
	v_cmp_gt_u64_e64 s0, s[16:17], v[26:27]
	v_mov_b32_e32 v27, 0
	s_and_saveexec_b32 s1, s0
	s_cbranch_execz .LBB60_6
; %bb.5:                                ;   in Loop: Header=BB60_4 Depth=1
	v_add_co_u32 v26, vcc_lo, v4, s18
	v_add_co_ci_u32_e64 v27, null, s19, v5, vcc_lo
	global_load_ubyte v27, v[26:27], off
.LBB60_6:                               ;   in Loop: Header=BB60_4 Depth=1
	s_or_b32 exec_lo, exec_lo, s1
	v_add_co_u32 v28, vcc_lo, v24, s18
	v_add_co_ci_u32_e64 v29, null, s19, v25, vcc_lo
	v_mov_b32_e32 v26, 0
	v_cmp_gt_u64_e32 vcc_lo, s[16:17], v[28:29]
	v_mov_b32_e32 v28, 0
	s_and_saveexec_b32 s2, vcc_lo
	s_cbranch_execz .LBB60_8
; %bb.7:                                ;   in Loop: Header=BB60_4 Depth=1
	v_add_co_u32 v28, s1, v20, s18
	v_add_co_ci_u32_e64 v29, null, s19, v21, s1
	global_load_ubyte v28, v[28:29], off
.LBB60_8:                               ;   in Loop: Header=BB60_4 Depth=1
	s_or_b32 exec_lo, exec_lo, s2
	v_add_co_u32 v29, s1, v18, s18
	v_add_co_ci_u32_e64 v30, null, s19, v19, s1
	v_cmp_gt_u64_e64 s1, s[16:17], v[29:30]
	s_and_saveexec_b32 s3, s1
	s_cbranch_execz .LBB60_10
; %bb.9:                                ;   in Loop: Header=BB60_4 Depth=1
	v_add_co_u32 v29, s2, v14, s18
	v_add_co_ci_u32_e64 v30, null, s19, v15, s2
	global_load_ubyte v26, v[29:30], off
.LBB60_10:                              ;   in Loop: Header=BB60_4 Depth=1
	s_or_b32 exec_lo, exec_lo, s3
	v_add_co_u32 v29, s2, v12, s18
	v_add_co_ci_u32_e64 v30, null, s19, v13, s2
	v_cmp_gt_u64_e64 s2, s[16:17], v[29:30]
	v_mov_b32_e32 v29, 0
	s_and_saveexec_b32 s21, s2
	s_cbranch_execnz .LBB60_15
; %bb.11:                               ;   in Loop: Header=BB60_4 Depth=1
	s_or_b32 exec_lo, exec_lo, s21
	s_and_saveexec_b32 s3, s0
	s_cbranch_execnz .LBB60_16
.LBB60_12:                              ;   in Loop: Header=BB60_4 Depth=1
	s_or_b32 exec_lo, exec_lo, s3
	s_and_saveexec_b32 s0, vcc_lo
	s_cbranch_execnz .LBB60_17
.LBB60_13:                              ;   in Loop: Header=BB60_4 Depth=1
	s_or_b32 exec_lo, exec_lo, s0
	s_and_saveexec_b32 s0, s1
	s_cbranch_execnz .LBB60_18
.LBB60_14:                              ;   in Loop: Header=BB60_4 Depth=1
	s_or_b32 exec_lo, exec_lo, s0
	s_and_saveexec_b32 s0, s2
	s_cbranch_execz .LBB60_3
	s_branch .LBB60_19
.LBB60_15:                              ;   in Loop: Header=BB60_4 Depth=1
	v_add_co_u32 v29, s3, v8, s18
	v_add_co_ci_u32_e64 v30, null, s19, v9, s3
	global_load_ubyte v29, v[29:30], off
	s_or_b32 exec_lo, exec_lo, s21
	s_and_saveexec_b32 s3, s0
	s_cbranch_execz .LBB60_12
.LBB60_16:                              ;   in Loop: Header=BB60_4 Depth=1
	s_waitcnt vmcnt(0)
	v_cvt_f32_ubyte0_e32 v27, v27
	v_mul_f32_e32 v30, v27, v3
	v_trunc_f32_e32 v30, v30
	v_fma_f32 v27, -v30, v2, v27
	v_cvt_u32_f32_e32 v32, v30
	v_add_co_u32 v30, s0, v6, s18
	v_add_co_ci_u32_e64 v31, null, s19, v7, s0
	v_cmp_ge_f32_e64 s0, |v27|, v2
	v_add_co_ci_u32_e64 v27, null, 0, v32, s0
	global_store_byte v[30:31], v27, off
	s_or_b32 exec_lo, exec_lo, s3
	s_and_saveexec_b32 s0, vcc_lo
	s_cbranch_execz .LBB60_13
.LBB60_17:                              ;   in Loop: Header=BB60_4 Depth=1
	s_waitcnt vmcnt(0)
	v_cvt_f32_ubyte0_e32 v27, v28
	v_mul_f32_e32 v28, v27, v3
	v_trunc_f32_e32 v28, v28
	v_fma_f32 v27, -v28, v2, v27
	v_cvt_u32_f32_e32 v28, v28
	v_cmp_ge_f32_e64 vcc_lo, |v27|, v2
	v_add_co_ci_u32_e64 v30, null, 0, v28, vcc_lo
	v_add_co_u32 v27, vcc_lo, v22, s18
	v_add_co_ci_u32_e64 v28, null, s19, v23, vcc_lo
	global_store_byte v[27:28], v30, off
	s_or_b32 exec_lo, exec_lo, s0
	s_and_saveexec_b32 s0, s1
	s_cbranch_execz .LBB60_14
.LBB60_18:                              ;   in Loop: Header=BB60_4 Depth=1
	s_waitcnt vmcnt(0)
	v_cvt_f32_ubyte0_e32 v26, v26
	v_mul_f32_e32 v27, v26, v3
	v_trunc_f32_e32 v27, v27
	v_fma_f32 v26, -v27, v2, v26
	v_cvt_u32_f32_e32 v27, v27
	v_cmp_ge_f32_e64 vcc_lo, |v26|, v2
	v_add_co_ci_u32_e64 v28, null, 0, v27, vcc_lo
	v_add_co_u32 v26, vcc_lo, v16, s18
	v_add_co_ci_u32_e64 v27, null, s19, v17, vcc_lo
	global_store_byte v[26:27], v28, off
	s_or_b32 exec_lo, exec_lo, s0
	s_and_saveexec_b32 s0, s2
	s_cbranch_execz .LBB60_3
.LBB60_19:                              ;   in Loop: Header=BB60_4 Depth=1
	s_waitcnt vmcnt(0)
	v_cvt_f32_ubyte0_e32 v26, v29
	v_mul_f32_e32 v27, v26, v3
	v_trunc_f32_e32 v27, v27
	v_fma_f32 v26, -v27, v2, v26
	v_cvt_u32_f32_e32 v27, v27
	v_cmp_ge_f32_e64 vcc_lo, |v26|, v2
	v_add_co_ci_u32_e64 v28, null, 0, v27, vcc_lo
	v_add_co_u32 v26, vcc_lo, v10, s18
	v_add_co_ci_u32_e64 v27, null, s19, v11, vcc_lo
	global_store_byte v[26:27], v28, off
	s_branch .LBB60_3
.LBB60_20:
	s_mov_b32 s0, 0
.LBB60_21:
	s_andn2_b32 vcc_lo, exec_lo, s0
	s_cbranch_vccnz .LBB60_25
; %bb.22:
	v_cmp_gt_i64_e64 s0, 0x10000, s[12:13]
	v_mov_b32_e32 v3, 0
	v_lshlrev_b32_e32 v2, 2, v0
	s_mov_b32 s1, 0
	s_and_b32 s0, s0, exec_lo
	s_cselect_b32 s3, s13, 0
	s_cselect_b32 s2, s12, 0x10000
	s_mov_b32 s0, exec_lo
	v_cmpx_gt_i64_e64 s[2:3], v[2:3]
	s_cbranch_execz .LBB60_25
; %bb.23:
	s_load_dword s0, s[4:5], 0xc94
	s_waitcnt vmcnt(0)
	v_cvt_f32_ubyte0_e32 v4, v1
	v_add_co_u32 v2, s4, s10, v2
	v_mov_b32_e32 v1, v3
	v_add_co_ci_u32_e64 v3, null, s11, 0, s4
	v_rcp_iflag_f32_e32 v5, v4
	s_waitcnt lgkmcnt(0)
	s_and_b32 s4, s0, 0xffff
	s_lshl_b32 s5, s4, 2
.LBB60_24:                              ; =>This Inner Loop Header: Depth=1
	v_add_co_u32 v6, vcc_lo, s6, v2
	v_add_co_ci_u32_e64 v7, null, s7, v3, vcc_lo
	v_add_co_u32 v0, vcc_lo, v0, s4
	v_add_co_ci_u32_e64 v1, null, 0, v1, vcc_lo
	global_load_dword v7, v[6:7], off
	v_add_co_u32 v6, vcc_lo, s8, v2
	v_lshlrev_b64 v[8:9], 2, v[0:1]
	s_waitcnt vmcnt(0)
	v_cvt_f32_ubyte0_e32 v10, v7
	v_cvt_f32_ubyte1_e32 v11, v7
	v_cvt_f32_ubyte2_e32 v12, v7
	v_cvt_f32_ubyte3_e32 v7, v7
	v_mul_f32_e32 v13, v10, v5
	v_mul_f32_e32 v14, v11, v5
	;; [unrolled: 1-line block ×4, first 2 shown]
	v_trunc_f32_e32 v13, v13
	v_trunc_f32_e32 v14, v14
	;; [unrolled: 1-line block ×4, first 2 shown]
	v_fma_f32 v10, -v13, v4, v10
	v_cvt_u32_f32_e32 v13, v13
	v_fma_f32 v11, -v14, v4, v11
	v_cvt_u32_f32_e32 v14, v14
	v_fma_f32 v7, -v16, v4, v7
	v_cmp_ge_f32_e64 s0, |v10|, v4
	v_fma_f32 v12, -v15, v4, v12
	v_cvt_u32_f32_e32 v16, v16
	v_cvt_u32_f32_e32 v15, v15
	v_add_co_ci_u32_e64 v10, null, 0, v13, s0
	v_cmp_ge_f32_e64 s0, |v11|, v4
	v_add_co_ci_u32_e64 v11, null, 0, v14, s0
	v_cmp_ge_f32_e64 s0, |v7|, v4
	v_lshlrev_b16 v11, 8, v11
	v_add_co_ci_u32_e64 v7, null, 0, v16, s0
	v_cmp_ge_f32_e64 s0, |v12|, v4
	v_or_b32_sdwa v10, v10, v11 dst_sel:DWORD dst_unused:UNUSED_PAD src0_sel:BYTE_0 src1_sel:DWORD
	v_lshlrev_b16 v13, 8, v7
	v_add_co_ci_u32_e64 v7, null, s9, v3, vcc_lo
	v_add_co_ci_u32_e64 v12, null, 0, v15, s0
	v_cmp_le_i64_e32 vcc_lo, s[2:3], v[8:9]
	v_add_co_u32 v2, s0, v2, s5
	v_or_b32_sdwa v11, v12, v13 dst_sel:WORD_1 dst_unused:UNUSED_PAD src0_sel:BYTE_0 src1_sel:DWORD
	v_add_co_ci_u32_e64 v3, null, 0, v3, s0
	s_or_b32 s1, vcc_lo, s1
	v_or_b32_sdwa v8, v10, v11 dst_sel:DWORD dst_unused:UNUSED_PAD src0_sel:WORD_0 src1_sel:DWORD
	global_store_dword v[6:7], v8, off
	s_andn2_b32 exec_lo, exec_lo, s1
	s_cbranch_execnz .LBB60_24
.LBB60_25:
	s_endpgm
	.section	.rodata,"a",@progbits
	.p2align	6, 0x0
	.amdhsa_kernel _ZN2at6native12_GLOBAL__N_125multi_tensor_apply_kernelINS1_28TensorListScalarListMetadataIhLi2EEENS1_25BinaryOpScalarListFunctorIhLi2ELi1ELi1EEEJSt7dividesIhEEEEvT_T0_DpT1_
		.amdhsa_group_segment_fixed_size 0
		.amdhsa_private_segment_fixed_size 0
		.amdhsa_kernarg_size 3464
		.amdhsa_user_sgpr_count 6
		.amdhsa_user_sgpr_private_segment_buffer 1
		.amdhsa_user_sgpr_dispatch_ptr 0
		.amdhsa_user_sgpr_queue_ptr 0
		.amdhsa_user_sgpr_kernarg_segment_ptr 1
		.amdhsa_user_sgpr_dispatch_id 0
		.amdhsa_user_sgpr_flat_scratch_init 0
		.amdhsa_user_sgpr_private_segment_size 0
		.amdhsa_wavefront_size32 1
		.amdhsa_uses_dynamic_stack 0
		.amdhsa_system_sgpr_private_segment_wavefront_offset 0
		.amdhsa_system_sgpr_workgroup_id_x 1
		.amdhsa_system_sgpr_workgroup_id_y 0
		.amdhsa_system_sgpr_workgroup_id_z 0
		.amdhsa_system_sgpr_workgroup_info 0
		.amdhsa_system_vgpr_workitem_id 0
		.amdhsa_next_free_vgpr 33
		.amdhsa_next_free_sgpr 22
		.amdhsa_reserve_vcc 1
		.amdhsa_reserve_flat_scratch 0
		.amdhsa_float_round_mode_32 0
		.amdhsa_float_round_mode_16_64 0
		.amdhsa_float_denorm_mode_32 3
		.amdhsa_float_denorm_mode_16_64 3
		.amdhsa_dx10_clamp 1
		.amdhsa_ieee_mode 1
		.amdhsa_fp16_overflow 0
		.amdhsa_workgroup_processor_mode 1
		.amdhsa_memory_ordered 1
		.amdhsa_forward_progress 1
		.amdhsa_shared_vgpr_count 0
		.amdhsa_exception_fp_ieee_invalid_op 0
		.amdhsa_exception_fp_denorm_src 0
		.amdhsa_exception_fp_ieee_div_zero 0
		.amdhsa_exception_fp_ieee_overflow 0
		.amdhsa_exception_fp_ieee_underflow 0
		.amdhsa_exception_fp_ieee_inexact 0
		.amdhsa_exception_int_div_zero 0
	.end_amdhsa_kernel
	.section	.text._ZN2at6native12_GLOBAL__N_125multi_tensor_apply_kernelINS1_28TensorListScalarListMetadataIhLi2EEENS1_25BinaryOpScalarListFunctorIhLi2ELi1ELi1EEEJSt7dividesIhEEEEvT_T0_DpT1_,"axG",@progbits,_ZN2at6native12_GLOBAL__N_125multi_tensor_apply_kernelINS1_28TensorListScalarListMetadataIhLi2EEENS1_25BinaryOpScalarListFunctorIhLi2ELi1ELi1EEEJSt7dividesIhEEEEvT_T0_DpT1_,comdat
.Lfunc_end60:
	.size	_ZN2at6native12_GLOBAL__N_125multi_tensor_apply_kernelINS1_28TensorListScalarListMetadataIhLi2EEENS1_25BinaryOpScalarListFunctorIhLi2ELi1ELi1EEEJSt7dividesIhEEEEvT_T0_DpT1_, .Lfunc_end60-_ZN2at6native12_GLOBAL__N_125multi_tensor_apply_kernelINS1_28TensorListScalarListMetadataIhLi2EEENS1_25BinaryOpScalarListFunctorIhLi2ELi1ELi1EEEJSt7dividesIhEEEEvT_T0_DpT1_
                                        ; -- End function
	.set _ZN2at6native12_GLOBAL__N_125multi_tensor_apply_kernelINS1_28TensorListScalarListMetadataIhLi2EEENS1_25BinaryOpScalarListFunctorIhLi2ELi1ELi1EEEJSt7dividesIhEEEEvT_T0_DpT1_.num_vgpr, 33
	.set _ZN2at6native12_GLOBAL__N_125multi_tensor_apply_kernelINS1_28TensorListScalarListMetadataIhLi2EEENS1_25BinaryOpScalarListFunctorIhLi2ELi1ELi1EEEJSt7dividesIhEEEEvT_T0_DpT1_.num_agpr, 0
	.set _ZN2at6native12_GLOBAL__N_125multi_tensor_apply_kernelINS1_28TensorListScalarListMetadataIhLi2EEENS1_25BinaryOpScalarListFunctorIhLi2ELi1ELi1EEEJSt7dividesIhEEEEvT_T0_DpT1_.numbered_sgpr, 22
	.set _ZN2at6native12_GLOBAL__N_125multi_tensor_apply_kernelINS1_28TensorListScalarListMetadataIhLi2EEENS1_25BinaryOpScalarListFunctorIhLi2ELi1ELi1EEEJSt7dividesIhEEEEvT_T0_DpT1_.num_named_barrier, 0
	.set _ZN2at6native12_GLOBAL__N_125multi_tensor_apply_kernelINS1_28TensorListScalarListMetadataIhLi2EEENS1_25BinaryOpScalarListFunctorIhLi2ELi1ELi1EEEJSt7dividesIhEEEEvT_T0_DpT1_.private_seg_size, 0
	.set _ZN2at6native12_GLOBAL__N_125multi_tensor_apply_kernelINS1_28TensorListScalarListMetadataIhLi2EEENS1_25BinaryOpScalarListFunctorIhLi2ELi1ELi1EEEJSt7dividesIhEEEEvT_T0_DpT1_.uses_vcc, 1
	.set _ZN2at6native12_GLOBAL__N_125multi_tensor_apply_kernelINS1_28TensorListScalarListMetadataIhLi2EEENS1_25BinaryOpScalarListFunctorIhLi2ELi1ELi1EEEJSt7dividesIhEEEEvT_T0_DpT1_.uses_flat_scratch, 0
	.set _ZN2at6native12_GLOBAL__N_125multi_tensor_apply_kernelINS1_28TensorListScalarListMetadataIhLi2EEENS1_25BinaryOpScalarListFunctorIhLi2ELi1ELi1EEEJSt7dividesIhEEEEvT_T0_DpT1_.has_dyn_sized_stack, 0
	.set _ZN2at6native12_GLOBAL__N_125multi_tensor_apply_kernelINS1_28TensorListScalarListMetadataIhLi2EEENS1_25BinaryOpScalarListFunctorIhLi2ELi1ELi1EEEJSt7dividesIhEEEEvT_T0_DpT1_.has_recursion, 0
	.set _ZN2at6native12_GLOBAL__N_125multi_tensor_apply_kernelINS1_28TensorListScalarListMetadataIhLi2EEENS1_25BinaryOpScalarListFunctorIhLi2ELi1ELi1EEEJSt7dividesIhEEEEvT_T0_DpT1_.has_indirect_call, 0
	.section	.AMDGPU.csdata,"",@progbits
; Kernel info:
; codeLenInByte = 1628
; TotalNumSgprs: 24
; NumVgprs: 33
; ScratchSize: 0
; MemoryBound: 0
; FloatMode: 240
; IeeeMode: 1
; LDSByteSize: 0 bytes/workgroup (compile time only)
; SGPRBlocks: 0
; VGPRBlocks: 4
; NumSGPRsForWavesPerEU: 24
; NumVGPRsForWavesPerEU: 33
; Occupancy: 16
; WaveLimiterHint : 0
; COMPUTE_PGM_RSRC2:SCRATCH_EN: 0
; COMPUTE_PGM_RSRC2:USER_SGPR: 6
; COMPUTE_PGM_RSRC2:TRAP_HANDLER: 0
; COMPUTE_PGM_RSRC2:TGID_X_EN: 1
; COMPUTE_PGM_RSRC2:TGID_Y_EN: 0
; COMPUTE_PGM_RSRC2:TGID_Z_EN: 0
; COMPUTE_PGM_RSRC2:TIDIG_COMP_CNT: 0
	.section	.text._ZN2at6native12_GLOBAL__N_125multi_tensor_apply_kernelINS1_28TensorListScalarListMetadataIaLi2EEENS1_25BinaryOpScalarListFunctorIaLi2ELi1ELi1EEEJSt7dividesIaEEEEvT_T0_DpT1_,"axG",@progbits,_ZN2at6native12_GLOBAL__N_125multi_tensor_apply_kernelINS1_28TensorListScalarListMetadataIaLi2EEENS1_25BinaryOpScalarListFunctorIaLi2ELi1ELi1EEEJSt7dividesIaEEEEvT_T0_DpT1_,comdat
	.globl	_ZN2at6native12_GLOBAL__N_125multi_tensor_apply_kernelINS1_28TensorListScalarListMetadataIaLi2EEENS1_25BinaryOpScalarListFunctorIaLi2ELi1ELi1EEEJSt7dividesIaEEEEvT_T0_DpT1_ ; -- Begin function _ZN2at6native12_GLOBAL__N_125multi_tensor_apply_kernelINS1_28TensorListScalarListMetadataIaLi2EEENS1_25BinaryOpScalarListFunctorIaLi2ELi1ELi1EEEJSt7dividesIaEEEEvT_T0_DpT1_
	.p2align	8
	.type	_ZN2at6native12_GLOBAL__N_125multi_tensor_apply_kernelINS1_28TensorListScalarListMetadataIaLi2EEENS1_25BinaryOpScalarListFunctorIaLi2ELi1ELi1EEEJSt7dividesIaEEEEvT_T0_DpT1_,@function
_ZN2at6native12_GLOBAL__N_125multi_tensor_apply_kernelINS1_28TensorListScalarListMetadataIaLi2EEENS1_25BinaryOpScalarListFunctorIaLi2ELi1ELi1EEEJSt7dividesIaEEEEvT_T0_DpT1_: ; @_ZN2at6native12_GLOBAL__N_125multi_tensor_apply_kernelINS1_28TensorListScalarListMetadataIaLi2EEENS1_25BinaryOpScalarListFunctorIaLi2ELi1ELi1EEEJSt7dividesIaEEEEvT_T0_DpT1_
; %bb.0:
	v_mov_b32_e32 v1, s6
	s_mul_i32 s2, s6, 3
	s_mul_hi_u32 s3, s6, 3
	global_load_ubyte v3, v1, s[4:5] offset:1600
	s_waitcnt vmcnt(0)
	v_add_co_u32 v1, s0, s4, v3
	v_add_co_ci_u32_e64 v2, null, s5, 0, s0
	s_add_u32 s0, s4, s6
	s_addc_u32 s1, s5, 0
	s_add_u32 s0, s0, s2
	global_load_ubyte v4, v[1:2], off offset:1536
	s_addc_u32 s1, s1, s3
	v_readfirstlane_b32 s2, v3
	s_load_dword s0, s[0:1], 0x780
	s_lshl_b32 s1, s2, 3
	s_clause 0x2
	s_load_dwordx2 s[6:7], s[4:5], s1 offset:0x0
	s_load_dwordx2 s[2:3], s[4:5], s1 offset:0x400
	;; [unrolled: 1-line block ×3, first 2 shown]
	s_waitcnt lgkmcnt(0)
	s_ashr_i32 s1, s0, 31
	s_lshl_b64 s[10:11], s[0:1], 16
	s_add_u32 s0, s6, s10
	s_sub_u32 s12, s2, s10
	s_subb_u32 s13, s3, s11
	s_or_b32 s1, s2, s8
	s_or_b32 s0, s1, s0
	s_and_b32 s0, s0, 3
	s_cmp_eq_u32 s0, 0
	s_mov_b32 s0, -1
	s_cbranch_scc1 .LBB61_21
; %bb.1:
	v_cmp_lt_i64_e64 s0, s[12:13], 1
	s_and_b32 vcc_lo, exec_lo, s0
	s_cbranch_vccnz .LBB61_20
; %bb.2:
	s_load_dword s0, s[4:5], 0xc94
	v_cmp_gt_i64_e64 s1, 0x10000, s[12:13]
	v_cmp_gt_u64_e64 s2, 0x10000, s[12:13]
	v_add_co_u32 v18, s3, s10, v0
	v_add_co_ci_u32_e64 v19, null, s11, 0, s3
	s_and_b32 s1, s1, exec_lo
	s_cselect_b32 s15, s13, 0
	s_cselect_b32 s14, s12, 0x10000
	v_add_co_u32 v3, vcc_lo, s6, v18
	v_add_co_ci_u32_e64 v5, null, s7, v19, vcc_lo
	v_add_co_u32 v6, vcc_lo, s8, v18
	v_add_co_ci_u32_e64 v7, null, s9, v19, vcc_lo
	s_waitcnt vmcnt(0)
	v_cvt_f32_i32_sdwa v1, sext(v4) dst_sel:DWORD dst_unused:UNUSED_PAD src0_sel:BYTE_0
	s_waitcnt lgkmcnt(0)
	s_and_b32 s0, s0, 0xffff
	s_and_b32 s1, s2, exec_lo
	s_mul_i32 s2, s0, 3
	s_cselect_b32 s17, s13, 0
	s_cselect_b32 s16, s12, 0x10000
	s_lshl_b32 s1, s0, 1
	s_lshl_b32 s20, s0, 2
	s_add_u32 s3, s10, s2
	s_addc_u32 s18, s11, 0
	v_add_co_u32 v10, s3, s3, v0
	v_add_co_ci_u32_e64 v11, null, s18, 0, s3
	s_add_u32 s3, s10, s1
	s_addc_u32 s18, s11, 0
	v_add_co_u32 v16, s3, s3, v0
	v_add_co_u32 v8, vcc_lo, s6, v10
	v_add_co_ci_u32_e64 v17, null, s18, 0, s3
	v_add_co_ci_u32_e64 v9, null, s7, v11, vcc_lo
	v_add_co_u32 v10, vcc_lo, s8, v10
	v_add_co_ci_u32_e64 v11, null, s9, v11, vcc_lo
	v_add_co_u32 v14, vcc_lo, s6, v16
	v_add_co_ci_u32_e64 v15, null, s7, v17, vcc_lo
	v_add_co_u32 v16, vcc_lo, s8, v16
	v_add_co_ci_u32_e64 v17, null, s9, v17, vcc_lo
	v_add_co_u32 v22, vcc_lo, v18, s0
	v_add_co_ci_u32_e64 v23, null, 0, v19, vcc_lo
	v_rcp_iflag_f32_e32 v2, v1
	v_add_co_u32 v20, vcc_lo, s6, v22
	v_add_co_u32 v12, s2, s2, v0
	v_add_co_u32 v18, s1, s1, v0
	v_add_co_ci_u32_e64 v21, null, s7, v23, vcc_lo
	v_add_co_u32 v22, vcc_lo, s8, v22
	v_add_co_u32 v24, s0, v0, s0
	v_add_co_ci_u32_e64 v13, null, 0, 0, s2
	v_add_co_ci_u32_e64 v19, null, 0, 0, s1
	v_add_co_ci_u32_e64 v23, null, s9, v23, vcc_lo
	v_add_co_ci_u32_e64 v25, null, 0, 0, s0
	s_mov_b64 s[18:19], 0
	s_branch .LBB61_4
.LBB61_3:                               ;   in Loop: Header=BB61_4 Depth=1
	s_or_b32 exec_lo, exec_lo, s0
	s_add_u32 s18, s18, s20
	s_addc_u32 s19, s19, 0
	v_cmp_lt_i64_e64 s0, s[18:19], s[14:15]
	s_and_b32 vcc_lo, exec_lo, s0
	s_cbranch_vccz .LBB61_20
.LBB61_4:                               ; =>This Inner Loop Header: Depth=1
	s_waitcnt vmcnt(0)
	v_add_co_u32 v26, s0, v0, s18
	v_add_co_ci_u32_e64 v27, null, 0, s19, s0
	v_mov_b32_e32 v29, 0
	v_cmp_gt_u64_e64 s2, s[16:17], v[26:27]
	s_and_saveexec_b32 s0, s2
	s_cbranch_execz .LBB61_6
; %bb.5:                                ;   in Loop: Header=BB61_4 Depth=1
	v_add_co_u32 v26, vcc_lo, v3, s18
	v_add_co_ci_u32_e64 v27, null, s19, v5, vcc_lo
	global_load_ubyte v29, v[26:27], off
.LBB61_6:                               ;   in Loop: Header=BB61_4 Depth=1
	s_or_b32 exec_lo, exec_lo, s0
	v_add_co_u32 v26, vcc_lo, v24, s18
	v_add_co_ci_u32_e64 v27, null, s19, v25, vcc_lo
	v_mov_b32_e32 v28, 0
	v_cmp_gt_u64_e64 s1, s[16:17], v[26:27]
	v_mov_b32_e32 v26, 0
	s_and_saveexec_b32 s0, s1
	s_cbranch_execz .LBB61_8
; %bb.7:                                ;   in Loop: Header=BB61_4 Depth=1
	v_add_co_u32 v27, vcc_lo, v20, s18
	v_add_co_ci_u32_e64 v28, null, s19, v21, vcc_lo
	global_load_ubyte v28, v[27:28], off
.LBB61_8:                               ;   in Loop: Header=BB61_4 Depth=1
	s_or_b32 exec_lo, exec_lo, s0
	v_add_co_u32 v30, vcc_lo, v18, s18
	v_add_co_ci_u32_e64 v31, null, s19, v19, vcc_lo
	v_cmp_gt_u64_e64 s0, s[16:17], v[30:31]
	s_and_saveexec_b32 s3, s0
	s_cbranch_execz .LBB61_10
; %bb.9:                                ;   in Loop: Header=BB61_4 Depth=1
	v_add_co_u32 v26, vcc_lo, v14, s18
	v_add_co_ci_u32_e64 v27, null, s19, v15, vcc_lo
	global_load_ubyte v26, v[26:27], off
.LBB61_10:                              ;   in Loop: Header=BB61_4 Depth=1
	s_or_b32 exec_lo, exec_lo, s3
	v_add_co_u32 v30, vcc_lo, v12, s18
	v_add_co_ci_u32_e64 v31, null, s19, v13, vcc_lo
	v_mov_b32_e32 v27, 0
	v_cmp_gt_u64_e32 vcc_lo, s[16:17], v[30:31]
	s_and_saveexec_b32 s21, vcc_lo
	s_cbranch_execnz .LBB61_15
; %bb.11:                               ;   in Loop: Header=BB61_4 Depth=1
	s_or_b32 exec_lo, exec_lo, s21
	s_and_saveexec_b32 s3, s2
	s_cbranch_execnz .LBB61_16
.LBB61_12:                              ;   in Loop: Header=BB61_4 Depth=1
	s_or_b32 exec_lo, exec_lo, s3
	s_and_saveexec_b32 s2, s1
	s_cbranch_execnz .LBB61_17
.LBB61_13:                              ;   in Loop: Header=BB61_4 Depth=1
	s_or_b32 exec_lo, exec_lo, s2
	s_and_saveexec_b32 s1, s0
	s_cbranch_execnz .LBB61_18
.LBB61_14:                              ;   in Loop: Header=BB61_4 Depth=1
	s_or_b32 exec_lo, exec_lo, s1
	s_and_saveexec_b32 s0, vcc_lo
	s_cbranch_execz .LBB61_3
	s_branch .LBB61_19
.LBB61_15:                              ;   in Loop: Header=BB61_4 Depth=1
	v_add_co_u32 v30, s3, v8, s18
	v_add_co_ci_u32_e64 v31, null, s19, v9, s3
	global_load_ubyte v27, v[30:31], off
	s_or_b32 exec_lo, exec_lo, s21
	s_and_saveexec_b32 s3, s2
	s_cbranch_execz .LBB61_12
.LBB61_16:                              ;   in Loop: Header=BB61_4 Depth=1
	s_waitcnt vmcnt(0)
	v_cvt_f32_i32_sdwa v30, sext(v29) dst_sel:DWORD dst_unused:UNUSED_PAD src0_sel:BYTE_0
	v_xor_b32_sdwa v29, sext(v29), sext(v4) dst_sel:DWORD dst_unused:UNUSED_PAD src0_sel:BYTE_0 src1_sel:BYTE_0
	v_mul_f32_e32 v31, v30, v2
	v_ashrrev_i32_e32 v29, 30, v29
	v_trunc_f32_e32 v31, v31
	v_or_b32_e32 v29, 1, v29
	v_fma_f32 v30, -v31, v1, v30
	v_cvt_i32_f32_e32 v31, v31
	v_cmp_ge_f32_e64 s2, |v30|, |v1|
	v_cndmask_b32_e64 v32, 0, v29, s2
	v_add_co_u32 v29, s2, v6, s18
	v_add_co_ci_u32_e64 v30, null, s19, v7, s2
	v_add_nc_u32_e32 v31, v31, v32
	global_store_byte v[29:30], v31, off
	s_or_b32 exec_lo, exec_lo, s3
	s_and_saveexec_b32 s2, s1
	s_cbranch_execz .LBB61_13
.LBB61_17:                              ;   in Loop: Header=BB61_4 Depth=1
	s_waitcnt vmcnt(0)
	v_cvt_f32_i32_sdwa v29, sext(v28) dst_sel:DWORD dst_unused:UNUSED_PAD src0_sel:BYTE_0
	v_xor_b32_sdwa v28, sext(v28), sext(v4) dst_sel:DWORD dst_unused:UNUSED_PAD src0_sel:BYTE_0 src1_sel:BYTE_0
	v_mul_f32_e32 v30, v29, v2
	v_ashrrev_i32_e32 v28, 30, v28
	v_trunc_f32_e32 v30, v30
	v_or_b32_e32 v28, 1, v28
	v_fma_f32 v29, -v30, v1, v29
	v_cvt_i32_f32_e32 v30, v30
	v_cmp_ge_f32_e64 s1, |v29|, |v1|
	v_cndmask_b32_e64 v28, 0, v28, s1
	v_add_nc_u32_e32 v30, v30, v28
	v_add_co_u32 v28, s1, v22, s18
	v_add_co_ci_u32_e64 v29, null, s19, v23, s1
	global_store_byte v[28:29], v30, off
	s_or_b32 exec_lo, exec_lo, s2
	s_and_saveexec_b32 s1, s0
	s_cbranch_execz .LBB61_14
.LBB61_18:                              ;   in Loop: Header=BB61_4 Depth=1
	s_waitcnt vmcnt(0)
	v_cvt_f32_i32_sdwa v28, sext(v26) dst_sel:DWORD dst_unused:UNUSED_PAD src0_sel:BYTE_0
	v_xor_b32_sdwa v26, sext(v26), sext(v4) dst_sel:DWORD dst_unused:UNUSED_PAD src0_sel:BYTE_0 src1_sel:BYTE_0
	v_mul_f32_e32 v29, v28, v2
	v_ashrrev_i32_e32 v26, 30, v26
	v_trunc_f32_e32 v29, v29
	v_or_b32_e32 v26, 1, v26
	v_fma_f32 v28, -v29, v1, v28
	v_cvt_i32_f32_e32 v29, v29
	v_cmp_ge_f32_e64 s0, |v28|, |v1|
	v_cndmask_b32_e64 v26, 0, v26, s0
	v_add_co_u32 v28, s0, v16, s18
	v_add_nc_u32_e32 v26, v29, v26
	v_add_co_ci_u32_e64 v29, null, s19, v17, s0
	global_store_byte v[28:29], v26, off
	s_or_b32 exec_lo, exec_lo, s1
	s_and_saveexec_b32 s0, vcc_lo
	s_cbranch_execz .LBB61_3
.LBB61_19:                              ;   in Loop: Header=BB61_4 Depth=1
	s_waitcnt vmcnt(0)
	v_cvt_f32_i32_sdwa v26, sext(v27) dst_sel:DWORD dst_unused:UNUSED_PAD src0_sel:BYTE_0
	v_xor_b32_sdwa v27, sext(v27), sext(v4) dst_sel:DWORD dst_unused:UNUSED_PAD src0_sel:BYTE_0 src1_sel:BYTE_0
	v_mul_f32_e32 v28, v26, v2
	v_ashrrev_i32_e32 v27, 30, v27
	v_trunc_f32_e32 v28, v28
	v_or_b32_e32 v27, 1, v27
	v_fma_f32 v26, -v28, v1, v26
	v_cvt_i32_f32_e32 v28, v28
	v_cmp_ge_f32_e64 vcc_lo, |v26|, |v1|
	v_cndmask_b32_e32 v26, 0, v27, vcc_lo
	v_add_nc_u32_e32 v28, v28, v26
	v_add_co_u32 v26, vcc_lo, v10, s18
	v_add_co_ci_u32_e64 v27, null, s19, v11, vcc_lo
	global_store_byte v[26:27], v28, off
	s_branch .LBB61_3
.LBB61_20:
	s_mov_b32 s0, 0
.LBB61_21:
	s_andn2_b32 vcc_lo, exec_lo, s0
	s_cbranch_vccnz .LBB61_25
; %bb.22:
	v_cmp_gt_i64_e64 s0, 0x10000, s[12:13]
	v_mov_b32_e32 v3, 0
	v_lshlrev_b32_e32 v2, 2, v0
	s_mov_b32 s1, 0
	s_and_b32 s0, s0, exec_lo
	s_cselect_b32 s3, s13, 0
	s_cselect_b32 s2, s12, 0x10000
	s_mov_b32 s0, exec_lo
	v_cmpx_gt_i64_e64 s[2:3], v[2:3]
	s_cbranch_execz .LBB61_25
; %bb.23:
	s_load_dword s0, s[4:5], 0xc94
	s_waitcnt vmcnt(0)
	v_cvt_f32_i32_sdwa v5, sext(v4) dst_sel:DWORD dst_unused:UNUSED_PAD src0_sel:BYTE_0
	v_add_co_u32 v2, s4, s10, v2
	v_mov_b32_e32 v1, v3
	v_add_co_ci_u32_e64 v3, null, s11, 0, s4
	v_rcp_iflag_f32_e32 v6, v5
	s_waitcnt lgkmcnt(0)
	s_and_b32 s4, s0, 0xffff
	s_lshl_b32 s5, s4, 2
.LBB61_24:                              ; =>This Inner Loop Header: Depth=1
	v_add_co_u32 v7, vcc_lo, s6, v2
	v_add_co_ci_u32_e64 v8, null, s7, v3, vcc_lo
	v_add_co_u32 v0, vcc_lo, v0, s4
	v_add_co_ci_u32_e64 v1, null, 0, v1, vcc_lo
	global_load_dword v8, v[7:8], off
	v_add_co_u32 v7, vcc_lo, s8, v2
	v_lshlrev_b64 v[9:10], 2, v[0:1]
	s_waitcnt vmcnt(0)
	v_cvt_f32_i32_sdwa v12, sext(v8) dst_sel:DWORD dst_unused:UNUSED_PAD src0_sel:BYTE_0
	v_cvt_f32_i32_sdwa v14, sext(v8) dst_sel:DWORD dst_unused:UNUSED_PAD src0_sel:BYTE_1
	v_xor_b32_sdwa v11, sext(v8), sext(v4) dst_sel:DWORD dst_unused:UNUSED_PAD src0_sel:BYTE_0 src1_sel:BYTE_0
	v_cvt_f32_i32_sdwa v16, sext(v8) dst_sel:DWORD dst_unused:UNUSED_PAD src0_sel:BYTE_2
	v_xor_b32_sdwa v13, sext(v8), sext(v4) dst_sel:DWORD dst_unused:UNUSED_PAD src0_sel:BYTE_1 src1_sel:BYTE_0
	v_mul_f32_e32 v18, v12, v6
	v_mul_f32_e32 v19, v14, v6
	v_xor_b32_sdwa v15, sext(v8), sext(v4) dst_sel:DWORD dst_unused:UNUSED_PAD src0_sel:BYTE_2 src1_sel:BYTE_0
	v_xor_b32_sdwa v17, sext(v8), sext(v4) dst_sel:DWORD dst_unused:UNUSED_PAD src0_sel:BYTE_3 src1_sel:BYTE_0
	v_cvt_f32_i32_sdwa v8, sext(v8) dst_sel:DWORD dst_unused:UNUSED_PAD src0_sel:BYTE_3
	v_trunc_f32_e32 v18, v18
	v_ashrrev_i32_e32 v11, 30, v11
	v_mul_f32_e32 v20, v16, v6
	v_trunc_f32_e32 v19, v19
	v_ashrrev_i32_e32 v13, 30, v13
	v_fma_f32 v12, -v18, v5, v12
	v_mul_f32_e32 v21, v8, v6
	v_or_b32_e32 v11, 1, v11
	v_trunc_f32_e32 v20, v20
	v_fma_f32 v14, -v19, v5, v14
	v_cmp_ge_f32_e64 s0, |v12|, |v5|
	v_ashrrev_i32_e32 v15, 30, v15
	v_or_b32_e32 v13, 1, v13
	v_trunc_f32_e32 v21, v21
	v_fma_f32 v16, -v20, v5, v16
	v_cndmask_b32_e64 v11, 0, v11, s0
	v_cmp_ge_f32_e64 s0, |v14|, |v5|
	v_ashrrev_i32_e32 v17, 30, v17
	v_or_b32_e32 v15, 1, v15
	v_fma_f32 v8, -v21, v5, v8
	v_cvt_i32_f32_e32 v18, v18
	v_cndmask_b32_e64 v12, 0, v13, s0
	v_cmp_ge_f32_e64 s0, |v16|, |v5|
	v_or_b32_e32 v17, 1, v17
	v_cvt_i32_f32_e32 v19, v19
	v_cvt_i32_f32_e32 v20, v20
	;; [unrolled: 1-line block ×3, first 2 shown]
	v_cndmask_b32_e64 v13, 0, v15, s0
	v_cmp_ge_f32_e64 s0, |v8|, |v5|
	v_add_nc_u32_e32 v11, v18, v11
	v_add_nc_u32_sdwa v12, v19, v12 dst_sel:BYTE_1 dst_unused:UNUSED_PAD src0_sel:DWORD src1_sel:DWORD
	v_add_nc_u32_e32 v13, v20, v13
	v_cndmask_b32_e64 v8, 0, v17, s0
	v_add_co_u32 v2, s0, v2, s5
	v_or_b32_sdwa v11, v11, v12 dst_sel:DWORD dst_unused:UNUSED_PAD src0_sel:BYTE_0 src1_sel:DWORD
	v_add_nc_u32_sdwa v14, v21, v8 dst_sel:BYTE_1 dst_unused:UNUSED_PAD src0_sel:DWORD src1_sel:DWORD
	v_add_co_ci_u32_e64 v8, null, s9, v3, vcc_lo
	v_cmp_le_i64_e32 vcc_lo, s[2:3], v[9:10]
	v_add_co_ci_u32_e64 v3, null, 0, v3, s0
	v_or_b32_sdwa v12, v13, v14 dst_sel:WORD_1 dst_unused:UNUSED_PAD src0_sel:BYTE_0 src1_sel:DWORD
	s_or_b32 s1, vcc_lo, s1
	v_or_b32_sdwa v9, v11, v12 dst_sel:DWORD dst_unused:UNUSED_PAD src0_sel:WORD_0 src1_sel:DWORD
	global_store_dword v[7:8], v9, off
	s_andn2_b32 exec_lo, exec_lo, s1
	s_cbranch_execnz .LBB61_24
.LBB61_25:
	s_endpgm
	.section	.rodata,"a",@progbits
	.p2align	6, 0x0
	.amdhsa_kernel _ZN2at6native12_GLOBAL__N_125multi_tensor_apply_kernelINS1_28TensorListScalarListMetadataIaLi2EEENS1_25BinaryOpScalarListFunctorIaLi2ELi1ELi1EEEJSt7dividesIaEEEEvT_T0_DpT1_
		.amdhsa_group_segment_fixed_size 0
		.amdhsa_private_segment_fixed_size 0
		.amdhsa_kernarg_size 3464
		.amdhsa_user_sgpr_count 6
		.amdhsa_user_sgpr_private_segment_buffer 1
		.amdhsa_user_sgpr_dispatch_ptr 0
		.amdhsa_user_sgpr_queue_ptr 0
		.amdhsa_user_sgpr_kernarg_segment_ptr 1
		.amdhsa_user_sgpr_dispatch_id 0
		.amdhsa_user_sgpr_flat_scratch_init 0
		.amdhsa_user_sgpr_private_segment_size 0
		.amdhsa_wavefront_size32 1
		.amdhsa_uses_dynamic_stack 0
		.amdhsa_system_sgpr_private_segment_wavefront_offset 0
		.amdhsa_system_sgpr_workgroup_id_x 1
		.amdhsa_system_sgpr_workgroup_id_y 0
		.amdhsa_system_sgpr_workgroup_id_z 0
		.amdhsa_system_sgpr_workgroup_info 0
		.amdhsa_system_vgpr_workitem_id 0
		.amdhsa_next_free_vgpr 33
		.amdhsa_next_free_sgpr 22
		.amdhsa_reserve_vcc 1
		.amdhsa_reserve_flat_scratch 0
		.amdhsa_float_round_mode_32 0
		.amdhsa_float_round_mode_16_64 0
		.amdhsa_float_denorm_mode_32 3
		.amdhsa_float_denorm_mode_16_64 3
		.amdhsa_dx10_clamp 1
		.amdhsa_ieee_mode 1
		.amdhsa_fp16_overflow 0
		.amdhsa_workgroup_processor_mode 1
		.amdhsa_memory_ordered 1
		.amdhsa_forward_progress 1
		.amdhsa_shared_vgpr_count 0
		.amdhsa_exception_fp_ieee_invalid_op 0
		.amdhsa_exception_fp_denorm_src 0
		.amdhsa_exception_fp_ieee_div_zero 0
		.amdhsa_exception_fp_ieee_overflow 0
		.amdhsa_exception_fp_ieee_underflow 0
		.amdhsa_exception_fp_ieee_inexact 0
		.amdhsa_exception_int_div_zero 0
	.end_amdhsa_kernel
	.section	.text._ZN2at6native12_GLOBAL__N_125multi_tensor_apply_kernelINS1_28TensorListScalarListMetadataIaLi2EEENS1_25BinaryOpScalarListFunctorIaLi2ELi1ELi1EEEJSt7dividesIaEEEEvT_T0_DpT1_,"axG",@progbits,_ZN2at6native12_GLOBAL__N_125multi_tensor_apply_kernelINS1_28TensorListScalarListMetadataIaLi2EEENS1_25BinaryOpScalarListFunctorIaLi2ELi1ELi1EEEJSt7dividesIaEEEEvT_T0_DpT1_,comdat
.Lfunc_end61:
	.size	_ZN2at6native12_GLOBAL__N_125multi_tensor_apply_kernelINS1_28TensorListScalarListMetadataIaLi2EEENS1_25BinaryOpScalarListFunctorIaLi2ELi1ELi1EEEJSt7dividesIaEEEEvT_T0_DpT1_, .Lfunc_end61-_ZN2at6native12_GLOBAL__N_125multi_tensor_apply_kernelINS1_28TensorListScalarListMetadataIaLi2EEENS1_25BinaryOpScalarListFunctorIaLi2ELi1ELi1EEEJSt7dividesIaEEEEvT_T0_DpT1_
                                        ; -- End function
	.set _ZN2at6native12_GLOBAL__N_125multi_tensor_apply_kernelINS1_28TensorListScalarListMetadataIaLi2EEENS1_25BinaryOpScalarListFunctorIaLi2ELi1ELi1EEEJSt7dividesIaEEEEvT_T0_DpT1_.num_vgpr, 33
	.set _ZN2at6native12_GLOBAL__N_125multi_tensor_apply_kernelINS1_28TensorListScalarListMetadataIaLi2EEENS1_25BinaryOpScalarListFunctorIaLi2ELi1ELi1EEEJSt7dividesIaEEEEvT_T0_DpT1_.num_agpr, 0
	.set _ZN2at6native12_GLOBAL__N_125multi_tensor_apply_kernelINS1_28TensorListScalarListMetadataIaLi2EEENS1_25BinaryOpScalarListFunctorIaLi2ELi1ELi1EEEJSt7dividesIaEEEEvT_T0_DpT1_.numbered_sgpr, 22
	.set _ZN2at6native12_GLOBAL__N_125multi_tensor_apply_kernelINS1_28TensorListScalarListMetadataIaLi2EEENS1_25BinaryOpScalarListFunctorIaLi2ELi1ELi1EEEJSt7dividesIaEEEEvT_T0_DpT1_.num_named_barrier, 0
	.set _ZN2at6native12_GLOBAL__N_125multi_tensor_apply_kernelINS1_28TensorListScalarListMetadataIaLi2EEENS1_25BinaryOpScalarListFunctorIaLi2ELi1ELi1EEEJSt7dividesIaEEEEvT_T0_DpT1_.private_seg_size, 0
	.set _ZN2at6native12_GLOBAL__N_125multi_tensor_apply_kernelINS1_28TensorListScalarListMetadataIaLi2EEENS1_25BinaryOpScalarListFunctorIaLi2ELi1ELi1EEEJSt7dividesIaEEEEvT_T0_DpT1_.uses_vcc, 1
	.set _ZN2at6native12_GLOBAL__N_125multi_tensor_apply_kernelINS1_28TensorListScalarListMetadataIaLi2EEENS1_25BinaryOpScalarListFunctorIaLi2ELi1ELi1EEEJSt7dividesIaEEEEvT_T0_DpT1_.uses_flat_scratch, 0
	.set _ZN2at6native12_GLOBAL__N_125multi_tensor_apply_kernelINS1_28TensorListScalarListMetadataIaLi2EEENS1_25BinaryOpScalarListFunctorIaLi2ELi1ELi1EEEJSt7dividesIaEEEEvT_T0_DpT1_.has_dyn_sized_stack, 0
	.set _ZN2at6native12_GLOBAL__N_125multi_tensor_apply_kernelINS1_28TensorListScalarListMetadataIaLi2EEENS1_25BinaryOpScalarListFunctorIaLi2ELi1ELi1EEEJSt7dividesIaEEEEvT_T0_DpT1_.has_recursion, 0
	.set _ZN2at6native12_GLOBAL__N_125multi_tensor_apply_kernelINS1_28TensorListScalarListMetadataIaLi2EEENS1_25BinaryOpScalarListFunctorIaLi2ELi1ELi1EEEJSt7dividesIaEEEEvT_T0_DpT1_.has_indirect_call, 0
	.section	.AMDGPU.csdata,"",@progbits
; Kernel info:
; codeLenInByte = 1816
; TotalNumSgprs: 24
; NumVgprs: 33
; ScratchSize: 0
; MemoryBound: 0
; FloatMode: 240
; IeeeMode: 1
; LDSByteSize: 0 bytes/workgroup (compile time only)
; SGPRBlocks: 0
; VGPRBlocks: 4
; NumSGPRsForWavesPerEU: 24
; NumVGPRsForWavesPerEU: 33
; Occupancy: 16
; WaveLimiterHint : 0
; COMPUTE_PGM_RSRC2:SCRATCH_EN: 0
; COMPUTE_PGM_RSRC2:USER_SGPR: 6
; COMPUTE_PGM_RSRC2:TRAP_HANDLER: 0
; COMPUTE_PGM_RSRC2:TGID_X_EN: 1
; COMPUTE_PGM_RSRC2:TGID_Y_EN: 0
; COMPUTE_PGM_RSRC2:TGID_Z_EN: 0
; COMPUTE_PGM_RSRC2:TIDIG_COMP_CNT: 0
	.section	.text._ZN2at6native12_GLOBAL__N_125multi_tensor_apply_kernelINS1_28TensorListScalarListMetadataIiLi2EEENS1_25BinaryOpScalarListFunctorIiLi2ELi1ELi1EEEJSt7dividesIiEEEEvT_T0_DpT1_,"axG",@progbits,_ZN2at6native12_GLOBAL__N_125multi_tensor_apply_kernelINS1_28TensorListScalarListMetadataIiLi2EEENS1_25BinaryOpScalarListFunctorIiLi2ELi1ELi1EEEJSt7dividesIiEEEEvT_T0_DpT1_,comdat
	.globl	_ZN2at6native12_GLOBAL__N_125multi_tensor_apply_kernelINS1_28TensorListScalarListMetadataIiLi2EEENS1_25BinaryOpScalarListFunctorIiLi2ELi1ELi1EEEJSt7dividesIiEEEEvT_T0_DpT1_ ; -- Begin function _ZN2at6native12_GLOBAL__N_125multi_tensor_apply_kernelINS1_28TensorListScalarListMetadataIiLi2EEENS1_25BinaryOpScalarListFunctorIiLi2ELi1ELi1EEEJSt7dividesIiEEEEvT_T0_DpT1_
	.p2align	8
	.type	_ZN2at6native12_GLOBAL__N_125multi_tensor_apply_kernelINS1_28TensorListScalarListMetadataIiLi2EEENS1_25BinaryOpScalarListFunctorIiLi2ELi1ELi1EEEJSt7dividesIiEEEEvT_T0_DpT1_,@function
_ZN2at6native12_GLOBAL__N_125multi_tensor_apply_kernelINS1_28TensorListScalarListMetadataIiLi2EEENS1_25BinaryOpScalarListFunctorIiLi2ELi1ELi1EEEJSt7dividesIiEEEEvT_T0_DpT1_: ; @_ZN2at6native12_GLOBAL__N_125multi_tensor_apply_kernelINS1_28TensorListScalarListMetadataIiLi2EEENS1_25BinaryOpScalarListFunctorIiLi2ELi1ELi1EEEJSt7dividesIiEEEEvT_T0_DpT1_
; %bb.0:
	v_mov_b32_e32 v1, s6
	s_add_u32 s0, s4, s6
	s_mul_hi_u32 s1, s6, 3
	s_mul_i32 s6, s6, 3
	s_addc_u32 s2, s5, 0
	global_load_ubyte v1, v1, s[4:5] offset:1792
	s_add_u32 s0, s0, s6
	s_addc_u32 s1, s2, s1
	s_load_dword s0, s[0:1], 0x840
	s_waitcnt lgkmcnt(0)
	s_ashr_i32 s1, s0, 31
	s_waitcnt vmcnt(0)
	v_readfirstlane_b32 s12, v1
	s_lshl_b32 s10, s12, 3
	s_clause 0x2
	s_load_dwordx2 s[6:7], s[4:5], s10 offset:0x0
	s_load_dwordx2 s[8:9], s[4:5], s10 offset:0x200
	;; [unrolled: 1-line block ×3, first 2 shown]
	s_add_u32 s13, s4, s10
	s_addc_u32 s15, s5, 0
	s_lshl_b64 s[10:11], s[0:1], 18
	s_lshl_b32 s12, s12, 2
	s_waitcnt lgkmcnt(0)
	s_add_u32 s14, s6, s10
	s_and_b32 s16, s8, 15
	s_and_b32 s14, s14, 15
	s_sub_u32 s12, 0, s12
	s_subb_u32 s17, 0, 0
	s_add_u32 s12, s13, s12
	s_addc_u32 s13, s15, s17
	s_lshl_b64 s[0:1], s[0:1], 16
	s_load_dword s20, s[12:13], 0x600
	s_mov_b32 s15, 0
	s_sub_u32 s12, s2, s0
	s_mov_b32 s17, s15
	s_subb_u32 s13, s3, s1
	s_and_b32 s0, s2, 3
	s_mov_b32 s1, s15
	s_or_b64 s[0:1], s[16:17], s[0:1]
	s_or_b64 s[0:1], s[0:1], s[14:15]
	s_cmp_eq_u64 s[0:1], 0
	s_mov_b32 s0, -1
	s_cbranch_scc1 .LBB62_21
; %bb.1:
	v_cmp_lt_i64_e64 s0, s[12:13], 1
	s_and_b32 vcc_lo, exec_lo, s0
	s_cbranch_vccnz .LBB62_20
; %bb.2:
	s_load_dword s0, s[4:5], 0xd54
	v_cmp_gt_i64_e64 s1, 0x10000, s[12:13]
	v_cmp_gt_u64_e64 s2, 0x10000, s[12:13]
	v_mov_b32_e32 v10, 0
	v_lshlrev_b32_e32 v9, 2, v0
	s_and_b32 s1, s1, exec_lo
	s_cselect_b32 s15, s13, 0
	s_cselect_b32 s14, s12, 0x10000
	s_waitcnt lgkmcnt(0)
	s_and_b32 s0, s0, 0xffff
	s_and_b32 s1, s2, exec_lo
	s_cselect_b32 s17, s13, 0
	s_cselect_b32 s16, s12, 0x10000
	s_abs_i32 s21, s20
	v_mad_u64_u32 v[15:16], null, s0, 12, v[9:10]
	v_cvt_f32_u32_e32 v5, s21
	s_mul_i32 s2, s0, 3
	s_lshl_b32 s3, s0, 3
	v_add_co_u32 v1, s1, s6, v9
	v_rcp_iflag_f32_e32 v7, v5
	v_add_co_u32 v5, s18, v0, s0
	v_add_co_ci_u32_e64 v6, null, 0, 0, s18
	s_sub_i32 s18, 0, s21
	v_add_co_ci_u32_e64 v2, null, s7, 0, s1
	v_add_co_u32 v3, s1, s8, v9
	v_mul_f32_e32 v10, 0x4f7ffffe, v7
	v_add_co_u32 v7, s2, s2, v0
	v_add_co_ci_u32_e64 v8, null, 0, 0, s2
	v_cvt_u32_f32_e32 v17, v10
	v_add_co_u32 v11, s2, s3, v9
	v_add_co_ci_u32_e64 v12, null, 0, 0, s2
	v_mul_lo_u32 v13, s18, v17
	v_lshlrev_b32_e32 v22, 2, v5
	v_add_co_ci_u32_e64 v4, null, s9, 0, s1
	s_lshl_b32 s1, s0, 1
	v_add_co_u32 v9, vcc_lo, s6, v11
	v_add_co_ci_u32_e64 v10, null, s7, v12, vcc_lo
	v_mul_hi_u32 v18, v17, v13
	v_add_co_u32 v11, vcc_lo, s8, v11
	v_add_co_ci_u32_e64 v12, null, s9, v12, vcc_lo
	v_add_co_u32 v13, vcc_lo, s6, v15
	v_add_co_ci_u32_e64 v14, null, s7, v16, vcc_lo
	v_add_nc_u32_e32 v17, v17, v18
	v_add_co_u32 v18, s1, s1, v0
	v_add_co_ci_u32_e64 v19, null, 0, 0, s1
	v_add_co_u32 v20, s1, s6, v22
	v_add_co_u32 v15, vcc_lo, s8, v15
	v_add_co_ci_u32_e64 v21, null, s7, 0, s1
	v_add_co_u32 v22, s1, s8, v22
	v_add_co_ci_u32_e64 v16, null, s9, v16, vcc_lo
	v_add_co_ci_u32_e64 v23, null, s9, 0, s1
	s_lshl_b32 s22, s0, 2
	s_ashr_i32 s23, s20, 31
	s_lshl_b32 s24, s0, 4
	s_mov_b64 s[18:19], 0
	s_branch .LBB62_4
.LBB62_3:                               ;   in Loop: Header=BB62_4 Depth=1
	s_or_b32 exec_lo, exec_lo, s0
	v_add_co_u32 v1, vcc_lo, v1, s24
	v_add_co_ci_u32_e64 v2, null, 0, v2, vcc_lo
	v_add_co_u32 v3, vcc_lo, v3, s24
	v_add_co_ci_u32_e64 v4, null, 0, v4, vcc_lo
	;; [unrolled: 2-line block ×4, first 2 shown]
	v_add_co_u32 v9, vcc_lo, v9, s24
	s_add_u32 s18, s18, s22
	v_add_co_ci_u32_e64 v10, null, 0, v10, vcc_lo
	v_add_co_u32 v11, vcc_lo, v11, s24
	s_addc_u32 s19, s19, 0
	v_add_co_ci_u32_e64 v12, null, 0, v12, vcc_lo
	v_add_co_u32 v20, vcc_lo, v20, s24
	v_cmp_lt_i64_e64 s0, s[18:19], s[14:15]
	v_add_co_ci_u32_e64 v21, null, 0, v21, vcc_lo
	v_add_co_u32 v22, vcc_lo, v22, s24
	v_add_co_ci_u32_e64 v23, null, 0, v23, vcc_lo
	s_and_b32 vcc_lo, exec_lo, s0
	s_cbranch_vccz .LBB62_20
.LBB62_4:                               ; =>This Inner Loop Header: Depth=1
	s_waitcnt vmcnt(0)
	v_add_co_u32 v24, s0, v0, s18
	v_add_co_ci_u32_e64 v25, null, 0, s19, s0
	v_mov_b32_e32 v27, 0
	v_cmp_gt_u64_e64 s2, s[16:17], v[24:25]
	s_and_saveexec_b32 s0, s2
	s_cbranch_execz .LBB62_6
; %bb.5:                                ;   in Loop: Header=BB62_4 Depth=1
	v_add_co_u32 v24, vcc_lo, v1, s10
	v_add_co_ci_u32_e64 v25, null, s11, v2, vcc_lo
	global_load_dword v27, v[24:25], off
.LBB62_6:                               ;   in Loop: Header=BB62_4 Depth=1
	s_or_b32 exec_lo, exec_lo, s0
	v_add_co_u32 v24, vcc_lo, v5, s18
	v_add_co_ci_u32_e64 v25, null, s19, v6, vcc_lo
	v_mov_b32_e32 v26, 0
	v_cmp_gt_u64_e64 s1, s[16:17], v[24:25]
	v_mov_b32_e32 v24, 0
	s_and_saveexec_b32 s0, s1
	s_cbranch_execz .LBB62_8
; %bb.7:                                ;   in Loop: Header=BB62_4 Depth=1
	v_add_co_u32 v25, vcc_lo, v20, s10
	v_add_co_ci_u32_e64 v26, null, s11, v21, vcc_lo
	global_load_dword v26, v[25:26], off
.LBB62_8:                               ;   in Loop: Header=BB62_4 Depth=1
	s_or_b32 exec_lo, exec_lo, s0
	v_add_co_u32 v28, vcc_lo, v18, s18
	v_add_co_ci_u32_e64 v29, null, s19, v19, vcc_lo
	v_cmp_gt_u64_e64 s0, s[16:17], v[28:29]
	s_and_saveexec_b32 s3, s0
	s_cbranch_execz .LBB62_10
; %bb.9:                                ;   in Loop: Header=BB62_4 Depth=1
	v_add_co_u32 v24, vcc_lo, v9, s10
	v_add_co_ci_u32_e64 v25, null, s11, v10, vcc_lo
	global_load_dword v24, v[24:25], off
.LBB62_10:                              ;   in Loop: Header=BB62_4 Depth=1
	s_or_b32 exec_lo, exec_lo, s3
	v_add_co_u32 v28, vcc_lo, v7, s18
	v_add_co_ci_u32_e64 v29, null, s19, v8, vcc_lo
	v_mov_b32_e32 v25, 0
	v_cmp_gt_u64_e32 vcc_lo, s[16:17], v[28:29]
	s_and_saveexec_b32 s25, vcc_lo
	s_cbranch_execnz .LBB62_15
; %bb.11:                               ;   in Loop: Header=BB62_4 Depth=1
	s_or_b32 exec_lo, exec_lo, s25
	s_and_saveexec_b32 s3, s2
	s_cbranch_execnz .LBB62_16
.LBB62_12:                              ;   in Loop: Header=BB62_4 Depth=1
	s_or_b32 exec_lo, exec_lo, s3
	s_and_saveexec_b32 s2, s1
	s_cbranch_execnz .LBB62_17
.LBB62_13:                              ;   in Loop: Header=BB62_4 Depth=1
	s_or_b32 exec_lo, exec_lo, s2
	s_and_saveexec_b32 s1, s0
	s_cbranch_execnz .LBB62_18
.LBB62_14:                              ;   in Loop: Header=BB62_4 Depth=1
	s_or_b32 exec_lo, exec_lo, s1
	s_and_saveexec_b32 s0, vcc_lo
	s_cbranch_execz .LBB62_3
	s_branch .LBB62_19
.LBB62_15:                              ;   in Loop: Header=BB62_4 Depth=1
	v_add_co_u32 v28, s3, v13, s10
	v_add_co_ci_u32_e64 v29, null, s11, v14, s3
	global_load_dword v25, v[28:29], off
	s_or_b32 exec_lo, exec_lo, s25
	s_and_saveexec_b32 s3, s2
	s_cbranch_execz .LBB62_12
.LBB62_16:                              ;   in Loop: Header=BB62_4 Depth=1
	s_waitcnt vmcnt(0)
	v_sub_nc_u32_e32 v28, 0, v27
	v_max_i32_e32 v28, v27, v28
	v_ashrrev_i32_e32 v27, 31, v27
	v_mul_hi_u32 v29, v28, v17
	v_mul_lo_u32 v30, v29, s21
	v_sub_nc_u32_e32 v28, v28, v30
	v_add_nc_u32_e32 v30, 1, v29
	v_subrev_nc_u32_e32 v31, s21, v28
	v_cmp_le_u32_e64 s2, s21, v28
	v_cndmask_b32_e64 v29, v29, v30, s2
	v_cndmask_b32_e64 v28, v28, v31, s2
	v_xor_b32_e32 v31, s23, v27
	v_add_nc_u32_e32 v30, 1, v29
	v_cmp_le_u32_e64 s2, s21, v28
	v_cndmask_b32_e64 v27, v29, v30, s2
	v_xor_b32_e32 v29, v27, v31
	v_add_co_u32 v27, s2, v3, s10
	v_add_co_ci_u32_e64 v28, null, s11, v4, s2
	v_sub_nc_u32_e32 v29, v29, v31
	global_store_dword v[27:28], v29, off
	s_or_b32 exec_lo, exec_lo, s3
	s_and_saveexec_b32 s2, s1
	s_cbranch_execz .LBB62_13
.LBB62_17:                              ;   in Loop: Header=BB62_4 Depth=1
	s_waitcnt vmcnt(0)
	v_sub_nc_u32_e32 v27, 0, v26
	v_max_i32_e32 v27, v26, v27
	v_ashrrev_i32_e32 v26, 31, v26
	v_mul_hi_u32 v28, v27, v17
	v_xor_b32_e32 v26, s23, v26
	v_mul_lo_u32 v29, v28, s21
	v_sub_nc_u32_e32 v27, v27, v29
	v_add_nc_u32_e32 v29, 1, v28
	v_subrev_nc_u32_e32 v30, s21, v27
	v_cmp_le_u32_e64 s1, s21, v27
	v_cndmask_b32_e64 v28, v28, v29, s1
	v_cndmask_b32_e64 v27, v27, v30, s1
	v_add_nc_u32_e32 v29, 1, v28
	v_cmp_le_u32_e64 s1, s21, v27
	v_cndmask_b32_e64 v27, v28, v29, s1
	v_xor_b32_e32 v27, v27, v26
	v_sub_nc_u32_e32 v28, v27, v26
	v_add_co_u32 v26, s1, v22, s10
	v_add_co_ci_u32_e64 v27, null, s11, v23, s1
	global_store_dword v[26:27], v28, off
	s_or_b32 exec_lo, exec_lo, s2
	s_and_saveexec_b32 s1, s0
	s_cbranch_execz .LBB62_14
.LBB62_18:                              ;   in Loop: Header=BB62_4 Depth=1
	s_waitcnt vmcnt(0)
	v_sub_nc_u32_e32 v26, 0, v24
	v_max_i32_e32 v26, v24, v26
	v_ashrrev_i32_e32 v24, 31, v24
	v_mul_hi_u32 v27, v26, v17
	v_xor_b32_e32 v24, s23, v24
	v_mul_lo_u32 v28, v27, s21
	v_sub_nc_u32_e32 v26, v26, v28
	v_add_nc_u32_e32 v28, 1, v27
	v_subrev_nc_u32_e32 v29, s21, v26
	v_cmp_le_u32_e64 s0, s21, v26
	v_cndmask_b32_e64 v27, v27, v28, s0
	v_cndmask_b32_e64 v26, v26, v29, s0
	v_add_nc_u32_e32 v28, 1, v27
	v_cmp_le_u32_e64 s0, s21, v26
	v_cndmask_b32_e64 v26, v27, v28, s0
	v_xor_b32_e32 v26, v26, v24
	v_sub_nc_u32_e32 v24, v26, v24
	v_add_co_u32 v26, s0, v11, s10
	v_add_co_ci_u32_e64 v27, null, s11, v12, s0
	global_store_dword v[26:27], v24, off
	s_or_b32 exec_lo, exec_lo, s1
	s_and_saveexec_b32 s0, vcc_lo
	s_cbranch_execz .LBB62_3
.LBB62_19:                              ;   in Loop: Header=BB62_4 Depth=1
	s_waitcnt vmcnt(0)
	v_sub_nc_u32_e32 v24, 0, v25
	v_max_i32_e32 v24, v25, v24
	v_ashrrev_i32_e32 v25, 31, v25
	v_mul_hi_u32 v26, v24, v17
	v_xor_b32_e32 v25, s23, v25
	v_mul_lo_u32 v27, v26, s21
	v_sub_nc_u32_e32 v24, v24, v27
	v_add_nc_u32_e32 v27, 1, v26
	v_subrev_nc_u32_e32 v28, s21, v24
	v_cmp_le_u32_e32 vcc_lo, s21, v24
	v_cndmask_b32_e32 v26, v26, v27, vcc_lo
	v_cndmask_b32_e32 v24, v24, v28, vcc_lo
	v_add_nc_u32_e32 v27, 1, v26
	v_cmp_le_u32_e32 vcc_lo, s21, v24
	v_cndmask_b32_e32 v24, v26, v27, vcc_lo
	v_xor_b32_e32 v24, v24, v25
	v_sub_nc_u32_e32 v26, v24, v25
	v_add_co_u32 v24, vcc_lo, v15, s10
	v_add_co_ci_u32_e64 v25, null, s11, v16, vcc_lo
	global_store_dword v[24:25], v26, off
	s_branch .LBB62_3
.LBB62_20:
	s_mov_b32 s0, 0
.LBB62_21:
	s_andn2_b32 vcc_lo, exec_lo, s0
	s_cbranch_vccnz .LBB62_25
; %bb.22:
	v_cmp_gt_i64_e64 s0, 0x10000, s[12:13]
	v_mov_b32_e32 v2, 0
	v_lshlrev_b32_e32 v1, 2, v0
	s_mov_b32 s14, 0
	s_and_b32 s0, s0, exec_lo
	s_cselect_b32 s13, s13, 0
	s_cselect_b32 s12, s12, 0x10000
	s_mov_b32 s0, exec_lo
	v_cmpx_gt_i64_e64 s[12:13], v[1:2]
	s_cbranch_execz .LBB62_25
; %bb.23:
	s_waitcnt lgkmcnt(0)
	s_abs_i32 s15, s20
	v_lshlrev_b32_e32 v5, 4, v0
	v_cvt_f32_u32_e32 v1, s15
	s_sub_i32 s0, 0, s15
	v_rcp_iflag_f32_e32 v1, v1
	v_mul_f32_e32 v1, 0x4f7ffffe, v1
	v_cvt_u32_f32_e32 v3, v1
	v_mul_lo_u32 v1, s0, v3
	s_load_dword s0, s[4:5], 0xd54
	v_mul_hi_u32 v4, v3, v1
	v_mov_b32_e32 v1, v2
	v_add_nc_u32_e32 v2, v3, v4
	v_add_co_u32 v3, s1, s10, v5
	v_add_co_ci_u32_e64 v4, null, s11, 0, s1
	s_waitcnt lgkmcnt(0)
	s_and_b32 s5, s0, 0xffff
	s_ashr_i32 s10, s20, 31
	s_lshl_b32 s11, s5, 4
.LBB62_24:                              ; =>This Inner Loop Header: Depth=1
	v_add_co_u32 v5, vcc_lo, s6, v3
	v_add_co_ci_u32_e64 v6, null, s7, v4, vcc_lo
	v_add_co_u32 v0, vcc_lo, v0, s5
	v_add_co_ci_u32_e64 v1, null, 0, v1, vcc_lo
	global_load_dwordx4 v[5:8], v[5:6], off
	v_add_co_u32 v9, vcc_lo, s8, v3
	v_lshlrev_b64 v[11:12], 2, v[0:1]
	v_add_co_ci_u32_e64 v10, null, s9, v4, vcc_lo
	v_add_co_u32 v3, vcc_lo, v3, s11
	v_add_co_ci_u32_e64 v4, null, 0, v4, vcc_lo
	v_cmp_le_i64_e64 s0, s[12:13], v[11:12]
	s_or_b32 s14, s0, s14
	s_waitcnt vmcnt(0)
	v_sub_nc_u32_e32 v12, 0, v5
	v_ashrrev_i32_e32 v11, 31, v5
	v_ashrrev_i32_e32 v13, 31, v6
	v_sub_nc_u32_e32 v14, 0, v6
	v_ashrrev_i32_e32 v15, 31, v7
	v_max_i32_e32 v5, v5, v12
	v_sub_nc_u32_e32 v16, 0, v7
	v_xor_b32_e32 v12, s10, v13
	v_max_i32_e32 v6, v6, v14
	v_xor_b32_e32 v13, s10, v15
	v_mul_hi_u32 v15, v5, v2
	v_ashrrev_i32_e32 v17, 31, v8
	v_sub_nc_u32_e32 v18, 0, v8
	v_max_i32_e32 v7, v7, v16
	v_mul_hi_u32 v16, v6, v2
	v_xor_b32_e32 v11, s10, v11
	v_xor_b32_e32 v14, s10, v17
	v_max_i32_e32 v8, v8, v18
	v_mul_lo_u32 v19, v15, s15
	v_mul_hi_u32 v17, v7, v2
	v_add_nc_u32_e32 v20, 1, v15
	v_mul_lo_u32 v21, v16, s15
	v_mul_hi_u32 v18, v8, v2
	v_add_nc_u32_e32 v24, 1, v16
	v_sub_nc_u32_e32 v5, v5, v19
	v_mul_lo_u32 v22, v17, s15
	v_add_nc_u32_e32 v25, 1, v17
	v_sub_nc_u32_e32 v6, v6, v21
	v_cmp_le_u32_e64 s1, s15, v5
	v_subrev_nc_u32_e32 v19, s15, v5
	v_mul_lo_u32 v23, v18, s15
	v_add_nc_u32_e32 v26, 1, v18
	v_sub_nc_u32_e32 v7, v7, v22
	v_cndmask_b32_e64 v15, v15, v20, s1
	v_cmp_le_u32_e64 s2, s15, v6
	v_subrev_nc_u32_e32 v20, s15, v6
	v_cndmask_b32_e64 v5, v5, v19, s1
	v_cmp_le_u32_e64 s3, s15, v7
	v_sub_nc_u32_e32 v8, v8, v23
	v_cndmask_b32_e64 v16, v16, v24, s2
	v_subrev_nc_u32_e32 v21, s15, v7
	v_add_nc_u32_e32 v19, 1, v15
	v_cndmask_b32_e64 v6, v6, v20, s2
	v_cmp_le_u32_e64 s1, s15, v5
	v_cndmask_b32_e64 v17, v17, v25, s3
	v_cmp_le_u32_e64 s4, s15, v8
	v_subrev_nc_u32_e32 v22, s15, v8
	v_add_nc_u32_e32 v20, 1, v16
	v_cndmask_b32_e64 v7, v7, v21, s3
	v_cndmask_b32_e64 v5, v15, v19, s1
	v_cmp_le_u32_e64 s1, s15, v6
	v_cndmask_b32_e64 v18, v18, v26, s4
	v_add_nc_u32_e32 v21, 1, v17
	v_cndmask_b32_e64 v8, v8, v22, s4
	v_xor_b32_e32 v5, v5, v11
	v_cndmask_b32_e64 v6, v16, v20, s1
	v_cmp_le_u32_e64 s1, s15, v7
	v_add_nc_u32_e32 v22, 1, v18
	v_sub_nc_u32_e32 v5, v5, v11
	v_xor_b32_e32 v6, v6, v12
	v_cndmask_b32_e64 v7, v17, v21, s1
	v_cmp_le_u32_e64 s1, s15, v8
	v_sub_nc_u32_e32 v6, v6, v12
	v_xor_b32_e32 v7, v7, v13
	v_cndmask_b32_e64 v8, v18, v22, s1
	v_sub_nc_u32_e32 v7, v7, v13
	v_xor_b32_e32 v8, v8, v14
	v_sub_nc_u32_e32 v8, v8, v14
	global_store_dwordx4 v[9:10], v[5:8], off
	s_andn2_b32 exec_lo, exec_lo, s14
	s_cbranch_execnz .LBB62_24
.LBB62_25:
	s_endpgm
	.section	.rodata,"a",@progbits
	.p2align	6, 0x0
	.amdhsa_kernel _ZN2at6native12_GLOBAL__N_125multi_tensor_apply_kernelINS1_28TensorListScalarListMetadataIiLi2EEENS1_25BinaryOpScalarListFunctorIiLi2ELi1ELi1EEEJSt7dividesIiEEEEvT_T0_DpT1_
		.amdhsa_group_segment_fixed_size 0
		.amdhsa_private_segment_fixed_size 0
		.amdhsa_kernarg_size 3656
		.amdhsa_user_sgpr_count 6
		.amdhsa_user_sgpr_private_segment_buffer 1
		.amdhsa_user_sgpr_dispatch_ptr 0
		.amdhsa_user_sgpr_queue_ptr 0
		.amdhsa_user_sgpr_kernarg_segment_ptr 1
		.amdhsa_user_sgpr_dispatch_id 0
		.amdhsa_user_sgpr_flat_scratch_init 0
		.amdhsa_user_sgpr_private_segment_size 0
		.amdhsa_wavefront_size32 1
		.amdhsa_uses_dynamic_stack 0
		.amdhsa_system_sgpr_private_segment_wavefront_offset 0
		.amdhsa_system_sgpr_workgroup_id_x 1
		.amdhsa_system_sgpr_workgroup_id_y 0
		.amdhsa_system_sgpr_workgroup_id_z 0
		.amdhsa_system_sgpr_workgroup_info 0
		.amdhsa_system_vgpr_workitem_id 0
		.amdhsa_next_free_vgpr 32
		.amdhsa_next_free_sgpr 26
		.amdhsa_reserve_vcc 1
		.amdhsa_reserve_flat_scratch 0
		.amdhsa_float_round_mode_32 0
		.amdhsa_float_round_mode_16_64 0
		.amdhsa_float_denorm_mode_32 3
		.amdhsa_float_denorm_mode_16_64 3
		.amdhsa_dx10_clamp 1
		.amdhsa_ieee_mode 1
		.amdhsa_fp16_overflow 0
		.amdhsa_workgroup_processor_mode 1
		.amdhsa_memory_ordered 1
		.amdhsa_forward_progress 1
		.amdhsa_shared_vgpr_count 0
		.amdhsa_exception_fp_ieee_invalid_op 0
		.amdhsa_exception_fp_denorm_src 0
		.amdhsa_exception_fp_ieee_div_zero 0
		.amdhsa_exception_fp_ieee_overflow 0
		.amdhsa_exception_fp_ieee_underflow 0
		.amdhsa_exception_fp_ieee_inexact 0
		.amdhsa_exception_int_div_zero 0
	.end_amdhsa_kernel
	.section	.text._ZN2at6native12_GLOBAL__N_125multi_tensor_apply_kernelINS1_28TensorListScalarListMetadataIiLi2EEENS1_25BinaryOpScalarListFunctorIiLi2ELi1ELi1EEEJSt7dividesIiEEEEvT_T0_DpT1_,"axG",@progbits,_ZN2at6native12_GLOBAL__N_125multi_tensor_apply_kernelINS1_28TensorListScalarListMetadataIiLi2EEENS1_25BinaryOpScalarListFunctorIiLi2ELi1ELi1EEEJSt7dividesIiEEEEvT_T0_DpT1_,comdat
.Lfunc_end62:
	.size	_ZN2at6native12_GLOBAL__N_125multi_tensor_apply_kernelINS1_28TensorListScalarListMetadataIiLi2EEENS1_25BinaryOpScalarListFunctorIiLi2ELi1ELi1EEEJSt7dividesIiEEEEvT_T0_DpT1_, .Lfunc_end62-_ZN2at6native12_GLOBAL__N_125multi_tensor_apply_kernelINS1_28TensorListScalarListMetadataIiLi2EEENS1_25BinaryOpScalarListFunctorIiLi2ELi1ELi1EEEJSt7dividesIiEEEEvT_T0_DpT1_
                                        ; -- End function
	.set _ZN2at6native12_GLOBAL__N_125multi_tensor_apply_kernelINS1_28TensorListScalarListMetadataIiLi2EEENS1_25BinaryOpScalarListFunctorIiLi2ELi1ELi1EEEJSt7dividesIiEEEEvT_T0_DpT1_.num_vgpr, 32
	.set _ZN2at6native12_GLOBAL__N_125multi_tensor_apply_kernelINS1_28TensorListScalarListMetadataIiLi2EEENS1_25BinaryOpScalarListFunctorIiLi2ELi1ELi1EEEJSt7dividesIiEEEEvT_T0_DpT1_.num_agpr, 0
	.set _ZN2at6native12_GLOBAL__N_125multi_tensor_apply_kernelINS1_28TensorListScalarListMetadataIiLi2EEENS1_25BinaryOpScalarListFunctorIiLi2ELi1ELi1EEEJSt7dividesIiEEEEvT_T0_DpT1_.numbered_sgpr, 26
	.set _ZN2at6native12_GLOBAL__N_125multi_tensor_apply_kernelINS1_28TensorListScalarListMetadataIiLi2EEENS1_25BinaryOpScalarListFunctorIiLi2ELi1ELi1EEEJSt7dividesIiEEEEvT_T0_DpT1_.num_named_barrier, 0
	.set _ZN2at6native12_GLOBAL__N_125multi_tensor_apply_kernelINS1_28TensorListScalarListMetadataIiLi2EEENS1_25BinaryOpScalarListFunctorIiLi2ELi1ELi1EEEJSt7dividesIiEEEEvT_T0_DpT1_.private_seg_size, 0
	.set _ZN2at6native12_GLOBAL__N_125multi_tensor_apply_kernelINS1_28TensorListScalarListMetadataIiLi2EEENS1_25BinaryOpScalarListFunctorIiLi2ELi1ELi1EEEJSt7dividesIiEEEEvT_T0_DpT1_.uses_vcc, 1
	.set _ZN2at6native12_GLOBAL__N_125multi_tensor_apply_kernelINS1_28TensorListScalarListMetadataIiLi2EEENS1_25BinaryOpScalarListFunctorIiLi2ELi1ELi1EEEJSt7dividesIiEEEEvT_T0_DpT1_.uses_flat_scratch, 0
	.set _ZN2at6native12_GLOBAL__N_125multi_tensor_apply_kernelINS1_28TensorListScalarListMetadataIiLi2EEENS1_25BinaryOpScalarListFunctorIiLi2ELi1ELi1EEEJSt7dividesIiEEEEvT_T0_DpT1_.has_dyn_sized_stack, 0
	.set _ZN2at6native12_GLOBAL__N_125multi_tensor_apply_kernelINS1_28TensorListScalarListMetadataIiLi2EEENS1_25BinaryOpScalarListFunctorIiLi2ELi1ELi1EEEJSt7dividesIiEEEEvT_T0_DpT1_.has_recursion, 0
	.set _ZN2at6native12_GLOBAL__N_125multi_tensor_apply_kernelINS1_28TensorListScalarListMetadataIiLi2EEENS1_25BinaryOpScalarListFunctorIiLi2ELi1ELi1EEEJSt7dividesIiEEEEvT_T0_DpT1_.has_indirect_call, 0
	.section	.AMDGPU.csdata,"",@progbits
; Kernel info:
; codeLenInByte = 2240
; TotalNumSgprs: 28
; NumVgprs: 32
; ScratchSize: 0
; MemoryBound: 0
; FloatMode: 240
; IeeeMode: 1
; LDSByteSize: 0 bytes/workgroup (compile time only)
; SGPRBlocks: 0
; VGPRBlocks: 3
; NumSGPRsForWavesPerEU: 28
; NumVGPRsForWavesPerEU: 32
; Occupancy: 16
; WaveLimiterHint : 0
; COMPUTE_PGM_RSRC2:SCRATCH_EN: 0
; COMPUTE_PGM_RSRC2:USER_SGPR: 6
; COMPUTE_PGM_RSRC2:TRAP_HANDLER: 0
; COMPUTE_PGM_RSRC2:TGID_X_EN: 1
; COMPUTE_PGM_RSRC2:TGID_Y_EN: 0
; COMPUTE_PGM_RSRC2:TGID_Z_EN: 0
; COMPUTE_PGM_RSRC2:TIDIG_COMP_CNT: 0
	.section	.text._ZN2at6native12_GLOBAL__N_125multi_tensor_apply_kernelINS1_28TensorListScalarListMetadataIlLi2EEENS1_25BinaryOpScalarListFunctorIlLi2ELi1ELi1EEEJSt7dividesIlEEEEvT_T0_DpT1_,"axG",@progbits,_ZN2at6native12_GLOBAL__N_125multi_tensor_apply_kernelINS1_28TensorListScalarListMetadataIlLi2EEENS1_25BinaryOpScalarListFunctorIlLi2ELi1ELi1EEEJSt7dividesIlEEEEvT_T0_DpT1_,comdat
	.globl	_ZN2at6native12_GLOBAL__N_125multi_tensor_apply_kernelINS1_28TensorListScalarListMetadataIlLi2EEENS1_25BinaryOpScalarListFunctorIlLi2ELi1ELi1EEEJSt7dividesIlEEEEvT_T0_DpT1_ ; -- Begin function _ZN2at6native12_GLOBAL__N_125multi_tensor_apply_kernelINS1_28TensorListScalarListMetadataIlLi2EEENS1_25BinaryOpScalarListFunctorIlLi2ELi1ELi1EEEJSt7dividesIlEEEEvT_T0_DpT1_
	.p2align	8
	.type	_ZN2at6native12_GLOBAL__N_125multi_tensor_apply_kernelINS1_28TensorListScalarListMetadataIlLi2EEENS1_25BinaryOpScalarListFunctorIlLi2ELi1ELi1EEEJSt7dividesIlEEEEvT_T0_DpT1_,@function
_ZN2at6native12_GLOBAL__N_125multi_tensor_apply_kernelINS1_28TensorListScalarListMetadataIlLi2EEENS1_25BinaryOpScalarListFunctorIlLi2ELi1ELi1EEEJSt7dividesIlEEEEvT_T0_DpT1_: ; @_ZN2at6native12_GLOBAL__N_125multi_tensor_apply_kernelINS1_28TensorListScalarListMetadataIlLi2EEENS1_25BinaryOpScalarListFunctorIlLi2ELi1ELi1EEEJSt7dividesIlEEEEvT_T0_DpT1_
; %bb.0:
	v_mov_b32_e32 v1, 0x800
	s_add_u32 s0, s4, s6
	s_addc_u32 s1, s5, 0
	s_mov_b32 s7, 0
	s_mov_b32 s19, s7
	global_load_ubyte v1, v1, s[0:1]
	s_lshl_b64 s[0:1], s[6:7], 2
	s_add_u32 s0, s4, s0
	s_addc_u32 s1, s5, s1
	s_load_dword s0, s[0:1], 0x940
	s_waitcnt vmcnt(0)
	v_readfirstlane_b32 s1, v1
	s_lshl_b32 s1, s1, 3
	s_clause 0x3
	s_load_dwordx2 s[8:9], s[4:5], s1 offset:0x0
	s_load_dwordx2 s[10:11], s[4:5], s1 offset:0x600
	;; [unrolled: 1-line block ×4, first 2 shown]
	s_waitcnt lgkmcnt(0)
	s_ashr_i32 s1, s0, 31
	s_lshl_b64 s[14:15], s[0:1], 19
	s_lshl_b64 s[0:1], s[0:1], 16
	s_add_u32 s6, s8, s14
	s_and_b32 s18, s12, 31
	s_and_b32 s6, s6, 31
	s_sub_u32 s16, s2, s0
	s_subb_u32 s17, s3, s1
	s_and_b32 s0, s2, 3
	s_mov_b32 s1, s7
	s_or_b64 s[0:1], s[18:19], s[0:1]
	s_or_b64 s[0:1], s[0:1], s[6:7]
	s_cmp_eq_u64 s[0:1], 0
	s_mov_b32 s0, -1
	s_cbranch_scc1 .LBB63_37
; %bb.1:
	v_cmp_lt_i64_e64 s0, s[16:17], 1
	s_and_b32 vcc_lo, exec_lo, s0
	s_cbranch_vccnz .LBB63_36
; %bb.2:
	s_load_dword s0, s[4:5], 0xe54
	v_mov_b32_e32 v1, 0
	v_cmp_gt_i64_e64 s1, 0x10000, s[16:17]
	v_lshlrev_b32_e32 v2, 3, v0
	v_cmp_gt_u64_e64 s2, 0x10000, s[16:17]
	s_mov_b64 s[22:23], 0
	v_mov_b32_e32 v3, v1
	s_and_b32 s1, s1, exec_lo
	s_cselect_b32 s19, s17, 0
	s_cselect_b32 s18, s16, 0x10000
	v_add_co_u32 v13, s3, s8, v2
	v_add_co_ci_u32_e64 v14, null, s9, 0, s3
	v_add_co_u32 v15, s3, s12, v2
	v_add_co_ci_u32_e64 v16, null, s13, 0, s3
	s_waitcnt lgkmcnt(0)
	s_and_b32 s0, s0, 0xffff
	s_and_b32 s1, s2, exec_lo
	v_mad_u64_u32 v[3:4], null, s0, 24, v[2:3]
	s_cselect_b32 s21, s17, 0
	s_cselect_b32 s20, s16, 0x10000
	s_lshl_b32 s3, s0, 4
	s_lshl_b32 s1, s0, 1
	v_add_co_u32 v2, s3, s3, v2
	v_add_co_u32 v17, vcc_lo, s8, v3
	s_mul_i32 s2, s0, 3
	s_lshl_b32 s28, s0, 2
	s_lshl_b32 s29, s0, 5
	v_add_co_ci_u32_e64 v18, null, s9, v4, vcc_lo
	v_add_co_u32 v19, vcc_lo, s12, v3
	v_add_co_ci_u32_e64 v3, null, 0, 0, s3
	v_add_co_u32 v25, s0, v0, s0
	v_add_co_ci_u32_e64 v20, null, s13, v4, vcc_lo
	v_add_co_u32 v23, vcc_lo, s8, v2
	v_add_co_ci_u32_e64 v24, null, s9, v3, vcc_lo
	v_add_co_u32 v26, vcc_lo, s12, v2
	v_lshlrev_b32_e32 v2, 3, v25
	v_add_co_ci_u32_e64 v28, null, 0, 0, s0
	v_add_co_u32 v29, s0, s1, v0
	v_add_co_ci_u32_e64 v30, null, 0, 0, s0
	v_add_co_u32 v31, s0, s8, v2
	v_add_co_u32 v21, s2, s2, v0
	v_add_co_ci_u32_e64 v32, null, s9, 0, s0
	v_add_co_u32 v33, s0, s12, v2
	v_add_co_ci_u32_e64 v22, null, 0, 0, s2
	v_add_co_ci_u32_e64 v27, null, s13, v3, vcc_lo
	v_add_co_ci_u32_e64 v34, null, s13, 0, s0
	s_ashr_i32 s24, s11, 31
	s_sub_i32 s30, 0, s10
	s_branch .LBB63_4
.LBB63_3:                               ;   in Loop: Header=BB63_4 Depth=1
	s_or_b32 exec_lo, exec_lo, s0
	v_add_co_u32 v13, vcc_lo, v13, s29
	v_add_co_ci_u32_e64 v14, null, 0, v14, vcc_lo
	v_add_co_u32 v15, vcc_lo, v15, s29
	v_add_co_ci_u32_e64 v16, null, 0, v16, vcc_lo
	;; [unrolled: 2-line block ×4, first 2 shown]
	v_add_co_u32 v23, vcc_lo, v23, s29
	s_add_u32 s22, s22, s28
	v_add_co_ci_u32_e64 v24, null, 0, v24, vcc_lo
	v_add_co_u32 v26, vcc_lo, v26, s29
	s_addc_u32 s23, s23, 0
	v_add_co_ci_u32_e64 v27, null, 0, v27, vcc_lo
	v_add_co_u32 v31, vcc_lo, v31, s29
	v_cmp_lt_i64_e64 s0, s[22:23], s[18:19]
	v_add_co_ci_u32_e64 v32, null, 0, v32, vcc_lo
	v_add_co_u32 v33, vcc_lo, v33, s29
	v_add_co_ci_u32_e64 v34, null, 0, v34, vcc_lo
	s_and_b32 vcc_lo, exec_lo, s0
	s_cbranch_vccz .LBB63_36
.LBB63_4:                               ; =>This Inner Loop Header: Depth=1
	v_add_co_u32 v2, s0, v0, s22
	v_add_co_ci_u32_e64 v3, null, 0, s23, s0
	v_mov_b32_e32 v9, 0
	v_mov_b32_e32 v10, 0
	v_cmp_gt_u64_e64 s3, s[20:21], v[2:3]
	v_mov_b32_e32 v3, 0
	v_mov_b32_e32 v4, 0
	s_and_saveexec_b32 s0, s3
	s_cbranch_execz .LBB63_6
; %bb.5:                                ;   in Loop: Header=BB63_4 Depth=1
	v_add_co_u32 v2, vcc_lo, v13, s14
	v_add_co_ci_u32_e64 v3, null, s15, v14, vcc_lo
	global_load_dwordx2 v[3:4], v[2:3], off
.LBB63_6:                               ;   in Loop: Header=BB63_4 Depth=1
	s_or_b32 exec_lo, exec_lo, s0
	v_add_co_u32 v5, vcc_lo, v25, s22
	v_add_co_ci_u32_e64 v6, null, s23, v28, vcc_lo
	v_cmp_gt_u64_e64 s0, s[20:21], v[5:6]
	s_and_saveexec_b32 s1, s0
	s_cbranch_execz .LBB63_8
; %bb.7:                                ;   in Loop: Header=BB63_4 Depth=1
	v_add_co_u32 v5, vcc_lo, v31, s14
	v_add_co_ci_u32_e64 v6, null, s15, v32, vcc_lo
	global_load_dwordx2 v[9:10], v[5:6], off
.LBB63_8:                               ;   in Loop: Header=BB63_4 Depth=1
	s_or_b32 exec_lo, exec_lo, s1
	v_add_co_u32 v5, vcc_lo, v29, s22
	v_add_co_ci_u32_e64 v6, null, s23, v30, vcc_lo
	v_mov_b32_e32 v7, 0
	v_mov_b32_e32 v11, 0
	v_mov_b32_e32 v8, 0
	v_cmp_gt_u64_e64 s1, s[20:21], v[5:6]
	v_mov_b32_e32 v12, 0
	s_and_saveexec_b32 s2, s1
	s_cbranch_execz .LBB63_10
; %bb.9:                                ;   in Loop: Header=BB63_4 Depth=1
	v_add_co_u32 v5, vcc_lo, v23, s14
	v_add_co_ci_u32_e64 v6, null, s15, v24, vcc_lo
	global_load_dwordx2 v[11:12], v[5:6], off
.LBB63_10:                              ;   in Loop: Header=BB63_4 Depth=1
	s_or_b32 exec_lo, exec_lo, s2
	v_add_co_u32 v5, vcc_lo, v21, s22
	v_add_co_ci_u32_e64 v6, null, s23, v22, vcc_lo
	v_cmp_gt_u64_e64 s2, s[20:21], v[5:6]
	s_and_saveexec_b32 s6, s2
	s_cbranch_execz .LBB63_12
; %bb.11:                               ;   in Loop: Header=BB63_4 Depth=1
	v_add_co_u32 v5, vcc_lo, v17, s14
	v_add_co_ci_u32_e64 v6, null, s15, v18, vcc_lo
	global_load_dwordx2 v[7:8], v[5:6], off
.LBB63_12:                              ;   in Loop: Header=BB63_4 Depth=1
	s_or_b32 exec_lo, exec_lo, s6
	s_waitcnt vmcnt(0)
	v_or_b32_e32 v2, s11, v10
                                        ; implicit-def: $vgpr5_vgpr6
	s_mov_b32 s6, exec_lo
	v_cmpx_ne_u64_e32 0, v[1:2]
	s_xor_b32 s7, exec_lo, s6
	s_cbranch_execz .LBB63_14
; %bb.13:                               ;   in Loop: Header=BB63_4 Depth=1
	s_add_u32 s26, s10, s24
	s_mov_b32 s25, s24
	s_addc_u32 s27, s11, s24
	v_ashrrev_i32_e32 v37, 31, v10
	s_xor_b64 s[26:27], s[26:27], s[24:25]
	v_cvt_f32_u32_e32 v2, s26
	v_cvt_f32_u32_e32 v5, s27
	s_sub_u32 s6, 0, s26
	s_subb_u32 s33, 0, s27
	v_add_co_u32 v6, vcc_lo, v9, v37
	v_fmac_f32_e32 v2, 0x4f800000, v5
	v_xor_b32_e32 v38, v6, v37
	v_rcp_f32_e32 v2, v2
	v_mul_f32_e32 v2, 0x5f7ffffc, v2
	v_mul_f32_e32 v5, 0x2f800000, v2
	v_trunc_f32_e32 v5, v5
	v_fmac_f32_e32 v2, 0xcf800000, v5
	v_cvt_u32_f32_e32 v5, v5
	v_cvt_u32_f32_e32 v2, v2
	v_readfirstlane_b32 s25, v5
	v_readfirstlane_b32 s31, v2
	s_mul_i32 s34, s6, s25
	v_add_co_ci_u32_e64 v2, null, v10, v37, vcc_lo
	s_mul_hi_u32 s36, s6, s31
	s_mul_i32 s35, s33, s31
	s_add_i32 s34, s36, s34
	s_mul_i32 s37, s6, s31
	s_add_i32 s34, s34, s35
	s_mul_hi_u32 s36, s31, s37
	s_mul_i32 s39, s31, s34
	s_mul_hi_u32 s38, s25, s37
	s_mul_i32 s35, s25, s37
	s_mul_hi_u32 s37, s31, s34
	s_add_u32 s36, s36, s39
	s_addc_u32 s37, 0, s37
	s_mul_hi_u32 s40, s25, s34
	s_add_u32 s35, s36, s35
	s_mul_i32 s34, s25, s34
	s_addc_u32 s35, s37, s38
	s_addc_u32 s36, s40, 0
	s_add_u32 s34, s35, s34
	s_addc_u32 s35, 0, s36
	s_add_u32 s31, s31, s34
	s_cselect_b32 s34, -1, 0
	s_mul_hi_u32 s36, s6, s31
	s_cmp_lg_u32 s34, 0
	s_mul_i32 s34, s6, s31
	s_addc_u32 s25, s25, s35
	s_mul_i32 s33, s33, s31
	s_mul_i32 s6, s6, s25
	s_mul_hi_u32 s35, s31, s34
	s_add_i32 s6, s36, s6
	s_mul_hi_u32 s36, s25, s34
	s_add_i32 s6, s6, s33
	s_mul_i32 s33, s25, s34
	s_mul_i32 s38, s31, s6
	s_mul_hi_u32 s37, s31, s6
	s_add_u32 s35, s35, s38
	s_addc_u32 s37, 0, s37
	s_mul_hi_u32 s34, s25, s6
	s_add_u32 s33, s35, s33
	s_mul_i32 s6, s25, s6
	s_addc_u32 s33, s37, s36
	s_addc_u32 s34, s34, 0
	s_add_u32 s6, s33, s6
	s_addc_u32 s33, 0, s34
	s_add_u32 s6, s31, s6
	s_cselect_b32 s31, -1, 0
	v_xor_b32_e32 v2, v2, v37
	s_cmp_lg_u32 s31, 0
	v_mul_hi_u32 v39, v38, s6
	s_addc_u32 s25, s25, s33
	v_mad_u64_u32 v[5:6], null, v38, s25, 0
	v_mad_u64_u32 v[9:10], null, v2, s6, 0
	;; [unrolled: 1-line block ×3, first 2 shown]
	v_add_co_u32 v5, vcc_lo, v39, v5
	v_add_co_ci_u32_e64 v6, null, 0, v6, vcc_lo
	v_add_co_u32 v5, vcc_lo, v5, v9
	v_add_co_ci_u32_e32 v5, vcc_lo, v6, v10, vcc_lo
	v_add_co_ci_u32_e32 v6, vcc_lo, 0, v36, vcc_lo
	v_add_co_u32 v9, vcc_lo, v5, v35
	v_add_co_ci_u32_e64 v10, null, 0, v6, vcc_lo
	v_mul_lo_u32 v35, s27, v9
	v_mad_u64_u32 v[5:6], null, s26, v9, 0
	v_mul_lo_u32 v36, s26, v10
	v_sub_co_u32 v5, vcc_lo, v38, v5
	v_add3_u32 v6, v6, v36, v35
	v_add_co_u32 v36, s6, v9, 2
	v_add_co_ci_u32_e64 v38, null, 0, v10, s6
	v_sub_nc_u32_e32 v35, v2, v6
	v_sub_co_u32 v39, s6, v5, s26
	v_sub_co_ci_u32_e64 v2, null, v2, v6, vcc_lo
	v_subrev_co_ci_u32_e64 v35, null, s27, v35, vcc_lo
	v_cmp_le_u32_e32 vcc_lo, s26, v39
	v_subrev_co_ci_u32_e64 v35, null, 0, v35, s6
	v_cndmask_b32_e64 v6, 0, -1, vcc_lo
	v_cmp_le_u32_e32 vcc_lo, s27, v35
	v_cndmask_b32_e64 v39, 0, -1, vcc_lo
	v_cmp_le_u32_e32 vcc_lo, s26, v5
	;; [unrolled: 2-line block ×3, first 2 shown]
	v_cndmask_b32_e64 v40, 0, -1, vcc_lo
	v_cmp_eq_u32_e32 vcc_lo, s27, v35
	v_cndmask_b32_e32 v6, v39, v6, vcc_lo
	v_add_co_u32 v35, vcc_lo, v9, 1
	v_add_co_ci_u32_e64 v39, null, 0, v10, vcc_lo
	v_cmp_eq_u32_e32 vcc_lo, s27, v2
	v_cndmask_b32_e32 v2, v40, v5, vcc_lo
	v_cmp_ne_u32_e32 vcc_lo, 0, v6
	v_xor_b32_e32 v6, s24, v37
	v_cmp_ne_u32_e64 s6, 0, v2
	v_cndmask_b32_e32 v2, v35, v36, vcc_lo
	v_cndmask_b32_e32 v5, v39, v38, vcc_lo
	v_cndmask_b32_e64 v2, v9, v2, s6
	v_cndmask_b32_e64 v5, v10, v5, s6
	v_xor_b32_e32 v2, v2, v6
	v_xor_b32_e32 v9, v5, v6
	v_sub_co_u32 v5, vcc_lo, v2, v6
	v_sub_co_ci_u32_e64 v6, null, v9, v6, vcc_lo
                                        ; implicit-def: $vgpr9_vgpr10
.LBB63_14:                              ;   in Loop: Header=BB63_4 Depth=1
	s_andn2_saveexec_b32 s6, s7
	s_cbranch_execz .LBB63_16
; %bb.15:                               ;   in Loop: Header=BB63_4 Depth=1
	v_cvt_f32_u32_e32 v2, s10
	v_rcp_iflag_f32_e32 v2, v2
	v_mul_f32_e32 v2, 0x4f7ffffe, v2
	v_cvt_u32_f32_e32 v2, v2
	v_mul_lo_u32 v5, s30, v2
	v_mul_hi_u32 v5, v2, v5
	v_add_nc_u32_e32 v2, v2, v5
	v_mul_hi_u32 v2, v9, v2
	v_mul_lo_u32 v5, v2, s10
	v_add_nc_u32_e32 v6, 1, v2
	v_sub_nc_u32_e32 v5, v9, v5
	v_subrev_nc_u32_e32 v9, s10, v5
	v_cmp_le_u32_e32 vcc_lo, s10, v5
	v_cndmask_b32_e32 v5, v5, v9, vcc_lo
	v_cndmask_b32_e32 v2, v2, v6, vcc_lo
	v_cmp_le_u32_e32 vcc_lo, s10, v5
	v_add_nc_u32_e32 v6, 1, v2
	v_cndmask_b32_e32 v5, v2, v6, vcc_lo
	v_mov_b32_e32 v6, v1
.LBB63_16:                              ;   in Loop: Header=BB63_4 Depth=1
	s_or_b32 exec_lo, exec_lo, s6
	v_or_b32_e32 v2, s11, v12
                                        ; implicit-def: $vgpr9_vgpr10
	s_mov_b32 s6, exec_lo
	v_cmpx_ne_u64_e32 0, v[1:2]
	s_xor_b32 s7, exec_lo, s6
	s_cbranch_execz .LBB63_18
; %bb.17:                               ;   in Loop: Header=BB63_4 Depth=1
	s_add_u32 s26, s10, s24
	s_mov_b32 s25, s24
	s_addc_u32 s27, s11, s24
	v_ashrrev_i32_e32 v37, 31, v12
	s_xor_b64 s[26:27], s[26:27], s[24:25]
	v_cvt_f32_u32_e32 v2, s26
	v_cvt_f32_u32_e32 v9, s27
	s_sub_u32 s6, 0, s26
	s_subb_u32 s33, 0, s27
	v_add_co_u32 v10, vcc_lo, v11, v37
	v_fmac_f32_e32 v2, 0x4f800000, v9
	v_xor_b32_e32 v38, v10, v37
	v_rcp_f32_e32 v2, v2
	v_mul_f32_e32 v2, 0x5f7ffffc, v2
	v_mul_f32_e32 v9, 0x2f800000, v2
	v_trunc_f32_e32 v9, v9
	v_fmac_f32_e32 v2, 0xcf800000, v9
	v_cvt_u32_f32_e32 v9, v9
	v_cvt_u32_f32_e32 v2, v2
	v_readfirstlane_b32 s25, v9
	v_readfirstlane_b32 s31, v2
	s_mul_i32 s34, s6, s25
	v_add_co_ci_u32_e64 v2, null, v12, v37, vcc_lo
	s_mul_hi_u32 s36, s6, s31
	s_mul_i32 s35, s33, s31
	s_add_i32 s34, s36, s34
	s_mul_i32 s37, s6, s31
	s_add_i32 s34, s34, s35
	s_mul_hi_u32 s36, s31, s37
	s_mul_i32 s39, s31, s34
	s_mul_hi_u32 s38, s25, s37
	s_mul_i32 s35, s25, s37
	s_mul_hi_u32 s37, s31, s34
	s_add_u32 s36, s36, s39
	s_addc_u32 s37, 0, s37
	s_mul_hi_u32 s40, s25, s34
	s_add_u32 s35, s36, s35
	s_mul_i32 s34, s25, s34
	s_addc_u32 s35, s37, s38
	s_addc_u32 s36, s40, 0
	s_add_u32 s34, s35, s34
	s_addc_u32 s35, 0, s36
	s_add_u32 s31, s31, s34
	s_cselect_b32 s34, -1, 0
	s_mul_hi_u32 s36, s6, s31
	s_cmp_lg_u32 s34, 0
	s_mul_i32 s34, s6, s31
	s_addc_u32 s25, s25, s35
	s_mul_i32 s33, s33, s31
	s_mul_i32 s6, s6, s25
	s_mul_hi_u32 s35, s31, s34
	s_add_i32 s6, s36, s6
	s_mul_hi_u32 s36, s25, s34
	s_add_i32 s6, s6, s33
	s_mul_i32 s33, s25, s34
	s_mul_i32 s38, s31, s6
	s_mul_hi_u32 s37, s31, s6
	s_add_u32 s35, s35, s38
	s_addc_u32 s37, 0, s37
	s_mul_hi_u32 s34, s25, s6
	s_add_u32 s33, s35, s33
	s_mul_i32 s6, s25, s6
	s_addc_u32 s33, s37, s36
	s_addc_u32 s34, s34, 0
	s_add_u32 s6, s33, s6
	s_addc_u32 s33, 0, s34
	s_add_u32 s6, s31, s6
	s_cselect_b32 s31, -1, 0
	v_xor_b32_e32 v2, v2, v37
	s_cmp_lg_u32 s31, 0
	v_mul_hi_u32 v39, v38, s6
	s_addc_u32 s25, s25, s33
	v_mad_u64_u32 v[9:10], null, v38, s25, 0
	v_mad_u64_u32 v[11:12], null, v2, s6, 0
	v_mad_u64_u32 v[35:36], null, v2, s25, 0
	v_add_co_u32 v9, vcc_lo, v39, v9
	v_add_co_ci_u32_e64 v10, null, 0, v10, vcc_lo
	v_add_co_u32 v9, vcc_lo, v9, v11
	v_add_co_ci_u32_e32 v9, vcc_lo, v10, v12, vcc_lo
	v_add_co_ci_u32_e32 v10, vcc_lo, 0, v36, vcc_lo
	v_add_co_u32 v11, vcc_lo, v9, v35
	v_add_co_ci_u32_e64 v12, null, 0, v10, vcc_lo
	v_mul_lo_u32 v35, s27, v11
	v_mad_u64_u32 v[9:10], null, s26, v11, 0
	v_mul_lo_u32 v36, s26, v12
	v_sub_co_u32 v9, vcc_lo, v38, v9
	v_add3_u32 v10, v10, v36, v35
	v_add_co_u32 v36, s6, v11, 2
	v_add_co_ci_u32_e64 v38, null, 0, v12, s6
	v_sub_nc_u32_e32 v35, v2, v10
	v_sub_co_u32 v39, s6, v9, s26
	v_sub_co_ci_u32_e64 v2, null, v2, v10, vcc_lo
	v_subrev_co_ci_u32_e64 v35, null, s27, v35, vcc_lo
	v_cmp_le_u32_e32 vcc_lo, s26, v39
	v_subrev_co_ci_u32_e64 v35, null, 0, v35, s6
	v_cndmask_b32_e64 v10, 0, -1, vcc_lo
	v_cmp_le_u32_e32 vcc_lo, s27, v35
	v_cndmask_b32_e64 v39, 0, -1, vcc_lo
	v_cmp_le_u32_e32 vcc_lo, s26, v9
	;; [unrolled: 2-line block ×3, first 2 shown]
	v_cndmask_b32_e64 v40, 0, -1, vcc_lo
	v_cmp_eq_u32_e32 vcc_lo, s27, v35
	v_cndmask_b32_e32 v10, v39, v10, vcc_lo
	v_add_co_u32 v35, vcc_lo, v11, 1
	v_add_co_ci_u32_e64 v39, null, 0, v12, vcc_lo
	v_cmp_eq_u32_e32 vcc_lo, s27, v2
	v_cndmask_b32_e32 v2, v40, v9, vcc_lo
	v_cmp_ne_u32_e32 vcc_lo, 0, v10
	v_xor_b32_e32 v10, s24, v37
	v_cmp_ne_u32_e64 s6, 0, v2
	v_cndmask_b32_e32 v2, v35, v36, vcc_lo
	v_cndmask_b32_e32 v9, v39, v38, vcc_lo
	v_cndmask_b32_e64 v2, v11, v2, s6
	v_cndmask_b32_e64 v9, v12, v9, s6
	v_xor_b32_e32 v2, v2, v10
	v_xor_b32_e32 v11, v9, v10
	v_sub_co_u32 v9, vcc_lo, v2, v10
	v_sub_co_ci_u32_e64 v10, null, v11, v10, vcc_lo
                                        ; implicit-def: $vgpr11_vgpr12
.LBB63_18:                              ;   in Loop: Header=BB63_4 Depth=1
	s_andn2_saveexec_b32 s6, s7
	s_cbranch_execz .LBB63_20
; %bb.19:                               ;   in Loop: Header=BB63_4 Depth=1
	v_cvt_f32_u32_e32 v2, s10
	v_rcp_iflag_f32_e32 v2, v2
	v_mul_f32_e32 v2, 0x4f7ffffe, v2
	v_cvt_u32_f32_e32 v2, v2
	v_mul_lo_u32 v9, s30, v2
	v_mul_hi_u32 v9, v2, v9
	v_add_nc_u32_e32 v2, v2, v9
	v_mul_hi_u32 v2, v11, v2
	v_mul_lo_u32 v9, v2, s10
	v_add_nc_u32_e32 v10, 1, v2
	v_sub_nc_u32_e32 v9, v11, v9
	v_subrev_nc_u32_e32 v11, s10, v9
	v_cmp_le_u32_e32 vcc_lo, s10, v9
	v_cndmask_b32_e32 v9, v9, v11, vcc_lo
	v_cndmask_b32_e32 v2, v2, v10, vcc_lo
	v_cmp_le_u32_e32 vcc_lo, s10, v9
	v_add_nc_u32_e32 v10, 1, v2
	v_cndmask_b32_e32 v9, v2, v10, vcc_lo
	v_mov_b32_e32 v10, v1
.LBB63_20:                              ;   in Loop: Header=BB63_4 Depth=1
	s_or_b32 exec_lo, exec_lo, s6
	v_or_b32_e32 v2, s11, v8
                                        ; implicit-def: $vgpr11_vgpr12
	s_mov_b32 s6, exec_lo
	v_cmpx_ne_u64_e32 0, v[1:2]
	s_xor_b32 s7, exec_lo, s6
	s_cbranch_execnz .LBB63_26
; %bb.21:                               ;   in Loop: Header=BB63_4 Depth=1
	s_andn2_saveexec_b32 s6, s7
	s_cbranch_execnz .LBB63_27
.LBB63_22:                              ;   in Loop: Header=BB63_4 Depth=1
	s_or_b32 exec_lo, exec_lo, s6
	s_and_saveexec_b32 s26, s3
	s_cbranch_execnz .LBB63_28
.LBB63_23:                              ;   in Loop: Header=BB63_4 Depth=1
	s_or_b32 exec_lo, exec_lo, s26
	s_and_saveexec_b32 s3, s0
	s_cbranch_execnz .LBB63_33
.LBB63_24:                              ;   in Loop: Header=BB63_4 Depth=1
	s_or_b32 exec_lo, exec_lo, s3
	s_and_saveexec_b32 s0, s1
	s_cbranch_execnz .LBB63_34
.LBB63_25:                              ;   in Loop: Header=BB63_4 Depth=1
	s_or_b32 exec_lo, exec_lo, s0
	s_and_saveexec_b32 s0, s2
	s_cbranch_execz .LBB63_3
	s_branch .LBB63_35
.LBB63_26:                              ;   in Loop: Header=BB63_4 Depth=1
	s_add_u32 s26, s10, s24
	s_mov_b32 s25, s24
	s_addc_u32 s27, s11, s24
	v_ashrrev_i32_e32 v37, 31, v8
	s_xor_b64 s[26:27], s[26:27], s[24:25]
	v_cvt_f32_u32_e32 v2, s26
	v_cvt_f32_u32_e32 v11, s27
	s_sub_u32 s6, 0, s26
	s_subb_u32 s33, 0, s27
	v_add_co_u32 v7, vcc_lo, v7, v37
	v_fmac_f32_e32 v2, 0x4f800000, v11
	v_xor_b32_e32 v38, v7, v37
	v_rcp_f32_e32 v2, v2
	v_mul_f32_e32 v2, 0x5f7ffffc, v2
	v_mul_f32_e32 v11, 0x2f800000, v2
	v_trunc_f32_e32 v11, v11
	v_fmac_f32_e32 v2, 0xcf800000, v11
	v_cvt_u32_f32_e32 v11, v11
	v_cvt_u32_f32_e32 v2, v2
	v_readfirstlane_b32 s25, v11
	v_readfirstlane_b32 s31, v2
	s_mul_i32 s34, s6, s25
	v_add_co_ci_u32_e64 v2, null, v8, v37, vcc_lo
	s_mul_hi_u32 s36, s6, s31
	s_mul_i32 s35, s33, s31
	s_add_i32 s34, s36, s34
	s_mul_i32 s37, s6, s31
	s_add_i32 s34, s34, s35
	s_mul_hi_u32 s36, s31, s37
	s_mul_i32 s39, s31, s34
	s_mul_hi_u32 s38, s25, s37
	s_mul_i32 s35, s25, s37
	s_mul_hi_u32 s37, s31, s34
	s_add_u32 s36, s36, s39
	s_addc_u32 s37, 0, s37
	s_mul_hi_u32 s40, s25, s34
	s_add_u32 s35, s36, s35
	s_mul_i32 s34, s25, s34
	s_addc_u32 s35, s37, s38
	s_addc_u32 s36, s40, 0
	s_add_u32 s34, s35, s34
	s_addc_u32 s35, 0, s36
	s_add_u32 s31, s31, s34
	s_cselect_b32 s34, -1, 0
	s_mul_hi_u32 s36, s6, s31
	s_cmp_lg_u32 s34, 0
	s_mul_i32 s34, s6, s31
	s_addc_u32 s25, s25, s35
	s_mul_i32 s33, s33, s31
	s_mul_i32 s6, s6, s25
	s_mul_hi_u32 s35, s31, s34
	s_add_i32 s6, s36, s6
	s_mul_hi_u32 s36, s25, s34
	s_add_i32 s6, s6, s33
	s_mul_i32 s33, s25, s34
	s_mul_i32 s38, s31, s6
	s_mul_hi_u32 s37, s31, s6
	s_add_u32 s35, s35, s38
	s_addc_u32 s37, 0, s37
	s_mul_hi_u32 s34, s25, s6
	s_add_u32 s33, s35, s33
	s_mul_i32 s6, s25, s6
	s_addc_u32 s33, s37, s36
	s_addc_u32 s34, s34, 0
	s_add_u32 s6, s33, s6
	s_addc_u32 s33, 0, s34
	s_add_u32 s6, s31, s6
	s_cselect_b32 s31, -1, 0
	v_xor_b32_e32 v2, v2, v37
	s_cmp_lg_u32 s31, 0
	v_mul_hi_u32 v39, v38, s6
	s_addc_u32 s25, s25, s33
	v_mad_u64_u32 v[7:8], null, v38, s25, 0
	v_mad_u64_u32 v[11:12], null, v2, s6, 0
	;; [unrolled: 1-line block ×3, first 2 shown]
	v_add_co_u32 v7, vcc_lo, v39, v7
	v_add_co_ci_u32_e64 v8, null, 0, v8, vcc_lo
	v_add_co_u32 v7, vcc_lo, v7, v11
	v_add_co_ci_u32_e32 v7, vcc_lo, v8, v12, vcc_lo
	v_add_co_ci_u32_e32 v8, vcc_lo, 0, v36, vcc_lo
	v_add_co_u32 v11, vcc_lo, v7, v35
	v_add_co_ci_u32_e64 v12, null, 0, v8, vcc_lo
	v_mul_lo_u32 v35, s27, v11
	v_mad_u64_u32 v[7:8], null, s26, v11, 0
	v_mul_lo_u32 v36, s26, v12
	v_sub_co_u32 v7, vcc_lo, v38, v7
	v_add3_u32 v8, v8, v36, v35
	v_add_co_u32 v36, s6, v11, 2
	v_add_co_ci_u32_e64 v38, null, 0, v12, s6
	v_sub_nc_u32_e32 v35, v2, v8
	v_sub_co_u32 v39, s6, v7, s26
	v_sub_co_ci_u32_e64 v2, null, v2, v8, vcc_lo
	v_subrev_co_ci_u32_e64 v35, null, s27, v35, vcc_lo
	v_cmp_le_u32_e32 vcc_lo, s26, v39
	v_subrev_co_ci_u32_e64 v35, null, 0, v35, s6
	v_cndmask_b32_e64 v8, 0, -1, vcc_lo
	v_cmp_le_u32_e32 vcc_lo, s27, v35
	v_cndmask_b32_e64 v39, 0, -1, vcc_lo
	v_cmp_le_u32_e32 vcc_lo, s26, v7
	;; [unrolled: 2-line block ×3, first 2 shown]
	v_cndmask_b32_e64 v40, 0, -1, vcc_lo
	v_cmp_eq_u32_e32 vcc_lo, s27, v35
	v_cndmask_b32_e32 v8, v39, v8, vcc_lo
	v_add_co_u32 v35, vcc_lo, v11, 1
	v_add_co_ci_u32_e64 v39, null, 0, v12, vcc_lo
	v_cmp_eq_u32_e32 vcc_lo, s27, v2
	v_cndmask_b32_e32 v2, v40, v7, vcc_lo
	v_cmp_ne_u32_e32 vcc_lo, 0, v8
	v_xor_b32_e32 v8, s24, v37
	v_cmp_ne_u32_e64 s6, 0, v2
	v_cndmask_b32_e32 v2, v35, v36, vcc_lo
	v_cndmask_b32_e32 v7, v39, v38, vcc_lo
	v_cndmask_b32_e64 v2, v11, v2, s6
	v_cndmask_b32_e64 v7, v12, v7, s6
	v_xor_b32_e32 v2, v2, v8
	v_xor_b32_e32 v7, v7, v8
	v_sub_co_u32 v11, vcc_lo, v2, v8
	v_sub_co_ci_u32_e64 v12, null, v7, v8, vcc_lo
                                        ; implicit-def: $vgpr7_vgpr8
	s_andn2_saveexec_b32 s6, s7
	s_cbranch_execz .LBB63_22
.LBB63_27:                              ;   in Loop: Header=BB63_4 Depth=1
	v_cvt_f32_u32_e32 v2, s10
	v_mov_b32_e32 v12, v1
	v_rcp_iflag_f32_e32 v2, v2
	v_mul_f32_e32 v2, 0x4f7ffffe, v2
	v_cvt_u32_f32_e32 v2, v2
	v_mul_lo_u32 v8, s30, v2
	v_mul_hi_u32 v8, v2, v8
	v_add_nc_u32_e32 v2, v2, v8
	v_mul_hi_u32 v2, v7, v2
	v_mul_lo_u32 v8, v2, s10
	v_sub_nc_u32_e32 v7, v7, v8
	v_add_nc_u32_e32 v8, 1, v2
	v_subrev_nc_u32_e32 v11, s10, v7
	v_cmp_le_u32_e32 vcc_lo, s10, v7
	v_cndmask_b32_e32 v7, v7, v11, vcc_lo
	v_cndmask_b32_e32 v2, v2, v8, vcc_lo
	v_cmp_le_u32_e32 vcc_lo, s10, v7
	v_add_nc_u32_e32 v8, 1, v2
	v_cndmask_b32_e32 v11, v2, v8, vcc_lo
	s_or_b32 exec_lo, exec_lo, s6
	s_and_saveexec_b32 s26, s3
	s_cbranch_execz .LBB63_23
.LBB63_28:                              ;   in Loop: Header=BB63_4 Depth=1
	v_or_b32_e32 v2, s11, v4
                                        ; implicit-def: $vgpr7_vgpr8
	s_mov_b32 s3, exec_lo
	v_cmpx_ne_u64_e32 0, v[1:2]
	s_xor_b32 s27, exec_lo, s3
	s_cbranch_execz .LBB63_30
; %bb.29:                               ;   in Loop: Header=BB63_4 Depth=1
	s_add_u32 s6, s10, s24
	s_mov_b32 s25, s24
	s_addc_u32 s7, s11, s24
	v_ashrrev_i32_e32 v37, 31, v4
	s_xor_b64 s[6:7], s[6:7], s[24:25]
	v_cvt_f32_u32_e32 v2, s6
	v_cvt_f32_u32_e32 v7, s7
	s_sub_u32 s3, 0, s6
	s_subb_u32 s33, 0, s7
	v_add_co_u32 v3, vcc_lo, v3, v37
	v_fmac_f32_e32 v2, 0x4f800000, v7
	v_rcp_f32_e32 v2, v2
	v_mul_f32_e32 v2, 0x5f7ffffc, v2
	v_mul_f32_e32 v7, 0x2f800000, v2
	v_trunc_f32_e32 v7, v7
	v_fmac_f32_e32 v2, 0xcf800000, v7
	v_cvt_u32_f32_e32 v7, v7
	v_cvt_u32_f32_e32 v2, v2
	v_readfirstlane_b32 s25, v7
	v_readfirstlane_b32 s31, v2
	s_mul_i32 s34, s3, s25
	v_add_co_ci_u32_e64 v2, null, v4, v37, vcc_lo
	v_xor_b32_e32 v4, v3, v37
	s_mul_hi_u32 s36, s3, s31
	s_mul_i32 s35, s33, s31
	s_add_i32 s34, s36, s34
	s_mul_i32 s37, s3, s31
	s_add_i32 s34, s34, s35
	s_mul_hi_u32 s36, s31, s37
	s_mul_i32 s39, s31, s34
	s_mul_hi_u32 s38, s25, s37
	s_mul_i32 s35, s25, s37
	s_mul_hi_u32 s37, s31, s34
	s_add_u32 s36, s36, s39
	s_addc_u32 s37, 0, s37
	s_mul_hi_u32 s40, s25, s34
	s_add_u32 s35, s36, s35
	s_mul_i32 s34, s25, s34
	s_addc_u32 s35, s37, s38
	s_addc_u32 s36, s40, 0
	s_add_u32 s34, s35, s34
	s_addc_u32 s35, 0, s36
	s_add_u32 s31, s31, s34
	s_cselect_b32 s34, -1, 0
	s_mul_hi_u32 s36, s3, s31
	s_cmp_lg_u32 s34, 0
	s_mul_i32 s34, s3, s31
	s_addc_u32 s25, s25, s35
	s_mul_i32 s33, s33, s31
	s_mul_i32 s3, s3, s25
	s_mul_hi_u32 s35, s31, s34
	s_add_i32 s3, s36, s3
	s_mul_hi_u32 s36, s25, s34
	s_add_i32 s3, s3, s33
	s_mul_i32 s33, s25, s34
	s_mul_i32 s38, s31, s3
	s_mul_hi_u32 s37, s31, s3
	s_add_u32 s35, s35, s38
	s_addc_u32 s37, 0, s37
	s_mul_hi_u32 s34, s25, s3
	s_add_u32 s33, s35, s33
	s_mul_i32 s3, s25, s3
	s_addc_u32 s33, s37, s36
	s_addc_u32 s34, s34, 0
	s_add_u32 s3, s33, s3
	s_addc_u32 s33, 0, s34
	s_add_u32 s3, s31, s3
	s_cselect_b32 s31, -1, 0
	v_xor_b32_e32 v38, v2, v37
	s_cmp_lg_u32 s31, 0
	v_mul_hi_u32 v39, v4, s3
	s_addc_u32 s25, s25, s33
	v_mad_u64_u32 v[2:3], null, v4, s25, 0
	v_mad_u64_u32 v[7:8], null, v38, s3, 0
	;; [unrolled: 1-line block ×3, first 2 shown]
	v_add_co_u32 v2, vcc_lo, v39, v2
	v_add_co_ci_u32_e64 v3, null, 0, v3, vcc_lo
	v_add_co_u32 v2, vcc_lo, v2, v7
	v_add_co_ci_u32_e32 v2, vcc_lo, v3, v8, vcc_lo
	v_add_co_ci_u32_e32 v3, vcc_lo, 0, v36, vcc_lo
	v_add_co_u32 v7, vcc_lo, v2, v35
	v_add_co_ci_u32_e64 v8, null, 0, v3, vcc_lo
	v_mul_lo_u32 v35, s7, v7
	v_mad_u64_u32 v[2:3], null, s6, v7, 0
	v_mul_lo_u32 v36, s6, v8
	v_sub_co_u32 v2, vcc_lo, v4, v2
	v_add3_u32 v3, v3, v36, v35
	v_sub_nc_u32_e32 v35, v38, v3
	v_sub_co_ci_u32_e64 v3, null, v38, v3, vcc_lo
	v_subrev_co_ci_u32_e64 v4, null, s7, v35, vcc_lo
	v_add_co_u32 v35, s3, v7, 2
	v_add_co_ci_u32_e64 v36, null, 0, v8, s3
	v_sub_co_u32 v39, s3, v2, s6
	v_subrev_co_ci_u32_e64 v4, null, 0, v4, s3
	v_cmp_le_u32_e32 vcc_lo, s6, v39
	v_cndmask_b32_e64 v38, 0, -1, vcc_lo
	v_cmp_le_u32_e32 vcc_lo, s7, v4
	v_cndmask_b32_e64 v39, 0, -1, vcc_lo
	;; [unrolled: 2-line block ×4, first 2 shown]
	v_cmp_eq_u32_e32 vcc_lo, s7, v4
	v_cndmask_b32_e32 v4, v39, v38, vcc_lo
	v_add_co_u32 v38, vcc_lo, v7, 1
	v_add_co_ci_u32_e64 v39, null, 0, v8, vcc_lo
	v_cmp_eq_u32_e32 vcc_lo, s7, v3
	v_cndmask_b32_e32 v2, v40, v2, vcc_lo
	v_cmp_ne_u32_e32 vcc_lo, 0, v4
	v_xor_b32_e32 v4, s24, v37
	v_cmp_ne_u32_e64 s3, 0, v2
	v_cndmask_b32_e32 v2, v38, v35, vcc_lo
	v_cndmask_b32_e32 v3, v39, v36, vcc_lo
	v_cndmask_b32_e64 v2, v7, v2, s3
	v_cndmask_b32_e64 v3, v8, v3, s3
	v_xor_b32_e32 v2, v2, v4
	v_xor_b32_e32 v3, v3, v4
	v_sub_co_u32 v7, vcc_lo, v2, v4
	v_sub_co_ci_u32_e64 v8, null, v3, v4, vcc_lo
                                        ; implicit-def: $vgpr3_vgpr4
.LBB63_30:                              ;   in Loop: Header=BB63_4 Depth=1
	s_andn2_saveexec_b32 s3, s27
	s_cbranch_execz .LBB63_32
; %bb.31:                               ;   in Loop: Header=BB63_4 Depth=1
	v_cvt_f32_u32_e32 v2, s10
	v_mov_b32_e32 v8, v1
	v_rcp_iflag_f32_e32 v2, v2
	v_mul_f32_e32 v2, 0x4f7ffffe, v2
	v_cvt_u32_f32_e32 v2, v2
	v_mul_lo_u32 v4, s30, v2
	v_mul_hi_u32 v4, v2, v4
	v_add_nc_u32_e32 v2, v2, v4
	v_mul_hi_u32 v2, v3, v2
	v_mul_lo_u32 v4, v2, s10
	v_sub_nc_u32_e32 v3, v3, v4
	v_add_nc_u32_e32 v4, 1, v2
	v_subrev_nc_u32_e32 v7, s10, v3
	v_cmp_le_u32_e32 vcc_lo, s10, v3
	v_cndmask_b32_e32 v3, v3, v7, vcc_lo
	v_cndmask_b32_e32 v2, v2, v4, vcc_lo
	v_cmp_le_u32_e32 vcc_lo, s10, v3
	v_add_nc_u32_e32 v4, 1, v2
	v_cndmask_b32_e32 v7, v2, v4, vcc_lo
.LBB63_32:                              ;   in Loop: Header=BB63_4 Depth=1
	s_or_b32 exec_lo, exec_lo, s3
	v_add_co_u32 v2, vcc_lo, v15, s14
	v_add_co_ci_u32_e64 v3, null, s15, v16, vcc_lo
	global_store_dwordx2 v[2:3], v[7:8], off
	s_or_b32 exec_lo, exec_lo, s26
	s_and_saveexec_b32 s3, s0
	s_cbranch_execz .LBB63_24
.LBB63_33:                              ;   in Loop: Header=BB63_4 Depth=1
	v_add_co_u32 v2, vcc_lo, v33, s14
	v_add_co_ci_u32_e64 v3, null, s15, v34, vcc_lo
	global_store_dwordx2 v[2:3], v[5:6], off
	s_or_b32 exec_lo, exec_lo, s3
	s_and_saveexec_b32 s0, s1
	s_cbranch_execz .LBB63_25
.LBB63_34:                              ;   in Loop: Header=BB63_4 Depth=1
	v_add_co_u32 v2, vcc_lo, v26, s14
	v_add_co_ci_u32_e64 v3, null, s15, v27, vcc_lo
	global_store_dwordx2 v[2:3], v[9:10], off
	s_or_b32 exec_lo, exec_lo, s0
	s_and_saveexec_b32 s0, s2
	s_cbranch_execz .LBB63_3
.LBB63_35:                              ;   in Loop: Header=BB63_4 Depth=1
	v_add_co_u32 v2, vcc_lo, v19, s14
	v_add_co_ci_u32_e64 v3, null, s15, v20, vcc_lo
	global_store_dwordx2 v[2:3], v[11:12], off
	s_branch .LBB63_3
.LBB63_36:
	s_mov_b32 s0, 0
.LBB63_37:
	s_andn2_b32 vcc_lo, exec_lo, s0
	s_cbranch_vccnz .LBB63_57
; %bb.38:
	v_mov_b32_e32 v14, 0
	v_cmp_gt_i64_e64 s0, 0x10000, s[16:17]
	v_lshlrev_b32_e32 v1, 2, v0
	s_mov_b32 s1, 0
	v_mov_b32_e32 v2, v14
	s_and_b32 s0, s0, exec_lo
	s_cselect_b32 s3, s17, 0
	s_cselect_b32 s2, s16, 0x10000
	s_mov_b32 s0, exec_lo
	v_cmpx_gt_i64_e64 s[2:3], v[1:2]
	s_cbranch_execz .LBB63_57
; %bb.39:
	v_cvt_f32_u32_e32 v1, s10
	s_load_dword s0, s[4:5], 0xe54
	s_sub_i32 s4, 0, s10
	v_lshlrev_b32_e32 v3, 5, v0
	v_rcp_iflag_f32_e32 v1, v1
	v_mul_f32_e32 v1, 0x4f7ffffe, v1
	v_cvt_u32_f32_e32 v2, v1
	s_waitcnt lgkmcnt(0)
	s_and_b32 s16, s0, 0xffff
	v_add_co_u32 v16, s0, s14, v3
	v_add_co_ci_u32_e64 v17, null, s15, 0, s0
	v_mul_lo_u32 v1, s4, v2
	s_lshl_b32 s14, s16, 5
	s_ashr_i32 s4, s11, 31
	v_mul_hi_u32 v4, v2, v1
	v_mov_b32_e32 v1, v14
	v_add_nc_u32_e32 v18, v2, v4
	s_branch .LBB63_41
.LBB63_40:                              ;   in Loop: Header=BB63_41 Depth=1
	s_or_b32 exec_lo, exec_lo, s0
	v_add_co_u32 v0, vcc_lo, v0, s16
	v_add_co_ci_u32_e64 v1, null, 0, v1, vcc_lo
	v_add_co_u32 v4, vcc_lo, s12, v16
	v_add_co_ci_u32_e64 v5, null, s13, v17, vcc_lo
	v_lshlrev_b64 v[2:3], 2, v[0:1]
	v_add_co_u32 v16, s0, v16, s14
	v_add_co_ci_u32_e64 v17, null, 0, v17, s0
	global_store_dwordx4 v[4:5], v[6:9], off
	global_store_dwordx4 v[4:5], v[10:13], off offset:16
	v_cmp_le_i64_e32 vcc_lo, s[2:3], v[2:3]
	s_or_b32 s1, vcc_lo, s1
	s_andn2_b32 exec_lo, exec_lo, s1
	s_cbranch_execz .LBB63_57
.LBB63_41:                              ; =>This Inner Loop Header: Depth=1
	v_add_co_u32 v2, vcc_lo, s8, v16
	v_add_co_ci_u32_e64 v3, null, s9, v17, vcc_lo
                                        ; implicit-def: $vgpr6_vgpr7
	s_mov_b32 s0, exec_lo
	s_clause 0x1
	global_load_dwordx4 v[8:11], v[2:3], off
	global_load_dwordx4 v[2:5], v[2:3], off offset:16
	s_waitcnt vmcnt(1)
	v_or_b32_e32 v15, s11, v9
	v_cmpx_ne_u64_e32 0, v[14:15]
	s_xor_b32 s15, exec_lo, s0
	s_cbranch_execz .LBB63_43
; %bb.42:                               ;   in Loop: Header=BB63_41 Depth=1
	s_add_u32 s6, s10, s4
	s_mov_b32 s5, s4
	s_addc_u32 s7, s11, s4
	v_ashrrev_i32_e32 v15, 31, v9
	s_xor_b64 s[6:7], s[6:7], s[4:5]
	v_cvt_f32_u32_e32 v6, s6
	v_cvt_f32_u32_e32 v7, s7
	s_sub_u32 s0, 0, s6
	s_subb_u32 s18, 0, s7
	v_add_co_u32 v8, vcc_lo, v8, v15
	v_fmac_f32_e32 v6, 0x4f800000, v7
	v_xor_b32_e32 v19, v8, v15
	v_rcp_f32_e32 v6, v6
	v_mul_f32_e32 v6, 0x5f7ffffc, v6
	v_mul_f32_e32 v7, 0x2f800000, v6
	v_trunc_f32_e32 v7, v7
	v_fmac_f32_e32 v6, 0xcf800000, v7
	v_cvt_u32_f32_e32 v7, v7
	v_cvt_u32_f32_e32 v6, v6
	v_readfirstlane_b32 s5, v7
	v_readfirstlane_b32 s17, v6
	s_mul_i32 s19, s0, s5
	v_add_co_ci_u32_e64 v6, null, v9, v15, vcc_lo
	s_mul_hi_u32 s21, s0, s17
	s_mul_i32 s20, s18, s17
	s_add_i32 s19, s21, s19
	s_mul_i32 s22, s0, s17
	s_add_i32 s19, s19, s20
	s_mul_hi_u32 s21, s17, s22
	s_mul_i32 s24, s17, s19
	s_mul_hi_u32 s23, s5, s22
	s_mul_i32 s20, s5, s22
	s_mul_hi_u32 s22, s17, s19
	s_add_u32 s21, s21, s24
	s_addc_u32 s22, 0, s22
	s_mul_hi_u32 s25, s5, s19
	s_add_u32 s20, s21, s20
	s_mul_i32 s19, s5, s19
	s_addc_u32 s20, s22, s23
	s_addc_u32 s21, s25, 0
	s_add_u32 s19, s20, s19
	s_addc_u32 s20, 0, s21
	s_add_u32 s17, s17, s19
	s_cselect_b32 s19, -1, 0
	s_mul_hi_u32 s21, s0, s17
	s_cmp_lg_u32 s19, 0
	s_mul_i32 s19, s0, s17
	s_addc_u32 s5, s5, s20
	s_mul_i32 s18, s18, s17
	s_mul_i32 s0, s0, s5
	s_mul_hi_u32 s20, s17, s19
	s_add_i32 s0, s21, s0
	s_mul_hi_u32 s21, s5, s19
	s_add_i32 s0, s0, s18
	s_mul_i32 s18, s5, s19
	s_mul_i32 s23, s17, s0
	s_mul_hi_u32 s22, s17, s0
	s_add_u32 s20, s20, s23
	s_addc_u32 s22, 0, s22
	s_mul_hi_u32 s19, s5, s0
	s_add_u32 s18, s20, s18
	s_mul_i32 s0, s5, s0
	s_addc_u32 s18, s22, s21
	s_addc_u32 s19, s19, 0
	s_add_u32 s0, s18, s0
	s_addc_u32 s18, 0, s19
	s_add_u32 s0, s17, s0
	s_cselect_b32 s17, -1, 0
	v_xor_b32_e32 v20, v6, v15
	s_cmp_lg_u32 s17, 0
	v_mul_hi_u32 v21, v19, s0
	s_addc_u32 s5, s5, s18
	v_mad_u64_u32 v[6:7], null, v19, s5, 0
	v_mad_u64_u32 v[8:9], null, v20, s0, 0
	;; [unrolled: 1-line block ×3, first 2 shown]
	v_add_co_u32 v6, vcc_lo, v21, v6
	v_add_co_ci_u32_e64 v7, null, 0, v7, vcc_lo
	v_add_co_u32 v6, vcc_lo, v6, v8
	v_add_co_ci_u32_e32 v6, vcc_lo, v7, v9, vcc_lo
	v_add_co_ci_u32_e32 v7, vcc_lo, 0, v13, vcc_lo
	v_add_co_u32 v8, vcc_lo, v6, v12
	v_add_co_ci_u32_e64 v9, null, 0, v7, vcc_lo
	v_mul_lo_u32 v12, s7, v8
	v_mad_u64_u32 v[6:7], null, s6, v8, 0
	v_mul_lo_u32 v13, s6, v9
	v_sub_co_u32 v6, vcc_lo, v19, v6
	v_add3_u32 v7, v7, v13, v12
	v_add_co_u32 v13, s0, v8, 2
	v_add_co_ci_u32_e64 v19, null, 0, v9, s0
	v_sub_nc_u32_e32 v12, v20, v7
	v_sub_co_u32 v21, s0, v6, s6
	v_sub_co_ci_u32_e64 v7, null, v20, v7, vcc_lo
	v_subrev_co_ci_u32_e64 v12, null, s7, v12, vcc_lo
	v_cmp_le_u32_e32 vcc_lo, s6, v21
	v_subrev_co_ci_u32_e64 v12, null, 0, v12, s0
	v_cndmask_b32_e64 v20, 0, -1, vcc_lo
	v_cmp_le_u32_e32 vcc_lo, s7, v12
	v_cndmask_b32_e64 v21, 0, -1, vcc_lo
	v_cmp_le_u32_e32 vcc_lo, s6, v6
	v_cndmask_b32_e64 v6, 0, -1, vcc_lo
	v_cmp_le_u32_e32 vcc_lo, s7, v7
	v_cndmask_b32_e64 v22, 0, -1, vcc_lo
	v_cmp_eq_u32_e32 vcc_lo, s7, v12
	v_cndmask_b32_e32 v12, v21, v20, vcc_lo
	v_add_co_u32 v20, vcc_lo, v8, 1
	v_add_co_ci_u32_e64 v21, null, 0, v9, vcc_lo
	v_cmp_eq_u32_e32 vcc_lo, s7, v7
	v_cndmask_b32_e32 v6, v22, v6, vcc_lo
	v_cmp_ne_u32_e32 vcc_lo, 0, v12
	v_xor_b32_e32 v12, s4, v15
	v_cmp_ne_u32_e64 s0, 0, v6
	v_cndmask_b32_e32 v6, v20, v13, vcc_lo
	v_cndmask_b32_e32 v7, v21, v19, vcc_lo
	v_cndmask_b32_e64 v6, v8, v6, s0
	v_cndmask_b32_e64 v7, v9, v7, s0
	v_xor_b32_e32 v6, v6, v12
	v_xor_b32_e32 v7, v7, v12
	v_sub_co_u32 v6, vcc_lo, v6, v12
	v_sub_co_ci_u32_e64 v7, null, v7, v12, vcc_lo
.LBB63_43:                              ;   in Loop: Header=BB63_41 Depth=1
	s_andn2_saveexec_b32 s0, s15
	s_cbranch_execz .LBB63_45
; %bb.44:                               ;   in Loop: Header=BB63_41 Depth=1
	v_mul_hi_u32 v6, v8, v18
	v_mul_lo_u32 v7, v6, s10
	v_sub_nc_u32_e32 v7, v8, v7
	v_add_nc_u32_e32 v8, 1, v6
	v_subrev_nc_u32_e32 v9, s10, v7
	v_cmp_le_u32_e32 vcc_lo, s10, v7
	v_cndmask_b32_e32 v7, v7, v9, vcc_lo
	v_cndmask_b32_e32 v6, v6, v8, vcc_lo
	v_cmp_le_u32_e32 vcc_lo, s10, v7
	v_add_nc_u32_e32 v8, 1, v6
	v_mov_b32_e32 v7, v14
	v_cndmask_b32_e32 v6, v6, v8, vcc_lo
.LBB63_45:                              ;   in Loop: Header=BB63_41 Depth=1
	s_or_b32 exec_lo, exec_lo, s0
	v_or_b32_e32 v15, s11, v11
	s_mov_b32 s0, exec_lo
	v_cmpx_ne_u64_e32 0, v[14:15]
	s_xor_b32 s15, exec_lo, s0
	s_cbranch_execz .LBB63_47
; %bb.46:                               ;   in Loop: Header=BB63_41 Depth=1
	s_add_u32 s6, s10, s4
	s_mov_b32 s5, s4
	s_addc_u32 s7, s11, s4
	v_ashrrev_i32_e32 v15, 31, v11
	s_xor_b64 s[6:7], s[6:7], s[4:5]
	v_cvt_f32_u32_e32 v8, s6
	v_cvt_f32_u32_e32 v9, s7
	s_sub_u32 s0, 0, s6
	s_subb_u32 s18, 0, s7
	v_add_co_u32 v10, vcc_lo, v10, v15
	v_fmac_f32_e32 v8, 0x4f800000, v9
	v_xor_b32_e32 v19, v10, v15
	v_rcp_f32_e32 v8, v8
	v_mul_f32_e32 v8, 0x5f7ffffc, v8
	v_mul_f32_e32 v9, 0x2f800000, v8
	v_trunc_f32_e32 v9, v9
	v_fmac_f32_e32 v8, 0xcf800000, v9
	v_cvt_u32_f32_e32 v9, v9
	v_cvt_u32_f32_e32 v8, v8
	v_readfirstlane_b32 s5, v9
	v_readfirstlane_b32 s17, v8
	s_mul_i32 s19, s0, s5
	v_add_co_ci_u32_e64 v8, null, v11, v15, vcc_lo
	s_mul_hi_u32 s21, s0, s17
	s_mul_i32 s20, s18, s17
	s_add_i32 s19, s21, s19
	s_mul_i32 s22, s0, s17
	s_add_i32 s19, s19, s20
	s_mul_hi_u32 s21, s17, s22
	s_mul_i32 s24, s17, s19
	s_mul_hi_u32 s23, s5, s22
	s_mul_i32 s20, s5, s22
	s_mul_hi_u32 s22, s17, s19
	s_add_u32 s21, s21, s24
	s_addc_u32 s22, 0, s22
	s_mul_hi_u32 s25, s5, s19
	s_add_u32 s20, s21, s20
	s_mul_i32 s19, s5, s19
	s_addc_u32 s20, s22, s23
	s_addc_u32 s21, s25, 0
	s_add_u32 s19, s20, s19
	s_addc_u32 s20, 0, s21
	s_add_u32 s17, s17, s19
	s_cselect_b32 s19, -1, 0
	s_mul_hi_u32 s21, s0, s17
	s_cmp_lg_u32 s19, 0
	s_mul_i32 s19, s0, s17
	s_addc_u32 s5, s5, s20
	s_mul_i32 s18, s18, s17
	s_mul_i32 s0, s0, s5
	s_mul_hi_u32 s20, s17, s19
	s_add_i32 s0, s21, s0
	s_mul_hi_u32 s21, s5, s19
	s_add_i32 s0, s0, s18
	s_mul_i32 s18, s5, s19
	s_mul_i32 s23, s17, s0
	s_mul_hi_u32 s22, s17, s0
	s_add_u32 s20, s20, s23
	s_addc_u32 s22, 0, s22
	s_mul_hi_u32 s19, s5, s0
	s_add_u32 s18, s20, s18
	s_mul_i32 s0, s5, s0
	s_addc_u32 s18, s22, s21
	s_addc_u32 s19, s19, 0
	s_add_u32 s0, s18, s0
	s_addc_u32 s18, 0, s19
	s_add_u32 s0, s17, s0
	s_cselect_b32 s17, -1, 0
	v_xor_b32_e32 v20, v8, v15
	s_cmp_lg_u32 s17, 0
	v_mul_hi_u32 v21, v19, s0
	s_addc_u32 s5, s5, s18
	v_mad_u64_u32 v[8:9], null, v19, s5, 0
	v_mad_u64_u32 v[10:11], null, v20, s0, 0
	;; [unrolled: 1-line block ×3, first 2 shown]
	v_add_co_u32 v8, vcc_lo, v21, v8
	v_add_co_ci_u32_e64 v9, null, 0, v9, vcc_lo
	v_add_co_u32 v8, vcc_lo, v8, v10
	v_add_co_ci_u32_e32 v8, vcc_lo, v9, v11, vcc_lo
	v_add_co_ci_u32_e32 v9, vcc_lo, 0, v13, vcc_lo
	v_add_co_u32 v10, vcc_lo, v8, v12
	v_add_co_ci_u32_e64 v11, null, 0, v9, vcc_lo
	v_mul_lo_u32 v12, s7, v10
	v_mad_u64_u32 v[8:9], null, s6, v10, 0
	v_mul_lo_u32 v13, s6, v11
	v_sub_co_u32 v8, vcc_lo, v19, v8
	v_add3_u32 v9, v9, v13, v12
	v_add_co_u32 v13, s0, v10, 2
	v_add_co_ci_u32_e64 v19, null, 0, v11, s0
	v_sub_nc_u32_e32 v12, v20, v9
	v_sub_co_u32 v21, s0, v8, s6
	v_sub_co_ci_u32_e64 v9, null, v20, v9, vcc_lo
	v_subrev_co_ci_u32_e64 v12, null, s7, v12, vcc_lo
	v_cmp_le_u32_e32 vcc_lo, s6, v21
	v_subrev_co_ci_u32_e64 v12, null, 0, v12, s0
	v_cndmask_b32_e64 v20, 0, -1, vcc_lo
	v_cmp_le_u32_e32 vcc_lo, s7, v12
	v_cndmask_b32_e64 v21, 0, -1, vcc_lo
	v_cmp_le_u32_e32 vcc_lo, s6, v8
	;; [unrolled: 2-line block ×3, first 2 shown]
	v_cndmask_b32_e64 v22, 0, -1, vcc_lo
	v_cmp_eq_u32_e32 vcc_lo, s7, v12
	v_cndmask_b32_e32 v12, v21, v20, vcc_lo
	v_add_co_u32 v20, vcc_lo, v10, 1
	v_add_co_ci_u32_e64 v21, null, 0, v11, vcc_lo
	v_cmp_eq_u32_e32 vcc_lo, s7, v9
	v_cndmask_b32_e32 v8, v22, v8, vcc_lo
	v_cmp_ne_u32_e32 vcc_lo, 0, v12
	v_xor_b32_e32 v12, s4, v15
	v_cmp_ne_u32_e64 s0, 0, v8
	v_cndmask_b32_e32 v8, v20, v13, vcc_lo
	v_cndmask_b32_e32 v9, v21, v19, vcc_lo
	v_cndmask_b32_e64 v8, v10, v8, s0
	v_cndmask_b32_e64 v9, v11, v9, s0
                                        ; implicit-def: $vgpr10_vgpr11
	v_xor_b32_e32 v8, v8, v12
	v_xor_b32_e32 v9, v9, v12
	v_sub_co_u32 v8, vcc_lo, v8, v12
	v_sub_co_ci_u32_e64 v9, null, v9, v12, vcc_lo
.LBB63_47:                              ;   in Loop: Header=BB63_41 Depth=1
	s_andn2_saveexec_b32 s0, s15
	s_cbranch_execz .LBB63_49
; %bb.48:                               ;   in Loop: Header=BB63_41 Depth=1
	v_mul_hi_u32 v8, v10, v18
	v_mul_lo_u32 v9, v8, s10
	v_sub_nc_u32_e32 v9, v10, v9
	v_add_nc_u32_e32 v10, 1, v8
	v_subrev_nc_u32_e32 v11, s10, v9
	v_cmp_le_u32_e32 vcc_lo, s10, v9
	v_cndmask_b32_e32 v9, v9, v11, vcc_lo
	v_cndmask_b32_e32 v8, v8, v10, vcc_lo
	v_cmp_le_u32_e32 vcc_lo, s10, v9
	v_add_nc_u32_e32 v10, 1, v8
	v_mov_b32_e32 v9, v14
	v_cndmask_b32_e32 v8, v8, v10, vcc_lo
.LBB63_49:                              ;   in Loop: Header=BB63_41 Depth=1
	s_or_b32 exec_lo, exec_lo, s0
	s_waitcnt vmcnt(0)
	v_or_b32_e32 v15, s11, v3
                                        ; implicit-def: $vgpr10_vgpr11
	s_mov_b32 s0, exec_lo
	v_cmpx_ne_u64_e32 0, v[14:15]
	s_xor_b32 s15, exec_lo, s0
	s_cbranch_execz .LBB63_51
; %bb.50:                               ;   in Loop: Header=BB63_41 Depth=1
	s_add_u32 s6, s10, s4
	s_mov_b32 s5, s4
	s_addc_u32 s7, s11, s4
	v_ashrrev_i32_e32 v15, 31, v3
	s_xor_b64 s[6:7], s[6:7], s[4:5]
	v_cvt_f32_u32_e32 v10, s6
	v_cvt_f32_u32_e32 v11, s7
	s_sub_u32 s0, 0, s6
	s_subb_u32 s18, 0, s7
	v_add_co_u32 v2, vcc_lo, v2, v15
	v_fmac_f32_e32 v10, 0x4f800000, v11
	v_add_co_ci_u32_e64 v3, null, v3, v15, vcc_lo
	v_xor_b32_e32 v19, v2, v15
	v_rcp_f32_e32 v10, v10
	v_xor_b32_e32 v20, v3, v15
	v_mul_f32_e32 v10, 0x5f7ffffc, v10
	v_mul_f32_e32 v11, 0x2f800000, v10
	v_trunc_f32_e32 v11, v11
	v_fmac_f32_e32 v10, 0xcf800000, v11
	v_cvt_u32_f32_e32 v11, v11
	v_cvt_u32_f32_e32 v10, v10
	v_readfirstlane_b32 s5, v11
	v_readfirstlane_b32 s17, v10
	s_mul_i32 s19, s0, s5
	s_mul_hi_u32 s21, s0, s17
	s_mul_i32 s20, s18, s17
	s_add_i32 s19, s21, s19
	s_mul_i32 s22, s0, s17
	s_add_i32 s19, s19, s20
	s_mul_hi_u32 s21, s17, s22
	s_mul_i32 s24, s17, s19
	s_mul_hi_u32 s23, s5, s22
	s_mul_i32 s20, s5, s22
	s_mul_hi_u32 s22, s17, s19
	s_add_u32 s21, s21, s24
	s_addc_u32 s22, 0, s22
	s_mul_hi_u32 s25, s5, s19
	s_add_u32 s20, s21, s20
	s_mul_i32 s19, s5, s19
	s_addc_u32 s20, s22, s23
	s_addc_u32 s21, s25, 0
	s_add_u32 s19, s20, s19
	s_addc_u32 s20, 0, s21
	s_add_u32 s17, s17, s19
	s_cselect_b32 s19, -1, 0
	s_mul_hi_u32 s21, s0, s17
	s_cmp_lg_u32 s19, 0
	s_mul_i32 s19, s0, s17
	s_addc_u32 s5, s5, s20
	s_mul_i32 s18, s18, s17
	s_mul_i32 s0, s0, s5
	s_mul_hi_u32 s20, s17, s19
	s_add_i32 s0, s21, s0
	s_mul_hi_u32 s21, s5, s19
	s_add_i32 s0, s0, s18
	s_mul_i32 s18, s5, s19
	s_mul_i32 s23, s17, s0
	s_mul_hi_u32 s22, s17, s0
	s_add_u32 s20, s20, s23
	s_addc_u32 s22, 0, s22
	s_mul_hi_u32 s19, s5, s0
	s_add_u32 s18, s20, s18
	s_mul_i32 s0, s5, s0
	s_addc_u32 s18, s22, s21
	s_addc_u32 s19, s19, 0
	s_add_u32 s0, s18, s0
	s_addc_u32 s18, 0, s19
	s_add_u32 s0, s17, s0
	s_cselect_b32 s17, -1, 0
	v_mul_hi_u32 v21, v19, s0
	s_cmp_lg_u32 s17, 0
	v_mad_u64_u32 v[10:11], null, v20, s0, 0
	s_addc_u32 s5, s5, s18
	v_mad_u64_u32 v[2:3], null, v19, s5, 0
	v_mad_u64_u32 v[12:13], null, v20, s5, 0
	v_add_co_u32 v2, vcc_lo, v21, v2
	v_add_co_ci_u32_e64 v3, null, 0, v3, vcc_lo
	v_add_co_u32 v2, vcc_lo, v2, v10
	v_add_co_ci_u32_e32 v2, vcc_lo, v3, v11, vcc_lo
	v_add_co_ci_u32_e32 v3, vcc_lo, 0, v13, vcc_lo
	v_add_co_u32 v10, vcc_lo, v2, v12
	v_add_co_ci_u32_e64 v11, null, 0, v3, vcc_lo
	v_mul_lo_u32 v12, s7, v10
	v_mad_u64_u32 v[2:3], null, s6, v10, 0
	v_mul_lo_u32 v13, s6, v11
	v_sub_co_u32 v2, vcc_lo, v19, v2
	v_add3_u32 v3, v3, v13, v12
	v_add_co_u32 v13, s0, v10, 2
	v_add_co_ci_u32_e64 v19, null, 0, v11, s0
	v_sub_nc_u32_e32 v12, v20, v3
	v_sub_co_u32 v21, s0, v2, s6
	v_sub_co_ci_u32_e64 v3, null, v20, v3, vcc_lo
	v_subrev_co_ci_u32_e64 v12, null, s7, v12, vcc_lo
	v_cmp_le_u32_e32 vcc_lo, s6, v21
	v_subrev_co_ci_u32_e64 v12, null, 0, v12, s0
	v_cndmask_b32_e64 v20, 0, -1, vcc_lo
	v_cmp_le_u32_e32 vcc_lo, s7, v12
	v_cndmask_b32_e64 v21, 0, -1, vcc_lo
	v_cmp_le_u32_e32 vcc_lo, s6, v2
	;; [unrolled: 2-line block ×3, first 2 shown]
	v_cndmask_b32_e64 v22, 0, -1, vcc_lo
	v_cmp_eq_u32_e32 vcc_lo, s7, v12
	v_cndmask_b32_e32 v12, v21, v20, vcc_lo
	v_add_co_u32 v20, vcc_lo, v10, 1
	v_add_co_ci_u32_e64 v21, null, 0, v11, vcc_lo
	v_cmp_eq_u32_e32 vcc_lo, s7, v3
	v_cndmask_b32_e32 v2, v22, v2, vcc_lo
	v_cmp_ne_u32_e32 vcc_lo, 0, v12
	v_xor_b32_e32 v12, s4, v15
	v_cmp_ne_u32_e64 s0, 0, v2
	v_cndmask_b32_e32 v2, v20, v13, vcc_lo
	v_cndmask_b32_e32 v3, v21, v19, vcc_lo
	v_cndmask_b32_e64 v2, v10, v2, s0
	v_cndmask_b32_e64 v3, v11, v3, s0
	v_xor_b32_e32 v2, v2, v12
	v_xor_b32_e32 v3, v3, v12
	v_sub_co_u32 v10, vcc_lo, v2, v12
	v_sub_co_ci_u32_e64 v11, null, v3, v12, vcc_lo
.LBB63_51:                              ;   in Loop: Header=BB63_41 Depth=1
	s_andn2_saveexec_b32 s0, s15
	s_cbranch_execz .LBB63_53
; %bb.52:                               ;   in Loop: Header=BB63_41 Depth=1
	v_mul_hi_u32 v3, v2, v18
	v_mul_lo_u32 v10, v3, s10
	v_sub_nc_u32_e32 v2, v2, v10
	v_add_nc_u32_e32 v10, 1, v3
	v_subrev_nc_u32_e32 v11, s10, v2
	v_cmp_le_u32_e32 vcc_lo, s10, v2
	v_cndmask_b32_e32 v2, v2, v11, vcc_lo
	v_cndmask_b32_e32 v3, v3, v10, vcc_lo
	v_mov_b32_e32 v11, v14
	v_cmp_le_u32_e32 vcc_lo, s10, v2
	v_add_nc_u32_e32 v10, 1, v3
	v_cndmask_b32_e32 v10, v3, v10, vcc_lo
.LBB63_53:                              ;   in Loop: Header=BB63_41 Depth=1
	s_or_b32 exec_lo, exec_lo, s0
	v_or_b32_e32 v15, s11, v5
	s_mov_b32 s0, exec_lo
	v_cmpx_ne_u64_e32 0, v[14:15]
	s_xor_b32 s15, exec_lo, s0
	s_cbranch_execz .LBB63_55
; %bb.54:                               ;   in Loop: Header=BB63_41 Depth=1
	s_add_u32 s6, s10, s4
	s_mov_b32 s5, s4
	s_addc_u32 s7, s11, s4
	v_ashrrev_i32_e32 v15, 31, v5
	s_xor_b64 s[6:7], s[6:7], s[4:5]
	v_cvt_f32_u32_e32 v2, s6
	v_cvt_f32_u32_e32 v3, s7
	s_sub_u32 s0, 0, s6
	s_subb_u32 s18, 0, s7
	v_add_co_u32 v4, vcc_lo, v4, v15
	v_fmac_f32_e32 v2, 0x4f800000, v3
	v_xor_b32_e32 v19, v4, v15
	v_rcp_f32_e32 v2, v2
	v_mul_f32_e32 v2, 0x5f7ffffc, v2
	v_mul_f32_e32 v3, 0x2f800000, v2
	v_trunc_f32_e32 v3, v3
	v_fmac_f32_e32 v2, 0xcf800000, v3
	v_cvt_u32_f32_e32 v3, v3
	v_cvt_u32_f32_e32 v2, v2
	v_readfirstlane_b32 s5, v3
	v_readfirstlane_b32 s17, v2
	s_mul_i32 s19, s0, s5
	v_add_co_ci_u32_e64 v2, null, v5, v15, vcc_lo
	s_mul_hi_u32 s21, s0, s17
	s_mul_i32 s20, s18, s17
	s_add_i32 s19, s21, s19
	s_mul_i32 s22, s0, s17
	s_add_i32 s19, s19, s20
	s_mul_hi_u32 s21, s17, s22
	s_mul_i32 s24, s17, s19
	s_mul_hi_u32 s23, s5, s22
	s_mul_i32 s20, s5, s22
	s_mul_hi_u32 s22, s17, s19
	s_add_u32 s21, s21, s24
	s_addc_u32 s22, 0, s22
	s_mul_hi_u32 s25, s5, s19
	s_add_u32 s20, s21, s20
	s_mul_i32 s19, s5, s19
	s_addc_u32 s20, s22, s23
	s_addc_u32 s21, s25, 0
	s_add_u32 s19, s20, s19
	s_addc_u32 s20, 0, s21
	s_add_u32 s17, s17, s19
	s_cselect_b32 s19, -1, 0
	s_mul_hi_u32 s21, s0, s17
	s_cmp_lg_u32 s19, 0
	s_mul_i32 s19, s0, s17
	s_addc_u32 s5, s5, s20
	s_mul_i32 s18, s18, s17
	s_mul_i32 s0, s0, s5
	s_mul_hi_u32 s20, s17, s19
	s_add_i32 s0, s21, s0
	s_mul_hi_u32 s21, s5, s19
	s_add_i32 s0, s0, s18
	s_mul_i32 s18, s5, s19
	s_mul_i32 s23, s17, s0
	s_mul_hi_u32 s22, s17, s0
	s_add_u32 s20, s20, s23
	s_addc_u32 s22, 0, s22
	s_mul_hi_u32 s19, s5, s0
	s_add_u32 s18, s20, s18
	s_mul_i32 s0, s5, s0
	s_addc_u32 s18, s22, s21
	s_addc_u32 s19, s19, 0
	s_add_u32 s0, s18, s0
	s_addc_u32 s18, 0, s19
	s_add_u32 s0, s17, s0
	s_cselect_b32 s17, -1, 0
	v_xor_b32_e32 v20, v2, v15
	s_cmp_lg_u32 s17, 0
	v_mul_hi_u32 v21, v19, s0
	s_addc_u32 s5, s5, s18
	v_mad_u64_u32 v[2:3], null, v19, s5, 0
	v_mad_u64_u32 v[4:5], null, v20, s0, 0
	;; [unrolled: 1-line block ×3, first 2 shown]
	v_add_co_u32 v2, vcc_lo, v21, v2
	v_add_co_ci_u32_e64 v3, null, 0, v3, vcc_lo
	v_add_co_u32 v2, vcc_lo, v2, v4
	v_add_co_ci_u32_e32 v2, vcc_lo, v3, v5, vcc_lo
	v_add_co_ci_u32_e32 v3, vcc_lo, 0, v13, vcc_lo
	v_add_co_u32 v4, vcc_lo, v2, v12
	v_add_co_ci_u32_e64 v5, null, 0, v3, vcc_lo
	v_mul_lo_u32 v12, s7, v4
	v_mad_u64_u32 v[2:3], null, s6, v4, 0
	v_mul_lo_u32 v13, s6, v5
	v_sub_co_u32 v2, vcc_lo, v19, v2
	v_add3_u32 v3, v3, v13, v12
	v_add_co_u32 v13, s0, v4, 2
	v_add_co_ci_u32_e64 v19, null, 0, v5, s0
	v_sub_nc_u32_e32 v12, v20, v3
	v_sub_co_u32 v21, s0, v2, s6
	v_sub_co_ci_u32_e64 v3, null, v20, v3, vcc_lo
	v_subrev_co_ci_u32_e64 v12, null, s7, v12, vcc_lo
	v_cmp_le_u32_e32 vcc_lo, s6, v21
	v_subrev_co_ci_u32_e64 v12, null, 0, v12, s0
	v_cndmask_b32_e64 v20, 0, -1, vcc_lo
	v_cmp_le_u32_e32 vcc_lo, s7, v12
	v_cndmask_b32_e64 v21, 0, -1, vcc_lo
	v_cmp_le_u32_e32 vcc_lo, s6, v2
	v_cndmask_b32_e64 v2, 0, -1, vcc_lo
	v_cmp_le_u32_e32 vcc_lo, s7, v3
	v_cndmask_b32_e64 v22, 0, -1, vcc_lo
	v_cmp_eq_u32_e32 vcc_lo, s7, v12
	v_cndmask_b32_e32 v12, v21, v20, vcc_lo
	v_add_co_u32 v20, vcc_lo, v4, 1
	v_add_co_ci_u32_e64 v21, null, 0, v5, vcc_lo
	v_cmp_eq_u32_e32 vcc_lo, s7, v3
	v_cndmask_b32_e32 v2, v22, v2, vcc_lo
	v_cmp_ne_u32_e32 vcc_lo, 0, v12
	v_cmp_ne_u32_e64 s0, 0, v2
	v_cndmask_b32_e32 v2, v20, v13, vcc_lo
	v_cndmask_b32_e32 v3, v21, v19, vcc_lo
	v_xor_b32_e32 v13, s4, v15
	v_cndmask_b32_e64 v2, v4, v2, s0
	v_cndmask_b32_e64 v3, v5, v3, s0
                                        ; implicit-def: $vgpr4_vgpr5
	v_xor_b32_e32 v2, v2, v13
	v_xor_b32_e32 v3, v3, v13
	v_sub_co_u32 v12, vcc_lo, v2, v13
	v_sub_co_ci_u32_e64 v13, null, v3, v13, vcc_lo
.LBB63_55:                              ;   in Loop: Header=BB63_41 Depth=1
	s_andn2_saveexec_b32 s0, s15
	s_cbranch_execz .LBB63_40
; %bb.56:                               ;   in Loop: Header=BB63_41 Depth=1
	v_mul_hi_u32 v2, v4, v18
	v_mov_b32_e32 v13, v14
	v_mul_lo_u32 v3, v2, s10
	v_sub_nc_u32_e32 v3, v4, v3
	v_add_nc_u32_e32 v4, 1, v2
	v_subrev_nc_u32_e32 v5, s10, v3
	v_cmp_le_u32_e32 vcc_lo, s10, v3
	v_cndmask_b32_e32 v3, v3, v5, vcc_lo
	v_cndmask_b32_e32 v2, v2, v4, vcc_lo
	v_cmp_le_u32_e32 vcc_lo, s10, v3
	v_add_nc_u32_e32 v4, 1, v2
	v_cndmask_b32_e32 v12, v2, v4, vcc_lo
	s_branch .LBB63_40
.LBB63_57:
	s_endpgm
	.section	.rodata,"a",@progbits
	.p2align	6, 0x0
	.amdhsa_kernel _ZN2at6native12_GLOBAL__N_125multi_tensor_apply_kernelINS1_28TensorListScalarListMetadataIlLi2EEENS1_25BinaryOpScalarListFunctorIlLi2ELi1ELi1EEEJSt7dividesIlEEEEvT_T0_DpT1_
		.amdhsa_group_segment_fixed_size 0
		.amdhsa_private_segment_fixed_size 0
		.amdhsa_kernarg_size 3912
		.amdhsa_user_sgpr_count 6
		.amdhsa_user_sgpr_private_segment_buffer 1
		.amdhsa_user_sgpr_dispatch_ptr 0
		.amdhsa_user_sgpr_queue_ptr 0
		.amdhsa_user_sgpr_kernarg_segment_ptr 1
		.amdhsa_user_sgpr_dispatch_id 0
		.amdhsa_user_sgpr_flat_scratch_init 0
		.amdhsa_user_sgpr_private_segment_size 0
		.amdhsa_wavefront_size32 1
		.amdhsa_uses_dynamic_stack 0
		.amdhsa_system_sgpr_private_segment_wavefront_offset 0
		.amdhsa_system_sgpr_workgroup_id_x 1
		.amdhsa_system_sgpr_workgroup_id_y 0
		.amdhsa_system_sgpr_workgroup_id_z 0
		.amdhsa_system_sgpr_workgroup_info 0
		.amdhsa_system_vgpr_workitem_id 0
		.amdhsa_next_free_vgpr 41
		.amdhsa_next_free_sgpr 41
		.amdhsa_reserve_vcc 1
		.amdhsa_reserve_flat_scratch 0
		.amdhsa_float_round_mode_32 0
		.amdhsa_float_round_mode_16_64 0
		.amdhsa_float_denorm_mode_32 3
		.amdhsa_float_denorm_mode_16_64 3
		.amdhsa_dx10_clamp 1
		.amdhsa_ieee_mode 1
		.amdhsa_fp16_overflow 0
		.amdhsa_workgroup_processor_mode 1
		.amdhsa_memory_ordered 1
		.amdhsa_forward_progress 1
		.amdhsa_shared_vgpr_count 0
		.amdhsa_exception_fp_ieee_invalid_op 0
		.amdhsa_exception_fp_denorm_src 0
		.amdhsa_exception_fp_ieee_div_zero 0
		.amdhsa_exception_fp_ieee_overflow 0
		.amdhsa_exception_fp_ieee_underflow 0
		.amdhsa_exception_fp_ieee_inexact 0
		.amdhsa_exception_int_div_zero 0
	.end_amdhsa_kernel
	.section	.text._ZN2at6native12_GLOBAL__N_125multi_tensor_apply_kernelINS1_28TensorListScalarListMetadataIlLi2EEENS1_25BinaryOpScalarListFunctorIlLi2ELi1ELi1EEEJSt7dividesIlEEEEvT_T0_DpT1_,"axG",@progbits,_ZN2at6native12_GLOBAL__N_125multi_tensor_apply_kernelINS1_28TensorListScalarListMetadataIlLi2EEENS1_25BinaryOpScalarListFunctorIlLi2ELi1ELi1EEEJSt7dividesIlEEEEvT_T0_DpT1_,comdat
.Lfunc_end63:
	.size	_ZN2at6native12_GLOBAL__N_125multi_tensor_apply_kernelINS1_28TensorListScalarListMetadataIlLi2EEENS1_25BinaryOpScalarListFunctorIlLi2ELi1ELi1EEEJSt7dividesIlEEEEvT_T0_DpT1_, .Lfunc_end63-_ZN2at6native12_GLOBAL__N_125multi_tensor_apply_kernelINS1_28TensorListScalarListMetadataIlLi2EEENS1_25BinaryOpScalarListFunctorIlLi2ELi1ELi1EEEJSt7dividesIlEEEEvT_T0_DpT1_
                                        ; -- End function
	.set _ZN2at6native12_GLOBAL__N_125multi_tensor_apply_kernelINS1_28TensorListScalarListMetadataIlLi2EEENS1_25BinaryOpScalarListFunctorIlLi2ELi1ELi1EEEJSt7dividesIlEEEEvT_T0_DpT1_.num_vgpr, 41
	.set _ZN2at6native12_GLOBAL__N_125multi_tensor_apply_kernelINS1_28TensorListScalarListMetadataIlLi2EEENS1_25BinaryOpScalarListFunctorIlLi2ELi1ELi1EEEJSt7dividesIlEEEEvT_T0_DpT1_.num_agpr, 0
	.set _ZN2at6native12_GLOBAL__N_125multi_tensor_apply_kernelINS1_28TensorListScalarListMetadataIlLi2EEENS1_25BinaryOpScalarListFunctorIlLi2ELi1ELi1EEEJSt7dividesIlEEEEvT_T0_DpT1_.numbered_sgpr, 41
	.set _ZN2at6native12_GLOBAL__N_125multi_tensor_apply_kernelINS1_28TensorListScalarListMetadataIlLi2EEENS1_25BinaryOpScalarListFunctorIlLi2ELi1ELi1EEEJSt7dividesIlEEEEvT_T0_DpT1_.num_named_barrier, 0
	.set _ZN2at6native12_GLOBAL__N_125multi_tensor_apply_kernelINS1_28TensorListScalarListMetadataIlLi2EEENS1_25BinaryOpScalarListFunctorIlLi2ELi1ELi1EEEJSt7dividesIlEEEEvT_T0_DpT1_.private_seg_size, 0
	.set _ZN2at6native12_GLOBAL__N_125multi_tensor_apply_kernelINS1_28TensorListScalarListMetadataIlLi2EEENS1_25BinaryOpScalarListFunctorIlLi2ELi1ELi1EEEJSt7dividesIlEEEEvT_T0_DpT1_.uses_vcc, 1
	.set _ZN2at6native12_GLOBAL__N_125multi_tensor_apply_kernelINS1_28TensorListScalarListMetadataIlLi2EEENS1_25BinaryOpScalarListFunctorIlLi2ELi1ELi1EEEJSt7dividesIlEEEEvT_T0_DpT1_.uses_flat_scratch, 0
	.set _ZN2at6native12_GLOBAL__N_125multi_tensor_apply_kernelINS1_28TensorListScalarListMetadataIlLi2EEENS1_25BinaryOpScalarListFunctorIlLi2ELi1ELi1EEEJSt7dividesIlEEEEvT_T0_DpT1_.has_dyn_sized_stack, 0
	.set _ZN2at6native12_GLOBAL__N_125multi_tensor_apply_kernelINS1_28TensorListScalarListMetadataIlLi2EEENS1_25BinaryOpScalarListFunctorIlLi2ELi1ELi1EEEJSt7dividesIlEEEEvT_T0_DpT1_.has_recursion, 0
	.set _ZN2at6native12_GLOBAL__N_125multi_tensor_apply_kernelINS1_28TensorListScalarListMetadataIlLi2EEENS1_25BinaryOpScalarListFunctorIlLi2ELi1ELi1EEEJSt7dividesIlEEEEvT_T0_DpT1_.has_indirect_call, 0
	.section	.AMDGPU.csdata,"",@progbits
; Kernel info:
; codeLenInByte = 7312
; TotalNumSgprs: 43
; NumVgprs: 41
; ScratchSize: 0
; MemoryBound: 1
; FloatMode: 240
; IeeeMode: 1
; LDSByteSize: 0 bytes/workgroup (compile time only)
; SGPRBlocks: 0
; VGPRBlocks: 5
; NumSGPRsForWavesPerEU: 43
; NumVGPRsForWavesPerEU: 41
; Occupancy: 16
; WaveLimiterHint : 1
; COMPUTE_PGM_RSRC2:SCRATCH_EN: 0
; COMPUTE_PGM_RSRC2:USER_SGPR: 6
; COMPUTE_PGM_RSRC2:TRAP_HANDLER: 0
; COMPUTE_PGM_RSRC2:TGID_X_EN: 1
; COMPUTE_PGM_RSRC2:TGID_Y_EN: 0
; COMPUTE_PGM_RSRC2:TGID_Z_EN: 0
; COMPUTE_PGM_RSRC2:TIDIG_COMP_CNT: 0
	.section	.text._ZN2at6native12_GLOBAL__N_125multi_tensor_apply_kernelINS1_28TensorListScalarListMetadataIsLi2EEENS1_25BinaryOpScalarListFunctorIsLi2ELi1ELi1EEEJSt7dividesIsEEEEvT_T0_DpT1_,"axG",@progbits,_ZN2at6native12_GLOBAL__N_125multi_tensor_apply_kernelINS1_28TensorListScalarListMetadataIsLi2EEENS1_25BinaryOpScalarListFunctorIsLi2ELi1ELi1EEEJSt7dividesIsEEEEvT_T0_DpT1_,comdat
	.globl	_ZN2at6native12_GLOBAL__N_125multi_tensor_apply_kernelINS1_28TensorListScalarListMetadataIsLi2EEENS1_25BinaryOpScalarListFunctorIsLi2ELi1ELi1EEEJSt7dividesIsEEEEvT_T0_DpT1_ ; -- Begin function _ZN2at6native12_GLOBAL__N_125multi_tensor_apply_kernelINS1_28TensorListScalarListMetadataIsLi2EEENS1_25BinaryOpScalarListFunctorIsLi2ELi1ELi1EEEJSt7dividesIsEEEEvT_T0_DpT1_
	.p2align	8
	.type	_ZN2at6native12_GLOBAL__N_125multi_tensor_apply_kernelINS1_28TensorListScalarListMetadataIsLi2EEENS1_25BinaryOpScalarListFunctorIsLi2ELi1ELi1EEEJSt7dividesIsEEEEvT_T0_DpT1_,@function
_ZN2at6native12_GLOBAL__N_125multi_tensor_apply_kernelINS1_28TensorListScalarListMetadataIsLi2EEENS1_25BinaryOpScalarListFunctorIsLi2ELi1ELi1EEEJSt7dividesIsEEEEvT_T0_DpT1_: ; @_ZN2at6native12_GLOBAL__N_125multi_tensor_apply_kernelINS1_28TensorListScalarListMetadataIsLi2EEENS1_25BinaryOpScalarListFunctorIsLi2ELi1ELi1EEEJSt7dividesIsEEEEvT_T0_DpT1_
; %bb.0:
	v_mov_b32_e32 v1, s6
	s_add_u32 s0, s4, s6
	s_mul_hi_u32 s1, s6, 3
	s_mul_i32 s6, s6, 3
	s_addc_u32 s2, s5, 0
	global_load_ubyte v1, v1, s[4:5] offset:1664
	s_add_u32 s0, s0, s6
	s_addc_u32 s1, s2, s1
	s_mov_b32 s15, 0
	s_load_dword s0, s[0:1], 0x7c0
	s_mov_b32 s17, s15
	s_waitcnt vmcnt(0)
	v_readfirstlane_b32 s1, v1
	v_mul_lo_u32 v2, v1, -6
	v_mul_hi_i32 v3, v1, -6
	s_lshl_b32 s8, s1, 3
	s_waitcnt lgkmcnt(0)
	s_ashr_i32 s1, s0, 31
	s_add_u32 s6, s4, s8
	s_addc_u32 s7, s5, 0
	v_add_co_u32 v1, vcc_lo, s6, v2
	v_add_co_ci_u32_e64 v2, null, s7, v3, vcc_lo
	s_load_dwordx2 s[2:3], s[4:5], s8 offset:0x400
	s_lshl_b64 s[10:11], s[0:1], 17
	s_lshl_b64 s[0:1], s[0:1], 16
	global_load_sshort v3, v[1:2], off offset:1536
	s_clause 0x1
	s_load_dwordx2 s[6:7], s[4:5], s8 offset:0x0
	s_load_dwordx2 s[8:9], s[4:5], s8 offset:0x200
	s_waitcnt lgkmcnt(0)
	s_add_u32 s12, s6, s10
	s_and_b32 s16, s8, 7
	s_and_b32 s14, s12, 7
	s_sub_u32 s12, s2, s0
	s_subb_u32 s13, s3, s1
	s_and_b32 s0, s2, 3
	s_mov_b32 s1, s15
	s_or_b64 s[0:1], s[16:17], s[0:1]
	s_or_b64 s[0:1], s[0:1], s[14:15]
	s_cmp_eq_u64 s[0:1], 0
	s_mov_b32 s0, -1
	s_cbranch_scc1 .LBB64_21
; %bb.1:
	v_cmp_lt_i64_e64 s0, s[12:13], 1
	s_and_b32 vcc_lo, exec_lo, s0
	s_cbranch_vccnz .LBB64_20
; %bb.2:
	s_load_dword s0, s[4:5], 0xcd4
	v_cmp_gt_i64_e64 s1, 0x10000, s[12:13]
	v_lshlrev_b32_e32 v12, 1, v0
	v_cmp_gt_u64_e64 s2, 0x10000, s[12:13]
	v_mov_b32_e32 v13, 0
	s_waitcnt vmcnt(0)
	v_cvt_f32_i32_e32 v1, v3
	s_mov_b64 s[18:19], 0
	s_and_b32 s1, s1, exec_lo
	v_add_co_u32 v4, s3, s6, v12
	s_cselect_b32 s15, s13, 0
	s_cselect_b32 s14, s12, 0x10000
	v_add_co_ci_u32_e64 v5, null, s7, 0, s3
	v_add_co_u32 v6, s3, s8, v12
	v_add_co_ci_u32_e64 v7, null, s9, 0, s3
	v_rcp_iflag_f32_e32 v2, v1
	s_waitcnt lgkmcnt(0)
	s_and_b32 s0, s0, 0xffff
	s_and_b32 s1, s2, exec_lo
	s_cselect_b32 s17, s13, 0
	s_cselect_b32 s16, s12, 0x10000
	s_mul_i32 s2, s0, 3
	s_lshl_b32 s20, s0, 2
	v_mad_u64_u32 v[10:11], null, s0, 6, v[12:13]
	v_add_co_u32 v17, s3, s20, v12
	v_add_co_u32 v12, s2, s2, v0
	v_add_co_ci_u32_e64 v13, null, 0, 0, s2
	v_add_co_u32 v16, s2, v0, s0
	s_lshl_b32 s1, s0, 1
	v_add_co_u32 v8, vcc_lo, s6, v10
	v_lshlrev_b32_e32 v24, 1, v16
	v_add_co_ci_u32_e64 v18, null, 0, 0, s3
	v_add_co_ci_u32_e64 v9, null, s7, v11, vcc_lo
	v_add_co_u32 v10, vcc_lo, s8, v10
	v_add_co_u32 v20, s1, s1, v0
	v_add_co_ci_u32_e64 v11, null, s9, v11, vcc_lo
	v_add_co_u32 v14, vcc_lo, s6, v17
	v_add_co_ci_u32_e64 v21, null, 0, 0, s1
	v_add_co_u32 v22, s1, s6, v24
	v_add_co_ci_u32_e64 v15, null, s7, v18, vcc_lo
	v_add_co_u32 v17, vcc_lo, s8, v17
	v_add_co_ci_u32_e64 v23, null, s7, 0, s1
	v_add_co_u32 v24, s1, s8, v24
	v_add_co_ci_u32_e64 v18, null, s9, v18, vcc_lo
	v_add_co_ci_u32_e64 v19, null, 0, 0, s2
	v_add_co_ci_u32_e64 v25, null, s9, 0, s1
	s_lshl_b32 s21, s0, 3
	s_branch .LBB64_4
.LBB64_3:                               ;   in Loop: Header=BB64_4 Depth=1
	s_or_b32 exec_lo, exec_lo, s0
	v_add_co_u32 v4, vcc_lo, v4, s21
	v_add_co_ci_u32_e64 v5, null, 0, v5, vcc_lo
	v_add_co_u32 v6, vcc_lo, v6, s21
	v_add_co_ci_u32_e64 v7, null, 0, v7, vcc_lo
	;; [unrolled: 2-line block ×4, first 2 shown]
	v_add_co_u32 v14, vcc_lo, v14, s21
	s_add_u32 s18, s18, s20
	v_add_co_ci_u32_e64 v15, null, 0, v15, vcc_lo
	v_add_co_u32 v17, vcc_lo, v17, s21
	s_addc_u32 s19, s19, 0
	v_add_co_ci_u32_e64 v18, null, 0, v18, vcc_lo
	v_add_co_u32 v22, vcc_lo, v22, s21
	v_cmp_lt_i64_e64 s0, s[18:19], s[14:15]
	v_add_co_ci_u32_e64 v23, null, 0, v23, vcc_lo
	v_add_co_u32 v24, vcc_lo, v24, s21
	v_add_co_ci_u32_e64 v25, null, 0, v25, vcc_lo
	s_and_b32 vcc_lo, exec_lo, s0
	s_cbranch_vccz .LBB64_20
.LBB64_4:                               ; =>This Inner Loop Header: Depth=1
	s_waitcnt vmcnt(0)
	v_add_co_u32 v26, s0, v0, s18
	v_add_co_ci_u32_e64 v27, null, 0, s19, s0
	v_mov_b32_e32 v29, 0
	v_cmp_gt_u64_e64 s2, s[16:17], v[26:27]
	s_and_saveexec_b32 s0, s2
	s_cbranch_execz .LBB64_6
; %bb.5:                                ;   in Loop: Header=BB64_4 Depth=1
	v_add_co_u32 v26, vcc_lo, v4, s10
	v_add_co_ci_u32_e64 v27, null, s11, v5, vcc_lo
	global_load_sshort v29, v[26:27], off
.LBB64_6:                               ;   in Loop: Header=BB64_4 Depth=1
	s_or_b32 exec_lo, exec_lo, s0
	v_add_co_u32 v26, vcc_lo, v16, s18
	v_add_co_ci_u32_e64 v27, null, s19, v19, vcc_lo
	v_mov_b32_e32 v28, 0
	v_cmp_gt_u64_e64 s1, s[16:17], v[26:27]
	v_mov_b32_e32 v26, 0
	s_and_saveexec_b32 s0, s1
	s_cbranch_execz .LBB64_8
; %bb.7:                                ;   in Loop: Header=BB64_4 Depth=1
	v_add_co_u32 v27, vcc_lo, v22, s10
	v_add_co_ci_u32_e64 v28, null, s11, v23, vcc_lo
	global_load_sshort v28, v[27:28], off
.LBB64_8:                               ;   in Loop: Header=BB64_4 Depth=1
	s_or_b32 exec_lo, exec_lo, s0
	v_add_co_u32 v30, vcc_lo, v20, s18
	v_add_co_ci_u32_e64 v31, null, s19, v21, vcc_lo
	v_cmp_gt_u64_e64 s0, s[16:17], v[30:31]
	s_and_saveexec_b32 s3, s0
	s_cbranch_execz .LBB64_10
; %bb.9:                                ;   in Loop: Header=BB64_4 Depth=1
	v_add_co_u32 v26, vcc_lo, v14, s10
	v_add_co_ci_u32_e64 v27, null, s11, v15, vcc_lo
	global_load_sshort v26, v[26:27], off
.LBB64_10:                              ;   in Loop: Header=BB64_4 Depth=1
	s_or_b32 exec_lo, exec_lo, s3
	v_add_co_u32 v30, vcc_lo, v12, s18
	v_add_co_ci_u32_e64 v31, null, s19, v13, vcc_lo
	v_mov_b32_e32 v27, 0
	v_cmp_gt_u64_e32 vcc_lo, s[16:17], v[30:31]
	s_and_saveexec_b32 s22, vcc_lo
	s_cbranch_execnz .LBB64_15
; %bb.11:                               ;   in Loop: Header=BB64_4 Depth=1
	s_or_b32 exec_lo, exec_lo, s22
	s_and_saveexec_b32 s3, s2
	s_cbranch_execnz .LBB64_16
.LBB64_12:                              ;   in Loop: Header=BB64_4 Depth=1
	s_or_b32 exec_lo, exec_lo, s3
	s_and_saveexec_b32 s2, s1
	s_cbranch_execnz .LBB64_17
.LBB64_13:                              ;   in Loop: Header=BB64_4 Depth=1
	s_or_b32 exec_lo, exec_lo, s2
	s_and_saveexec_b32 s1, s0
	s_cbranch_execnz .LBB64_18
.LBB64_14:                              ;   in Loop: Header=BB64_4 Depth=1
	s_or_b32 exec_lo, exec_lo, s1
	s_and_saveexec_b32 s0, vcc_lo
	s_cbranch_execz .LBB64_3
	s_branch .LBB64_19
.LBB64_15:                              ;   in Loop: Header=BB64_4 Depth=1
	v_add_co_u32 v30, s3, v8, s10
	v_add_co_ci_u32_e64 v31, null, s11, v9, s3
	global_load_sshort v27, v[30:31], off
	s_or_b32 exec_lo, exec_lo, s22
	s_and_saveexec_b32 s3, s2
	s_cbranch_execz .LBB64_12
.LBB64_16:                              ;   in Loop: Header=BB64_4 Depth=1
	s_waitcnt vmcnt(0)
	v_cvt_f32_i32_e32 v30, v29
	v_xor_b32_e32 v29, v29, v3
	v_mul_f32_e32 v31, v30, v2
	v_ashrrev_i32_e32 v29, 30, v29
	v_trunc_f32_e32 v31, v31
	v_or_b32_e32 v29, 1, v29
	v_fma_f32 v30, -v31, v1, v30
	v_cvt_i32_f32_e32 v31, v31
	v_cmp_ge_f32_e64 s2, |v30|, |v1|
	v_cndmask_b32_e64 v32, 0, v29, s2
	v_add_co_u32 v29, s2, v6, s10
	v_add_co_ci_u32_e64 v30, null, s11, v7, s2
	v_add_nc_u32_e32 v31, v31, v32
	global_store_short v[29:30], v31, off
	s_or_b32 exec_lo, exec_lo, s3
	s_and_saveexec_b32 s2, s1
	s_cbranch_execz .LBB64_13
.LBB64_17:                              ;   in Loop: Header=BB64_4 Depth=1
	s_waitcnt vmcnt(0)
	v_cvt_f32_i32_e32 v29, v28
	v_xor_b32_e32 v28, v28, v3
	v_mul_f32_e32 v30, v29, v2
	v_ashrrev_i32_e32 v28, 30, v28
	v_trunc_f32_e32 v30, v30
	v_or_b32_e32 v28, 1, v28
	v_fma_f32 v29, -v30, v1, v29
	v_cvt_i32_f32_e32 v30, v30
	v_cmp_ge_f32_e64 s1, |v29|, |v1|
	v_cndmask_b32_e64 v28, 0, v28, s1
	v_add_nc_u32_e32 v30, v30, v28
	v_add_co_u32 v28, s1, v24, s10
	v_add_co_ci_u32_e64 v29, null, s11, v25, s1
	global_store_short v[28:29], v30, off
	s_or_b32 exec_lo, exec_lo, s2
	s_and_saveexec_b32 s1, s0
	s_cbranch_execz .LBB64_14
.LBB64_18:                              ;   in Loop: Header=BB64_4 Depth=1
	s_waitcnt vmcnt(0)
	v_cvt_f32_i32_e32 v28, v26
	v_xor_b32_e32 v26, v26, v3
	v_mul_f32_e32 v29, v28, v2
	v_ashrrev_i32_e32 v26, 30, v26
	v_trunc_f32_e32 v29, v29
	v_or_b32_e32 v26, 1, v26
	v_fma_f32 v28, -v29, v1, v28
	v_cvt_i32_f32_e32 v29, v29
	v_cmp_ge_f32_e64 s0, |v28|, |v1|
	v_cndmask_b32_e64 v26, 0, v26, s0
	v_add_co_u32 v28, s0, v17, s10
	v_add_nc_u32_e32 v26, v29, v26
	v_add_co_ci_u32_e64 v29, null, s11, v18, s0
	global_store_short v[28:29], v26, off
	s_or_b32 exec_lo, exec_lo, s1
	s_and_saveexec_b32 s0, vcc_lo
	s_cbranch_execz .LBB64_3
.LBB64_19:                              ;   in Loop: Header=BB64_4 Depth=1
	s_waitcnt vmcnt(0)
	v_cvt_f32_i32_e32 v26, v27
	v_xor_b32_e32 v27, v27, v3
	v_mul_f32_e32 v28, v26, v2
	v_ashrrev_i32_e32 v27, 30, v27
	v_trunc_f32_e32 v28, v28
	v_or_b32_e32 v27, 1, v27
	v_fma_f32 v26, -v28, v1, v26
	v_cvt_i32_f32_e32 v28, v28
	v_cmp_ge_f32_e64 vcc_lo, |v26|, |v1|
	v_cndmask_b32_e32 v26, 0, v27, vcc_lo
	v_add_nc_u32_e32 v28, v28, v26
	v_add_co_u32 v26, vcc_lo, v10, s10
	v_add_co_ci_u32_e64 v27, null, s11, v11, vcc_lo
	global_store_short v[26:27], v28, off
	s_branch .LBB64_3
.LBB64_20:
	s_mov_b32 s0, 0
.LBB64_21:
	s_andn2_b32 vcc_lo, exec_lo, s0
	s_cbranch_vccnz .LBB64_25
; %bb.22:
	v_cmp_gt_i64_e64 s0, 0x10000, s[12:13]
	v_mov_b32_e32 v2, 0
	v_lshlrev_b32_e32 v1, 2, v0
	s_mov_b32 s1, 0
	s_and_b32 s0, s0, exec_lo
	s_cselect_b32 s3, s13, 0
	s_cselect_b32 s2, s12, 0x10000
	s_mov_b32 s0, exec_lo
	v_cmpx_gt_i64_e64 s[2:3], v[1:2]
	s_cbranch_execz .LBB64_25
; %bb.23:
	s_load_dword s0, s[4:5], 0xcd4
	s_waitcnt vmcnt(0)
	v_cvt_f32_i32_e32 v4, v3
	v_lshlrev_b32_e32 v6, 3, v0
	v_mov_b32_e32 v1, v2
	v_rcp_iflag_f32_e32 v5, v4
	v_add_co_u32 v2, s4, s10, v6
	v_add_co_ci_u32_e64 v6, null, s11, 0, s4
	s_waitcnt lgkmcnt(0)
	s_and_b32 s4, s0, 0xffff
	s_lshl_b32 s5, s4, 3
.LBB64_24:                              ; =>This Inner Loop Header: Depth=1
	v_add_co_u32 v7, vcc_lo, s6, v2
	v_add_co_ci_u32_e64 v8, null, s7, v6, vcc_lo
	v_add_co_u32 v0, vcc_lo, v0, s4
	v_add_co_ci_u32_e64 v1, null, 0, v1, vcc_lo
	global_load_dwordx2 v[7:8], v[7:8], off
	v_add_co_u32 v9, vcc_lo, s8, v2
	v_add_co_ci_u32_e64 v10, null, s9, v6, vcc_lo
	v_lshlrev_b64 v[11:12], 2, v[0:1]
	v_cmp_le_i64_e64 s0, s[2:3], v[11:12]
	s_or_b32 s1, s0, s1
	s_waitcnt vmcnt(0)
	v_cvt_f32_i32_sdwa v14, sext(v7) dst_sel:DWORD dst_unused:UNUSED_PAD src0_sel:WORD_0
	v_cvt_f32_i32_sdwa v16, sext(v7) dst_sel:DWORD dst_unused:UNUSED_PAD src0_sel:WORD_1
	v_xor_b32_sdwa v13, sext(v7), v3 dst_sel:DWORD dst_unused:UNUSED_PAD src0_sel:WORD_0 src1_sel:DWORD
	v_xor_b32_sdwa v15, sext(v7), v3 dst_sel:DWORD dst_unused:UNUSED_PAD src0_sel:WORD_1 src1_sel:DWORD
	v_alignbit_b32 v7, v8, v7, 16
	v_mul_f32_e32 v18, v14, v5
	v_xor_b32_sdwa v17, sext(v8), v3 dst_sel:DWORD dst_unused:UNUSED_PAD src0_sel:WORD_1 src1_sel:DWORD
	v_cvt_f32_i32_sdwa v8, sext(v8) dst_sel:DWORD dst_unused:UNUSED_PAD src0_sel:WORD_1
	v_mul_f32_e32 v19, v16, v5
	v_ashrrev_i32_e32 v13, 30, v13
	v_trunc_f32_e32 v18, v18
	v_xor_b32_sdwa v20, sext(v7), v3 dst_sel:DWORD dst_unused:UNUSED_PAD src0_sel:WORD_1 src1_sel:DWORD
	v_cvt_f32_i32_sdwa v7, sext(v7) dst_sel:DWORD dst_unused:UNUSED_PAD src0_sel:WORD_1
	v_mul_f32_e32 v21, v8, v5
	v_trunc_f32_e32 v19, v19
	v_fma_f32 v14, -v18, v4, v14
	v_ashrrev_i32_e32 v15, 30, v15
	v_or_b32_e32 v13, 1, v13
	v_mul_f32_e32 v22, v7, v5
	v_trunc_f32_e32 v21, v21
	v_fma_f32 v16, -v19, v4, v16
	v_cmp_ge_f32_e64 vcc_lo, |v14|, |v4|
	v_ashrrev_i32_e32 v17, 30, v17
	v_or_b32_e32 v15, 1, v15
	v_trunc_f32_e32 v22, v22
	v_fma_f32 v8, -v21, v4, v8
	v_cndmask_b32_e32 v13, 0, v13, vcc_lo
	v_cmp_ge_f32_e64 vcc_lo, |v16|, |v4|
	v_ashrrev_i32_e32 v20, 30, v20
	v_or_b32_e32 v17, 1, v17
	v_fma_f32 v7, -v22, v4, v7
	v_cvt_i32_f32_e32 v18, v18
	v_cndmask_b32_e32 v14, 0, v15, vcc_lo
	v_cmp_ge_f32_e64 vcc_lo, |v8|, |v4|
	v_or_b32_e32 v20, 1, v20
	v_cvt_i32_f32_e32 v19, v19
	v_cvt_i32_f32_e32 v21, v21
	;; [unrolled: 1-line block ×3, first 2 shown]
	v_cndmask_b32_e32 v8, 0, v17, vcc_lo
	v_cmp_ge_f32_e64 vcc_lo, |v7|, |v4|
	v_add_nc_u32_e32 v13, v18, v13
	v_add_nc_u32_e32 v14, v19, v14
	;; [unrolled: 1-line block ×3, first 2 shown]
	v_cndmask_b32_e32 v7, 0, v20, vcc_lo
	v_add_co_u32 v2, vcc_lo, v2, s5
	v_add_co_ci_u32_e64 v6, null, 0, v6, vcc_lo
	v_add_nc_u32_e32 v15, v15, v7
	v_perm_b32 v7, v14, v13, 0x5040100
	v_perm_b32 v8, v8, v15, 0x5040100
	global_store_dwordx2 v[9:10], v[7:8], off
	s_andn2_b32 exec_lo, exec_lo, s1
	s_cbranch_execnz .LBB64_24
.LBB64_25:
	s_endpgm
	.section	.rodata,"a",@progbits
	.p2align	6, 0x0
	.amdhsa_kernel _ZN2at6native12_GLOBAL__N_125multi_tensor_apply_kernelINS1_28TensorListScalarListMetadataIsLi2EEENS1_25BinaryOpScalarListFunctorIsLi2ELi1ELi1EEEJSt7dividesIsEEEEvT_T0_DpT1_
		.amdhsa_group_segment_fixed_size 0
		.amdhsa_private_segment_fixed_size 0
		.amdhsa_kernarg_size 3528
		.amdhsa_user_sgpr_count 6
		.amdhsa_user_sgpr_private_segment_buffer 1
		.amdhsa_user_sgpr_dispatch_ptr 0
		.amdhsa_user_sgpr_queue_ptr 0
		.amdhsa_user_sgpr_kernarg_segment_ptr 1
		.amdhsa_user_sgpr_dispatch_id 0
		.amdhsa_user_sgpr_flat_scratch_init 0
		.amdhsa_user_sgpr_private_segment_size 0
		.amdhsa_wavefront_size32 1
		.amdhsa_uses_dynamic_stack 0
		.amdhsa_system_sgpr_private_segment_wavefront_offset 0
		.amdhsa_system_sgpr_workgroup_id_x 1
		.amdhsa_system_sgpr_workgroup_id_y 0
		.amdhsa_system_sgpr_workgroup_id_z 0
		.amdhsa_system_sgpr_workgroup_info 0
		.amdhsa_system_vgpr_workitem_id 0
		.amdhsa_next_free_vgpr 33
		.amdhsa_next_free_sgpr 23
		.amdhsa_reserve_vcc 1
		.amdhsa_reserve_flat_scratch 0
		.amdhsa_float_round_mode_32 0
		.amdhsa_float_round_mode_16_64 0
		.amdhsa_float_denorm_mode_32 3
		.amdhsa_float_denorm_mode_16_64 3
		.amdhsa_dx10_clamp 1
		.amdhsa_ieee_mode 1
		.amdhsa_fp16_overflow 0
		.amdhsa_workgroup_processor_mode 1
		.amdhsa_memory_ordered 1
		.amdhsa_forward_progress 1
		.amdhsa_shared_vgpr_count 0
		.amdhsa_exception_fp_ieee_invalid_op 0
		.amdhsa_exception_fp_denorm_src 0
		.amdhsa_exception_fp_ieee_div_zero 0
		.amdhsa_exception_fp_ieee_overflow 0
		.amdhsa_exception_fp_ieee_underflow 0
		.amdhsa_exception_fp_ieee_inexact 0
		.amdhsa_exception_int_div_zero 0
	.end_amdhsa_kernel
	.section	.text._ZN2at6native12_GLOBAL__N_125multi_tensor_apply_kernelINS1_28TensorListScalarListMetadataIsLi2EEENS1_25BinaryOpScalarListFunctorIsLi2ELi1ELi1EEEJSt7dividesIsEEEEvT_T0_DpT1_,"axG",@progbits,_ZN2at6native12_GLOBAL__N_125multi_tensor_apply_kernelINS1_28TensorListScalarListMetadataIsLi2EEENS1_25BinaryOpScalarListFunctorIsLi2ELi1ELi1EEEJSt7dividesIsEEEEvT_T0_DpT1_,comdat
.Lfunc_end64:
	.size	_ZN2at6native12_GLOBAL__N_125multi_tensor_apply_kernelINS1_28TensorListScalarListMetadataIsLi2EEENS1_25BinaryOpScalarListFunctorIsLi2ELi1ELi1EEEJSt7dividesIsEEEEvT_T0_DpT1_, .Lfunc_end64-_ZN2at6native12_GLOBAL__N_125multi_tensor_apply_kernelINS1_28TensorListScalarListMetadataIsLi2EEENS1_25BinaryOpScalarListFunctorIsLi2ELi1ELi1EEEJSt7dividesIsEEEEvT_T0_DpT1_
                                        ; -- End function
	.set _ZN2at6native12_GLOBAL__N_125multi_tensor_apply_kernelINS1_28TensorListScalarListMetadataIsLi2EEENS1_25BinaryOpScalarListFunctorIsLi2ELi1ELi1EEEJSt7dividesIsEEEEvT_T0_DpT1_.num_vgpr, 33
	.set _ZN2at6native12_GLOBAL__N_125multi_tensor_apply_kernelINS1_28TensorListScalarListMetadataIsLi2EEENS1_25BinaryOpScalarListFunctorIsLi2ELi1ELi1EEEJSt7dividesIsEEEEvT_T0_DpT1_.num_agpr, 0
	.set _ZN2at6native12_GLOBAL__N_125multi_tensor_apply_kernelINS1_28TensorListScalarListMetadataIsLi2EEENS1_25BinaryOpScalarListFunctorIsLi2ELi1ELi1EEEJSt7dividesIsEEEEvT_T0_DpT1_.numbered_sgpr, 23
	.set _ZN2at6native12_GLOBAL__N_125multi_tensor_apply_kernelINS1_28TensorListScalarListMetadataIsLi2EEENS1_25BinaryOpScalarListFunctorIsLi2ELi1ELi1EEEJSt7dividesIsEEEEvT_T0_DpT1_.num_named_barrier, 0
	.set _ZN2at6native12_GLOBAL__N_125multi_tensor_apply_kernelINS1_28TensorListScalarListMetadataIsLi2EEENS1_25BinaryOpScalarListFunctorIsLi2ELi1ELi1EEEJSt7dividesIsEEEEvT_T0_DpT1_.private_seg_size, 0
	.set _ZN2at6native12_GLOBAL__N_125multi_tensor_apply_kernelINS1_28TensorListScalarListMetadataIsLi2EEENS1_25BinaryOpScalarListFunctorIsLi2ELi1ELi1EEEJSt7dividesIsEEEEvT_T0_DpT1_.uses_vcc, 1
	.set _ZN2at6native12_GLOBAL__N_125multi_tensor_apply_kernelINS1_28TensorListScalarListMetadataIsLi2EEENS1_25BinaryOpScalarListFunctorIsLi2ELi1ELi1EEEJSt7dividesIsEEEEvT_T0_DpT1_.uses_flat_scratch, 0
	.set _ZN2at6native12_GLOBAL__N_125multi_tensor_apply_kernelINS1_28TensorListScalarListMetadataIsLi2EEENS1_25BinaryOpScalarListFunctorIsLi2ELi1ELi1EEEJSt7dividesIsEEEEvT_T0_DpT1_.has_dyn_sized_stack, 0
	.set _ZN2at6native12_GLOBAL__N_125multi_tensor_apply_kernelINS1_28TensorListScalarListMetadataIsLi2EEENS1_25BinaryOpScalarListFunctorIsLi2ELi1ELi1EEEJSt7dividesIsEEEEvT_T0_DpT1_.has_recursion, 0
	.set _ZN2at6native12_GLOBAL__N_125multi_tensor_apply_kernelINS1_28TensorListScalarListMetadataIsLi2EEENS1_25BinaryOpScalarListFunctorIsLi2ELi1ELi1EEEJSt7dividesIsEEEEvT_T0_DpT1_.has_indirect_call, 0
	.section	.AMDGPU.csdata,"",@progbits
; Kernel info:
; codeLenInByte = 1908
; TotalNumSgprs: 25
; NumVgprs: 33
; ScratchSize: 0
; MemoryBound: 0
; FloatMode: 240
; IeeeMode: 1
; LDSByteSize: 0 bytes/workgroup (compile time only)
; SGPRBlocks: 0
; VGPRBlocks: 4
; NumSGPRsForWavesPerEU: 25
; NumVGPRsForWavesPerEU: 33
; Occupancy: 16
; WaveLimiterHint : 0
; COMPUTE_PGM_RSRC2:SCRATCH_EN: 0
; COMPUTE_PGM_RSRC2:USER_SGPR: 6
; COMPUTE_PGM_RSRC2:TRAP_HANDLER: 0
; COMPUTE_PGM_RSRC2:TGID_X_EN: 1
; COMPUTE_PGM_RSRC2:TGID_Y_EN: 0
; COMPUTE_PGM_RSRC2:TGID_Z_EN: 0
; COMPUTE_PGM_RSRC2:TIDIG_COMP_CNT: 0
	.section	.text._ZN2at6native12_GLOBAL__N_125multi_tensor_apply_kernelINS1_28TensorListScalarListMetadataIdLi2EEENS1_25BinaryOpScalarListFunctorIdLi2ELi1ELi1EEEJSt7dividesIdEEEEvT_T0_DpT1_,"axG",@progbits,_ZN2at6native12_GLOBAL__N_125multi_tensor_apply_kernelINS1_28TensorListScalarListMetadataIdLi2EEENS1_25BinaryOpScalarListFunctorIdLi2ELi1ELi1EEEJSt7dividesIdEEEEvT_T0_DpT1_,comdat
	.globl	_ZN2at6native12_GLOBAL__N_125multi_tensor_apply_kernelINS1_28TensorListScalarListMetadataIdLi2EEENS1_25BinaryOpScalarListFunctorIdLi2ELi1ELi1EEEJSt7dividesIdEEEEvT_T0_DpT1_ ; -- Begin function _ZN2at6native12_GLOBAL__N_125multi_tensor_apply_kernelINS1_28TensorListScalarListMetadataIdLi2EEENS1_25BinaryOpScalarListFunctorIdLi2ELi1ELi1EEEJSt7dividesIdEEEEvT_T0_DpT1_
	.p2align	8
	.type	_ZN2at6native12_GLOBAL__N_125multi_tensor_apply_kernelINS1_28TensorListScalarListMetadataIdLi2EEENS1_25BinaryOpScalarListFunctorIdLi2ELi1ELi1EEEJSt7dividesIdEEEEvT_T0_DpT1_,@function
_ZN2at6native12_GLOBAL__N_125multi_tensor_apply_kernelINS1_28TensorListScalarListMetadataIdLi2EEENS1_25BinaryOpScalarListFunctorIdLi2ELi1ELi1EEEJSt7dividesIdEEEEvT_T0_DpT1_: ; @_ZN2at6native12_GLOBAL__N_125multi_tensor_apply_kernelINS1_28TensorListScalarListMetadataIdLi2EEENS1_25BinaryOpScalarListFunctorIdLi2ELi1ELi1EEEJSt7dividesIdEEEEvT_T0_DpT1_
; %bb.0:
	v_mov_b32_e32 v1, 0x800
	s_add_u32 s0, s4, s6
	s_addc_u32 s1, s5, 0
	s_mov_b32 s7, 0
	s_mov_b32 s19, s7
	global_load_ubyte v1, v1, s[0:1]
	s_lshl_b64 s[0:1], s[6:7], 2
	s_add_u32 s0, s4, s0
	s_addc_u32 s1, s5, s1
	s_load_dword s0, s[0:1], 0x940
	s_waitcnt vmcnt(0)
	v_readfirstlane_b32 s1, v1
	s_lshl_b32 s1, s1, 3
	s_clause 0x3
	s_load_dwordx2 s[8:9], s[4:5], s1 offset:0x0
	s_load_dwordx2 s[10:11], s[4:5], s1 offset:0x600
	;; [unrolled: 1-line block ×4, first 2 shown]
	s_waitcnt lgkmcnt(0)
	s_ashr_i32 s1, s0, 31
	s_lshl_b64 s[14:15], s[0:1], 19
	s_lshl_b64 s[0:1], s[0:1], 16
	s_add_u32 s6, s8, s14
	s_and_b32 s18, s12, 31
	s_and_b32 s6, s6, 31
	s_sub_u32 s16, s2, s0
	s_subb_u32 s17, s3, s1
	s_and_b32 s0, s2, 3
	s_mov_b32 s1, s7
	s_or_b64 s[0:1], s[18:19], s[0:1]
	s_or_b64 s[0:1], s[0:1], s[6:7]
	s_cmp_eq_u64 s[0:1], 0
	s_mov_b32 s0, -1
	s_cbranch_scc1 .LBB65_21
; %bb.1:
	v_cmp_lt_i64_e64 s0, s[16:17], 1
	s_and_b32 vcc_lo, exec_lo, s0
	s_cbranch_vccnz .LBB65_20
; %bb.2:
	s_load_dword s0, s[4:5], 0xe54
	v_cmp_gt_i64_e64 s1, 0x10000, s[16:17]
	v_lshlrev_b32_e32 v1, 3, v0
	v_mov_b32_e32 v2, 0
	v_cmp_gt_u64_e64 s2, 0x10000, s[16:17]
	s_mov_b64 s[20:21], 0
	s_and_b32 s1, s1, exec_lo
	s_cselect_b32 s7, s17, 0
	s_cselect_b32 s6, s16, 0x10000
	v_add_co_u32 v11, s1, s12, v1
	v_add_co_u32 v9, s3, s8, v1
	v_add_co_ci_u32_e64 v12, null, s13, 0, s1
	v_add_co_ci_u32_e64 v10, null, s9, 0, s3
	s_waitcnt lgkmcnt(0)
	s_and_b32 s0, s0, 0xffff
	s_and_b32 s1, s2, exec_lo
	v_mad_u64_u32 v[2:3], null, s0, 24, v[1:2]
	s_cselect_b32 s19, s17, 0
	s_cselect_b32 s18, s16, 0x10000
	s_mul_i32 s2, s0, 3
	s_lshl_b32 s3, s0, 4
	v_add_co_u32 v17, s2, s2, v0
	v_add_co_u32 v13, vcc_lo, s8, v2
	v_add_co_u32 v1, s3, s3, v1
	v_add_co_ci_u32_e64 v14, null, s9, v3, vcc_lo
	v_add_co_u32 v15, vcc_lo, s12, v2
	v_add_co_ci_u32_e64 v2, null, 0, 0, s3
	v_add_co_ci_u32_e64 v18, null, 0, 0, s2
	v_add_co_u32 v21, s2, v0, s0
	v_add_co_ci_u32_e64 v16, null, s13, v3, vcc_lo
	v_add_co_u32 v19, vcc_lo, s8, v1
	v_add_co_ci_u32_e64 v20, null, s9, v2, vcc_lo
	v_add_co_u32 v22, vcc_lo, s12, v1
	v_lshlrev_b32_e32 v1, 3, v21
	s_lshl_b32 s1, s0, 1
	v_add_co_ci_u32_e64 v23, null, s13, v2, vcc_lo
	v_add_co_u32 v25, s1, s1, v0
	v_add_co_ci_u32_e64 v26, null, 0, 0, s1
	v_add_co_u32 v27, s1, s8, v1
	v_add_co_ci_u32_e64 v28, null, s9, 0, s1
	;; [unrolled: 2-line block ×3, first 2 shown]
	v_add_co_ci_u32_e64 v30, null, s13, 0, s1
	s_lshl_b32 s22, s0, 2
	s_lshl_b32 s23, s0, 5
	s_branch .LBB65_4
.LBB65_3:                               ;   in Loop: Header=BB65_4 Depth=1
	s_or_b32 exec_lo, exec_lo, s1
	v_add_co_u32 v9, vcc_lo, v9, s23
	v_add_co_ci_u32_e64 v10, null, 0, v10, vcc_lo
	v_add_co_u32 v11, vcc_lo, v11, s23
	v_add_co_ci_u32_e64 v12, null, 0, v12, vcc_lo
	;; [unrolled: 2-line block ×4, first 2 shown]
	v_add_co_u32 v19, vcc_lo, v19, s23
	s_add_u32 s20, s20, s22
	v_add_co_ci_u32_e64 v20, null, 0, v20, vcc_lo
	v_add_co_u32 v22, vcc_lo, v22, s23
	s_addc_u32 s21, s21, 0
	v_add_co_ci_u32_e64 v23, null, 0, v23, vcc_lo
	v_add_co_u32 v27, vcc_lo, v27, s23
	v_cmp_lt_i64_e64 s0, s[20:21], s[6:7]
	v_add_co_ci_u32_e64 v28, null, 0, v28, vcc_lo
	v_add_co_u32 v29, vcc_lo, v29, s23
	v_add_co_ci_u32_e64 v30, null, 0, v30, vcc_lo
	s_and_b32 vcc_lo, exec_lo, s0
	s_cbranch_vccz .LBB65_20
.LBB65_4:                               ; =>This Inner Loop Header: Depth=1
	s_waitcnt vmcnt(0)
	v_add_co_u32 v1, s0, v0, s20
	v_add_co_ci_u32_e64 v2, null, 0, s21, s0
	v_mov_b32_e32 v3, 0
	v_mov_b32_e32 v7, 0
	;; [unrolled: 1-line block ×3, first 2 shown]
	v_cmp_gt_u64_e32 vcc_lo, s[18:19], v[1:2]
	v_mov_b32_e32 v8, 0
	s_and_saveexec_b32 s1, vcc_lo
	s_cbranch_execz .LBB65_6
; %bb.5:                                ;   in Loop: Header=BB65_4 Depth=1
	v_add_co_u32 v1, s0, v9, s14
	v_add_co_ci_u32_e64 v2, null, s15, v10, s0
	global_load_dwordx2 v[7:8], v[1:2], off
.LBB65_6:                               ;   in Loop: Header=BB65_4 Depth=1
	s_or_b32 exec_lo, exec_lo, s1
	v_add_co_u32 v1, s0, v21, s20
	v_add_co_ci_u32_e64 v2, null, s21, v24, s0
	v_cmp_gt_u64_e64 s2, s[18:19], v[1:2]
	s_and_saveexec_b32 s1, s2
	s_cbranch_execz .LBB65_8
; %bb.7:                                ;   in Loop: Header=BB65_4 Depth=1
	v_add_co_u32 v1, s0, v27, s14
	v_add_co_ci_u32_e64 v2, null, s15, v28, s0
	global_load_dwordx2 v[3:4], v[1:2], off
.LBB65_8:                               ;   in Loop: Header=BB65_4 Depth=1
	s_or_b32 exec_lo, exec_lo, s1
	v_add_co_u32 v5, s0, v25, s20
	v_add_co_ci_u32_e64 v6, null, s21, v26, s0
	v_mov_b32_e32 v1, 0
	v_mov_b32_e32 v2, 0
	v_cmp_gt_u64_e64 s1, s[18:19], v[5:6]
	v_mov_b32_e32 v5, 0
	v_mov_b32_e32 v6, 0
	s_and_saveexec_b32 s3, s1
	s_cbranch_execz .LBB65_10
; %bb.9:                                ;   in Loop: Header=BB65_4 Depth=1
	v_add_co_u32 v5, s0, v19, s14
	v_add_co_ci_u32_e64 v6, null, s15, v20, s0
	global_load_dwordx2 v[5:6], v[5:6], off
.LBB65_10:                              ;   in Loop: Header=BB65_4 Depth=1
	s_or_b32 exec_lo, exec_lo, s3
	v_add_co_u32 v31, s0, v17, s20
	v_add_co_ci_u32_e64 v32, null, s21, v18, s0
	v_cmp_gt_u64_e64 s0, s[18:19], v[31:32]
	s_and_saveexec_b32 s24, s0
	s_cbranch_execnz .LBB65_15
; %bb.11:                               ;   in Loop: Header=BB65_4 Depth=1
	s_or_b32 exec_lo, exec_lo, s24
	s_and_saveexec_b32 s3, vcc_lo
	s_cbranch_execnz .LBB65_16
.LBB65_12:                              ;   in Loop: Header=BB65_4 Depth=1
	s_or_b32 exec_lo, exec_lo, s3
	s_and_saveexec_b32 s3, s2
	s_cbranch_execnz .LBB65_17
.LBB65_13:                              ;   in Loop: Header=BB65_4 Depth=1
	s_or_b32 exec_lo, exec_lo, s3
	s_and_saveexec_b32 s2, s1
	s_cbranch_execnz .LBB65_18
.LBB65_14:                              ;   in Loop: Header=BB65_4 Depth=1
	s_or_b32 exec_lo, exec_lo, s2
	s_and_saveexec_b32 s1, s0
	s_cbranch_execz .LBB65_3
	s_branch .LBB65_19
.LBB65_15:                              ;   in Loop: Header=BB65_4 Depth=1
	v_add_co_u32 v1, s3, v13, s14
	v_add_co_ci_u32_e64 v2, null, s15, v14, s3
	global_load_dwordx2 v[1:2], v[1:2], off
	s_or_b32 exec_lo, exec_lo, s24
	s_and_saveexec_b32 s3, vcc_lo
	s_cbranch_execz .LBB65_12
.LBB65_16:                              ;   in Loop: Header=BB65_4 Depth=1
	s_waitcnt vmcnt(0)
	v_div_scale_f64 v[31:32], null, s[10:11], s[10:11], v[7:8]
	v_rcp_f64_e32 v[33:34], v[31:32]
	v_fma_f64 v[35:36], -v[31:32], v[33:34], 1.0
	v_fma_f64 v[33:34], v[33:34], v[35:36], v[33:34]
	v_fma_f64 v[35:36], -v[31:32], v[33:34], 1.0
	v_fma_f64 v[33:34], v[33:34], v[35:36], v[33:34]
	v_div_scale_f64 v[35:36], vcc_lo, v[7:8], s[10:11], v[7:8]
	v_mul_f64 v[37:38], v[35:36], v[33:34]
	v_fma_f64 v[31:32], -v[31:32], v[37:38], v[35:36]
	v_div_fmas_f64 v[31:32], v[31:32], v[33:34], v[37:38]
	v_div_fixup_f64 v[7:8], v[31:32], s[10:11], v[7:8]
	v_add_co_u32 v31, vcc_lo, v11, s14
	v_add_co_ci_u32_e64 v32, null, s15, v12, vcc_lo
	global_store_dwordx2 v[31:32], v[7:8], off
	s_or_b32 exec_lo, exec_lo, s3
	s_and_saveexec_b32 s3, s2
	s_cbranch_execz .LBB65_13
.LBB65_17:                              ;   in Loop: Header=BB65_4 Depth=1
	s_waitcnt vmcnt(0)
	v_div_scale_f64 v[7:8], null, s[10:11], s[10:11], v[3:4]
	v_rcp_f64_e32 v[31:32], v[7:8]
	v_fma_f64 v[33:34], -v[7:8], v[31:32], 1.0
	v_fma_f64 v[31:32], v[31:32], v[33:34], v[31:32]
	v_fma_f64 v[33:34], -v[7:8], v[31:32], 1.0
	v_fma_f64 v[31:32], v[31:32], v[33:34], v[31:32]
	v_div_scale_f64 v[33:34], vcc_lo, v[3:4], s[10:11], v[3:4]
	v_mul_f64 v[35:36], v[33:34], v[31:32]
	v_fma_f64 v[7:8], -v[7:8], v[35:36], v[33:34]
	v_div_fmas_f64 v[7:8], v[7:8], v[31:32], v[35:36]
	v_div_fixup_f64 v[3:4], v[7:8], s[10:11], v[3:4]
	v_add_co_u32 v7, vcc_lo, v29, s14
	v_add_co_ci_u32_e64 v8, null, s15, v30, vcc_lo
	global_store_dwordx2 v[7:8], v[3:4], off
	s_or_b32 exec_lo, exec_lo, s3
	s_and_saveexec_b32 s2, s1
	s_cbranch_execz .LBB65_14
.LBB65_18:                              ;   in Loop: Header=BB65_4 Depth=1
	s_waitcnt vmcnt(0)
	v_div_scale_f64 v[3:4], null, s[10:11], s[10:11], v[5:6]
	v_rcp_f64_e32 v[7:8], v[3:4]
	v_fma_f64 v[31:32], -v[3:4], v[7:8], 1.0
	v_fma_f64 v[7:8], v[7:8], v[31:32], v[7:8]
	v_fma_f64 v[31:32], -v[3:4], v[7:8], 1.0
	v_fma_f64 v[7:8], v[7:8], v[31:32], v[7:8]
	v_div_scale_f64 v[31:32], vcc_lo, v[5:6], s[10:11], v[5:6]
	v_mul_f64 v[33:34], v[31:32], v[7:8]
	v_fma_f64 v[3:4], -v[3:4], v[33:34], v[31:32]
	v_div_fmas_f64 v[3:4], v[3:4], v[7:8], v[33:34]
	v_div_fixup_f64 v[3:4], v[3:4], s[10:11], v[5:6]
	v_add_co_u32 v5, vcc_lo, v22, s14
	v_add_co_ci_u32_e64 v6, null, s15, v23, vcc_lo
	global_store_dwordx2 v[5:6], v[3:4], off
	s_or_b32 exec_lo, exec_lo, s2
	s_and_saveexec_b32 s1, s0
	s_cbranch_execz .LBB65_3
.LBB65_19:                              ;   in Loop: Header=BB65_4 Depth=1
	s_waitcnt vmcnt(0)
	v_div_scale_f64 v[3:4], null, s[10:11], s[10:11], v[1:2]
	v_rcp_f64_e32 v[5:6], v[3:4]
	v_fma_f64 v[7:8], -v[3:4], v[5:6], 1.0
	v_fma_f64 v[5:6], v[5:6], v[7:8], v[5:6]
	v_fma_f64 v[7:8], -v[3:4], v[5:6], 1.0
	v_fma_f64 v[5:6], v[5:6], v[7:8], v[5:6]
	v_div_scale_f64 v[7:8], vcc_lo, v[1:2], s[10:11], v[1:2]
	v_mul_f64 v[31:32], v[7:8], v[5:6]
	v_fma_f64 v[3:4], -v[3:4], v[31:32], v[7:8]
	v_div_fmas_f64 v[3:4], v[3:4], v[5:6], v[31:32]
	v_div_fixup_f64 v[1:2], v[3:4], s[10:11], v[1:2]
	v_add_co_u32 v3, vcc_lo, v15, s14
	v_add_co_ci_u32_e64 v4, null, s15, v16, vcc_lo
	global_store_dwordx2 v[3:4], v[1:2], off
	s_branch .LBB65_3
.LBB65_20:
	s_mov_b32 s0, 0
.LBB65_21:
	s_andn2_b32 vcc_lo, exec_lo, s0
	s_cbranch_vccnz .LBB65_25
; %bb.22:
	v_cmp_gt_i64_e64 s0, 0x10000, s[16:17]
	s_waitcnt vmcnt(0)
	v_mov_b32_e32 v2, 0
	v_lshlrev_b32_e32 v1, 2, v0
	s_mov_b32 s3, 0
	s_and_b32 s0, s0, exec_lo
	s_cselect_b32 s7, s17, 0
	s_cselect_b32 s6, s16, 0x10000
	s_mov_b32 s0, exec_lo
	v_cmpx_gt_i64_e64 s[6:7], v[1:2]
	s_cbranch_execz .LBB65_25
; %bb.23:
	s_load_dword s0, s[4:5], 0xe54
	v_lshlrev_b32_e32 v3, 5, v0
	v_mov_b32_e32 v1, v2
	v_add_co_u32 v2, s1, s14, v3
	v_add_co_ci_u32_e64 v3, null, s15, 0, s1
	s_waitcnt lgkmcnt(0)
	s_and_b32 s4, s0, 0xffff
	s_lshl_b32 s5, s4, 5
.LBB65_24:                              ; =>This Inner Loop Header: Depth=1
	v_add_co_u32 v8, vcc_lo, s8, v2
	v_add_co_ci_u32_e64 v9, null, s9, v3, vcc_lo
	s_clause 0x1
	global_load_dwordx4 v[4:7], v[8:9], off
	global_load_dwordx4 v[8:11], v[8:9], off offset:16
	s_waitcnt vmcnt(1)
	v_div_scale_f64 v[12:13], null, s[10:11], s[10:11], v[4:5]
	v_div_scale_f64 v[14:15], null, s[10:11], s[10:11], v[6:7]
	s_waitcnt vmcnt(0)
	v_div_scale_f64 v[16:17], null, s[10:11], s[10:11], v[8:9]
	v_div_scale_f64 v[18:19], null, s[10:11], s[10:11], v[10:11]
	v_div_scale_f64 v[36:37], vcc_lo, v[4:5], s[10:11], v[4:5]
	v_div_scale_f64 v[38:39], s0, v[6:7], s[10:11], v[6:7]
	v_div_scale_f64 v[40:41], s1, v[8:9], s[10:11], v[8:9]
	;; [unrolled: 1-line block ×3, first 2 shown]
	v_rcp_f64_e32 v[20:21], v[12:13]
	v_rcp_f64_e32 v[22:23], v[14:15]
	;; [unrolled: 1-line block ×4, first 2 shown]
	v_fma_f64 v[28:29], -v[12:13], v[20:21], 1.0
	v_fma_f64 v[30:31], -v[14:15], v[22:23], 1.0
	v_fma_f64 v[32:33], -v[16:17], v[24:25], 1.0
	v_fma_f64 v[34:35], -v[18:19], v[26:27], 1.0
	v_fma_f64 v[20:21], v[20:21], v[28:29], v[20:21]
	v_fma_f64 v[22:23], v[22:23], v[30:31], v[22:23]
	;; [unrolled: 1-line block ×4, first 2 shown]
	v_fma_f64 v[28:29], -v[12:13], v[20:21], 1.0
	v_fma_f64 v[30:31], -v[14:15], v[22:23], 1.0
	;; [unrolled: 1-line block ×4, first 2 shown]
	v_fma_f64 v[20:21], v[20:21], v[28:29], v[20:21]
	v_fma_f64 v[22:23], v[22:23], v[30:31], v[22:23]
	;; [unrolled: 1-line block ×4, first 2 shown]
	v_mul_f64 v[28:29], v[36:37], v[20:21]
	v_mul_f64 v[30:31], v[38:39], v[22:23]
	;; [unrolled: 1-line block ×4, first 2 shown]
	v_fma_f64 v[12:13], -v[12:13], v[28:29], v[36:37]
	v_fma_f64 v[14:15], -v[14:15], v[30:31], v[38:39]
	;; [unrolled: 1-line block ×4, first 2 shown]
	v_div_fmas_f64 v[12:13], v[12:13], v[20:21], v[28:29]
	s_mov_b32 vcc_lo, s0
	v_div_fmas_f64 v[14:15], v[14:15], v[22:23], v[30:31]
	s_mov_b32 vcc_lo, s1
	;; [unrolled: 2-line block ×3, first 2 shown]
	v_div_fmas_f64 v[18:19], v[18:19], v[26:27], v[34:35]
	v_add_co_u32 v0, vcc_lo, v0, s4
	v_add_co_ci_u32_e64 v1, null, 0, v1, vcc_lo
	v_div_fixup_f64 v[4:5], v[12:13], s[10:11], v[4:5]
	v_lshlrev_b64 v[12:13], 2, v[0:1]
	v_div_fixup_f64 v[6:7], v[14:15], s[10:11], v[6:7]
	v_add_co_u32 v14, vcc_lo, s12, v2
	v_div_fixup_f64 v[8:9], v[16:17], s[10:11], v[8:9]
	v_add_co_ci_u32_e64 v15, null, s13, v3, vcc_lo
	v_div_fixup_f64 v[10:11], v[18:19], s[10:11], v[10:11]
	v_cmp_le_i64_e32 vcc_lo, s[6:7], v[12:13]
	v_add_co_u32 v2, s0, v2, s5
	v_add_co_ci_u32_e64 v3, null, 0, v3, s0
	global_store_dwordx4 v[14:15], v[4:7], off
	global_store_dwordx4 v[14:15], v[8:11], off offset:16
	s_or_b32 s3, vcc_lo, s3
	s_andn2_b32 exec_lo, exec_lo, s3
	s_cbranch_execnz .LBB65_24
.LBB65_25:
	s_endpgm
	.section	.rodata,"a",@progbits
	.p2align	6, 0x0
	.amdhsa_kernel _ZN2at6native12_GLOBAL__N_125multi_tensor_apply_kernelINS1_28TensorListScalarListMetadataIdLi2EEENS1_25BinaryOpScalarListFunctorIdLi2ELi1ELi1EEEJSt7dividesIdEEEEvT_T0_DpT1_
		.amdhsa_group_segment_fixed_size 0
		.amdhsa_private_segment_fixed_size 0
		.amdhsa_kernarg_size 3912
		.amdhsa_user_sgpr_count 6
		.amdhsa_user_sgpr_private_segment_buffer 1
		.amdhsa_user_sgpr_dispatch_ptr 0
		.amdhsa_user_sgpr_queue_ptr 0
		.amdhsa_user_sgpr_kernarg_segment_ptr 1
		.amdhsa_user_sgpr_dispatch_id 0
		.amdhsa_user_sgpr_flat_scratch_init 0
		.amdhsa_user_sgpr_private_segment_size 0
		.amdhsa_wavefront_size32 1
		.amdhsa_uses_dynamic_stack 0
		.amdhsa_system_sgpr_private_segment_wavefront_offset 0
		.amdhsa_system_sgpr_workgroup_id_x 1
		.amdhsa_system_sgpr_workgroup_id_y 0
		.amdhsa_system_sgpr_workgroup_id_z 0
		.amdhsa_system_sgpr_workgroup_info 0
		.amdhsa_system_vgpr_workitem_id 0
		.amdhsa_next_free_vgpr 44
		.amdhsa_next_free_sgpr 25
		.amdhsa_reserve_vcc 1
		.amdhsa_reserve_flat_scratch 0
		.amdhsa_float_round_mode_32 0
		.amdhsa_float_round_mode_16_64 0
		.amdhsa_float_denorm_mode_32 3
		.amdhsa_float_denorm_mode_16_64 3
		.amdhsa_dx10_clamp 1
		.amdhsa_ieee_mode 1
		.amdhsa_fp16_overflow 0
		.amdhsa_workgroup_processor_mode 1
		.amdhsa_memory_ordered 1
		.amdhsa_forward_progress 1
		.amdhsa_shared_vgpr_count 0
		.amdhsa_exception_fp_ieee_invalid_op 0
		.amdhsa_exception_fp_denorm_src 0
		.amdhsa_exception_fp_ieee_div_zero 0
		.amdhsa_exception_fp_ieee_overflow 0
		.amdhsa_exception_fp_ieee_underflow 0
		.amdhsa_exception_fp_ieee_inexact 0
		.amdhsa_exception_int_div_zero 0
	.end_amdhsa_kernel
	.section	.text._ZN2at6native12_GLOBAL__N_125multi_tensor_apply_kernelINS1_28TensorListScalarListMetadataIdLi2EEENS1_25BinaryOpScalarListFunctorIdLi2ELi1ELi1EEEJSt7dividesIdEEEEvT_T0_DpT1_,"axG",@progbits,_ZN2at6native12_GLOBAL__N_125multi_tensor_apply_kernelINS1_28TensorListScalarListMetadataIdLi2EEENS1_25BinaryOpScalarListFunctorIdLi2ELi1ELi1EEEJSt7dividesIdEEEEvT_T0_DpT1_,comdat
.Lfunc_end65:
	.size	_ZN2at6native12_GLOBAL__N_125multi_tensor_apply_kernelINS1_28TensorListScalarListMetadataIdLi2EEENS1_25BinaryOpScalarListFunctorIdLi2ELi1ELi1EEEJSt7dividesIdEEEEvT_T0_DpT1_, .Lfunc_end65-_ZN2at6native12_GLOBAL__N_125multi_tensor_apply_kernelINS1_28TensorListScalarListMetadataIdLi2EEENS1_25BinaryOpScalarListFunctorIdLi2ELi1ELi1EEEJSt7dividesIdEEEEvT_T0_DpT1_
                                        ; -- End function
	.set _ZN2at6native12_GLOBAL__N_125multi_tensor_apply_kernelINS1_28TensorListScalarListMetadataIdLi2EEENS1_25BinaryOpScalarListFunctorIdLi2ELi1ELi1EEEJSt7dividesIdEEEEvT_T0_DpT1_.num_vgpr, 44
	.set _ZN2at6native12_GLOBAL__N_125multi_tensor_apply_kernelINS1_28TensorListScalarListMetadataIdLi2EEENS1_25BinaryOpScalarListFunctorIdLi2ELi1ELi1EEEJSt7dividesIdEEEEvT_T0_DpT1_.num_agpr, 0
	.set _ZN2at6native12_GLOBAL__N_125multi_tensor_apply_kernelINS1_28TensorListScalarListMetadataIdLi2EEENS1_25BinaryOpScalarListFunctorIdLi2ELi1ELi1EEEJSt7dividesIdEEEEvT_T0_DpT1_.numbered_sgpr, 25
	.set _ZN2at6native12_GLOBAL__N_125multi_tensor_apply_kernelINS1_28TensorListScalarListMetadataIdLi2EEENS1_25BinaryOpScalarListFunctorIdLi2ELi1ELi1EEEJSt7dividesIdEEEEvT_T0_DpT1_.num_named_barrier, 0
	.set _ZN2at6native12_GLOBAL__N_125multi_tensor_apply_kernelINS1_28TensorListScalarListMetadataIdLi2EEENS1_25BinaryOpScalarListFunctorIdLi2ELi1ELi1EEEJSt7dividesIdEEEEvT_T0_DpT1_.private_seg_size, 0
	.set _ZN2at6native12_GLOBAL__N_125multi_tensor_apply_kernelINS1_28TensorListScalarListMetadataIdLi2EEENS1_25BinaryOpScalarListFunctorIdLi2ELi1ELi1EEEJSt7dividesIdEEEEvT_T0_DpT1_.uses_vcc, 1
	.set _ZN2at6native12_GLOBAL__N_125multi_tensor_apply_kernelINS1_28TensorListScalarListMetadataIdLi2EEENS1_25BinaryOpScalarListFunctorIdLi2ELi1ELi1EEEJSt7dividesIdEEEEvT_T0_DpT1_.uses_flat_scratch, 0
	.set _ZN2at6native12_GLOBAL__N_125multi_tensor_apply_kernelINS1_28TensorListScalarListMetadataIdLi2EEENS1_25BinaryOpScalarListFunctorIdLi2ELi1ELi1EEEJSt7dividesIdEEEEvT_T0_DpT1_.has_dyn_sized_stack, 0
	.set _ZN2at6native12_GLOBAL__N_125multi_tensor_apply_kernelINS1_28TensorListScalarListMetadataIdLi2EEENS1_25BinaryOpScalarListFunctorIdLi2ELi1ELi1EEEJSt7dividesIdEEEEvT_T0_DpT1_.has_recursion, 0
	.set _ZN2at6native12_GLOBAL__N_125multi_tensor_apply_kernelINS1_28TensorListScalarListMetadataIdLi2EEENS1_25BinaryOpScalarListFunctorIdLi2ELi1ELi1EEEJSt7dividesIdEEEEvT_T0_DpT1_.has_indirect_call, 0
	.section	.AMDGPU.csdata,"",@progbits
; Kernel info:
; codeLenInByte = 2076
; TotalNumSgprs: 27
; NumVgprs: 44
; ScratchSize: 0
; MemoryBound: 0
; FloatMode: 240
; IeeeMode: 1
; LDSByteSize: 0 bytes/workgroup (compile time only)
; SGPRBlocks: 0
; VGPRBlocks: 5
; NumSGPRsForWavesPerEU: 27
; NumVGPRsForWavesPerEU: 44
; Occupancy: 16
; WaveLimiterHint : 1
; COMPUTE_PGM_RSRC2:SCRATCH_EN: 0
; COMPUTE_PGM_RSRC2:USER_SGPR: 6
; COMPUTE_PGM_RSRC2:TRAP_HANDLER: 0
; COMPUTE_PGM_RSRC2:TGID_X_EN: 1
; COMPUTE_PGM_RSRC2:TGID_Y_EN: 0
; COMPUTE_PGM_RSRC2:TGID_Z_EN: 0
; COMPUTE_PGM_RSRC2:TIDIG_COMP_CNT: 0
	.section	.text._ZN2at6native12_GLOBAL__N_125multi_tensor_apply_kernelINS1_28TensorListScalarListMetadataIfLi2EEENS1_25BinaryOpScalarListFunctorIfLi2ELi1ELi1EEEJSt7dividesIfEEEEvT_T0_DpT1_,"axG",@progbits,_ZN2at6native12_GLOBAL__N_125multi_tensor_apply_kernelINS1_28TensorListScalarListMetadataIfLi2EEENS1_25BinaryOpScalarListFunctorIfLi2ELi1ELi1EEEJSt7dividesIfEEEEvT_T0_DpT1_,comdat
	.globl	_ZN2at6native12_GLOBAL__N_125multi_tensor_apply_kernelINS1_28TensorListScalarListMetadataIfLi2EEENS1_25BinaryOpScalarListFunctorIfLi2ELi1ELi1EEEJSt7dividesIfEEEEvT_T0_DpT1_ ; -- Begin function _ZN2at6native12_GLOBAL__N_125multi_tensor_apply_kernelINS1_28TensorListScalarListMetadataIfLi2EEENS1_25BinaryOpScalarListFunctorIfLi2ELi1ELi1EEEJSt7dividesIfEEEEvT_T0_DpT1_
	.p2align	8
	.type	_ZN2at6native12_GLOBAL__N_125multi_tensor_apply_kernelINS1_28TensorListScalarListMetadataIfLi2EEENS1_25BinaryOpScalarListFunctorIfLi2ELi1ELi1EEEJSt7dividesIfEEEEvT_T0_DpT1_,@function
_ZN2at6native12_GLOBAL__N_125multi_tensor_apply_kernelINS1_28TensorListScalarListMetadataIfLi2EEENS1_25BinaryOpScalarListFunctorIfLi2ELi1ELi1EEEJSt7dividesIfEEEEvT_T0_DpT1_: ; @_ZN2at6native12_GLOBAL__N_125multi_tensor_apply_kernelINS1_28TensorListScalarListMetadataIfLi2EEENS1_25BinaryOpScalarListFunctorIfLi2ELi1ELi1EEEJSt7dividesIfEEEEvT_T0_DpT1_
; %bb.0:
	v_mov_b32_e32 v1, s6
	s_add_u32 s0, s4, s6
	s_mul_hi_u32 s1, s6, 3
	s_mul_i32 s6, s6, 3
	s_addc_u32 s2, s5, 0
	global_load_ubyte v1, v1, s[4:5] offset:1792
	s_add_u32 s0, s0, s6
	s_addc_u32 s1, s2, s1
	s_mov_b32 s15, 0
	s_load_dword s0, s[0:1], 0x840
	s_mov_b32 s17, s15
	s_waitcnt vmcnt(0)
	v_readfirstlane_b32 s1, v1
	v_lshlrev_b32_e32 v1, 2, v1
	s_lshl_b32 s10, s1, 3
	v_sub_co_u32 v1, s1, 0, v1
	v_sub_co_ci_u32_e64 v2, null, 0, 0, s1
	s_waitcnt lgkmcnt(0)
	s_ashr_i32 s1, s0, 31
	s_clause 0x2
	s_load_dwordx2 s[2:3], s[4:5], s10 offset:0x400
	s_load_dwordx2 s[6:7], s[4:5], s10 offset:0x0
	;; [unrolled: 1-line block ×3, first 2 shown]
	s_add_u32 s10, s4, s10
	s_addc_u32 s11, s5, 0
	v_add_co_u32 v1, vcc_lo, s10, v1
	v_add_co_ci_u32_e64 v2, null, s11, v2, vcc_lo
	v_readfirstlane_b32 s10, v1
	v_readfirstlane_b32 s11, v2
	s_load_dword s20, s[10:11], 0x600
	s_lshl_b64 s[10:11], s[0:1], 18
	s_lshl_b64 s[0:1], s[0:1], 16
	s_waitcnt lgkmcnt(0)
	s_add_u32 s12, s6, s10
	s_and_b32 s16, s8, 15
	s_and_b32 s14, s12, 15
	s_sub_u32 s12, s2, s0
	s_subb_u32 s13, s3, s1
	s_and_b32 s0, s2, 3
	s_mov_b32 s1, s15
	s_or_b64 s[0:1], s[16:17], s[0:1]
	s_or_b64 s[0:1], s[0:1], s[14:15]
	s_cmp_eq_u64 s[0:1], 0
	s_mov_b32 s0, -1
	s_cbranch_scc1 .LBB66_21
; %bb.1:
	v_cmp_lt_i64_e64 s0, s[12:13], 1
	s_and_b32 vcc_lo, exec_lo, s0
	s_cbranch_vccnz .LBB66_20
; %bb.2:
	s_load_dword s0, s[4:5], 0xd54
	v_cmp_gt_i64_e64 s1, 0x10000, s[12:13]
	v_lshlrev_b32_e32 v9, 2, v0
	v_cmp_gt_u64_e64 s2, 0x10000, s[12:13]
	v_mov_b32_e32 v10, 0
	s_mov_b64 s[18:19], 0
	s_and_b32 s1, s1, exec_lo
	v_add_co_u32 v3, s1, s8, v9
	v_add_co_u32 v1, s3, s6, v9
	s_cselect_b32 s15, s13, 0
	s_cselect_b32 s14, s12, 0x10000
	v_add_co_ci_u32_e64 v4, null, s9, 0, s1
	v_add_co_ci_u32_e64 v2, null, s7, 0, s3
	s_waitcnt lgkmcnt(0)
	s_and_b32 s0, s0, 0xffff
	s_and_b32 s1, s2, exec_lo
	s_cselect_b32 s17, s13, 0
	s_cselect_b32 s16, s12, 0x10000
	s_mul_i32 s2, s0, 3
	s_lshl_b32 s3, s0, 3
	v_mad_u64_u32 v[7:8], null, s0, 12, v[9:10]
	v_add_co_u32 v14, s3, s3, v9
	v_add_co_u32 v9, s2, s2, v0
	v_add_co_ci_u32_e64 v10, null, 0, 0, s2
	v_add_co_u32 v13, s2, v0, s0
	s_lshl_b32 s1, s0, 1
	v_add_co_u32 v5, vcc_lo, s6, v7
	v_lshlrev_b32_e32 v21, 2, v13
	v_add_co_ci_u32_e64 v15, null, 0, 0, s3
	v_add_co_ci_u32_e64 v6, null, s7, v8, vcc_lo
	v_add_co_u32 v7, vcc_lo, s8, v7
	v_add_co_u32 v17, s1, s1, v0
	v_add_co_ci_u32_e64 v8, null, s9, v8, vcc_lo
	v_add_co_u32 v11, vcc_lo, s6, v14
	v_add_co_ci_u32_e64 v18, null, 0, 0, s1
	v_add_co_u32 v19, s1, s6, v21
	v_add_co_ci_u32_e64 v12, null, s7, v15, vcc_lo
	v_add_co_u32 v14, vcc_lo, s8, v14
	v_add_co_ci_u32_e64 v20, null, s7, 0, s1
	v_add_co_u32 v21, s1, s8, v21
	v_add_co_ci_u32_e64 v15, null, s9, v15, vcc_lo
	v_add_co_ci_u32_e64 v16, null, 0, 0, s2
	v_add_co_ci_u32_e64 v22, null, s9, 0, s1
	s_lshl_b32 s21, s0, 2
	s_lshl_b32 s22, s0, 4
	s_branch .LBB66_4
.LBB66_3:                               ;   in Loop: Header=BB66_4 Depth=1
	s_or_b32 exec_lo, exec_lo, s1
	v_add_co_u32 v1, vcc_lo, v1, s22
	v_add_co_ci_u32_e64 v2, null, 0, v2, vcc_lo
	v_add_co_u32 v3, vcc_lo, v3, s22
	v_add_co_ci_u32_e64 v4, null, 0, v4, vcc_lo
	;; [unrolled: 2-line block ×4, first 2 shown]
	v_add_co_u32 v11, vcc_lo, v11, s22
	s_add_u32 s18, s18, s21
	v_add_co_ci_u32_e64 v12, null, 0, v12, vcc_lo
	v_add_co_u32 v14, vcc_lo, v14, s22
	s_addc_u32 s19, s19, 0
	v_add_co_ci_u32_e64 v15, null, 0, v15, vcc_lo
	v_add_co_u32 v19, vcc_lo, v19, s22
	v_cmp_lt_i64_e64 s0, s[18:19], s[14:15]
	v_add_co_ci_u32_e64 v20, null, 0, v20, vcc_lo
	v_add_co_u32 v21, vcc_lo, v21, s22
	v_add_co_ci_u32_e64 v22, null, 0, v22, vcc_lo
	s_and_b32 vcc_lo, exec_lo, s0
	s_cbranch_vccz .LBB66_20
.LBB66_4:                               ; =>This Inner Loop Header: Depth=1
	s_waitcnt vmcnt(0)
	v_add_co_u32 v23, s0, v0, s18
	v_add_co_ci_u32_e64 v24, null, 0, s19, s0
	v_mov_b32_e32 v26, 0
	v_cmp_gt_u64_e32 vcc_lo, s[16:17], v[23:24]
	s_and_saveexec_b32 s1, vcc_lo
	s_cbranch_execz .LBB66_6
; %bb.5:                                ;   in Loop: Header=BB66_4 Depth=1
	v_add_co_u32 v23, s0, v1, s10
	v_add_co_ci_u32_e64 v24, null, s11, v2, s0
	global_load_dword v26, v[23:24], off
.LBB66_6:                               ;   in Loop: Header=BB66_4 Depth=1
	s_or_b32 exec_lo, exec_lo, s1
	v_add_co_u32 v23, s0, v13, s18
	v_add_co_ci_u32_e64 v24, null, s19, v16, s0
	v_mov_b32_e32 v25, 0
	v_cmp_gt_u64_e64 s2, s[16:17], v[23:24]
	v_mov_b32_e32 v23, 0
	s_and_saveexec_b32 s1, s2
	s_cbranch_execz .LBB66_8
; %bb.7:                                ;   in Loop: Header=BB66_4 Depth=1
	v_add_co_u32 v24, s0, v19, s10
	v_add_co_ci_u32_e64 v25, null, s11, v20, s0
	global_load_dword v25, v[24:25], off
.LBB66_8:                               ;   in Loop: Header=BB66_4 Depth=1
	s_or_b32 exec_lo, exec_lo, s1
	v_add_co_u32 v27, s0, v17, s18
	v_add_co_ci_u32_e64 v28, null, s19, v18, s0
	v_cmp_gt_u64_e64 s1, s[16:17], v[27:28]
	s_and_saveexec_b32 s3, s1
	s_cbranch_execz .LBB66_10
; %bb.9:                                ;   in Loop: Header=BB66_4 Depth=1
	v_add_co_u32 v23, s0, v11, s10
	v_add_co_ci_u32_e64 v24, null, s11, v12, s0
	global_load_dword v23, v[23:24], off
.LBB66_10:                              ;   in Loop: Header=BB66_4 Depth=1
	s_or_b32 exec_lo, exec_lo, s3
	v_add_co_u32 v27, s0, v9, s18
	v_add_co_ci_u32_e64 v28, null, s19, v10, s0
	v_mov_b32_e32 v24, 0
	v_cmp_gt_u64_e64 s0, s[16:17], v[27:28]
	s_and_saveexec_b32 s23, s0
	s_cbranch_execnz .LBB66_15
; %bb.11:                               ;   in Loop: Header=BB66_4 Depth=1
	s_or_b32 exec_lo, exec_lo, s23
	s_and_saveexec_b32 s3, vcc_lo
	s_cbranch_execnz .LBB66_16
.LBB66_12:                              ;   in Loop: Header=BB66_4 Depth=1
	s_or_b32 exec_lo, exec_lo, s3
	s_and_saveexec_b32 s3, s2
	s_cbranch_execnz .LBB66_17
.LBB66_13:                              ;   in Loop: Header=BB66_4 Depth=1
	s_or_b32 exec_lo, exec_lo, s3
	s_and_saveexec_b32 s2, s1
	s_cbranch_execnz .LBB66_18
.LBB66_14:                              ;   in Loop: Header=BB66_4 Depth=1
	s_or_b32 exec_lo, exec_lo, s2
	s_and_saveexec_b32 s1, s0
	s_cbranch_execz .LBB66_3
	s_branch .LBB66_19
.LBB66_15:                              ;   in Loop: Header=BB66_4 Depth=1
	v_add_co_u32 v27, s3, v5, s10
	v_add_co_ci_u32_e64 v28, null, s11, v6, s3
	global_load_dword v24, v[27:28], off
	s_or_b32 exec_lo, exec_lo, s23
	s_and_saveexec_b32 s3, vcc_lo
	s_cbranch_execz .LBB66_12
.LBB66_16:                              ;   in Loop: Header=BB66_4 Depth=1
	s_waitcnt vmcnt(0)
	v_div_scale_f32 v27, null, s20, s20, v26
	v_rcp_f32_e32 v28, v27
	v_fma_f32 v29, -v27, v28, 1.0
	v_fmac_f32_e32 v28, v29, v28
	v_div_scale_f32 v29, vcc_lo, v26, s20, v26
	v_mul_f32_e32 v30, v29, v28
	v_fma_f32 v31, -v27, v30, v29
	v_fmac_f32_e32 v30, v31, v28
	v_fma_f32 v27, -v27, v30, v29
	v_div_fmas_f32 v29, v27, v28, v30
	v_add_co_u32 v27, vcc_lo, v3, s10
	v_add_co_ci_u32_e64 v28, null, s11, v4, vcc_lo
	v_div_fixup_f32 v26, v29, s20, v26
	global_store_dword v[27:28], v26, off
	s_or_b32 exec_lo, exec_lo, s3
	s_and_saveexec_b32 s3, s2
	s_cbranch_execz .LBB66_13
.LBB66_17:                              ;   in Loop: Header=BB66_4 Depth=1
	s_waitcnt vmcnt(0)
	v_div_scale_f32 v26, null, s20, s20, v25
	v_div_scale_f32 v29, vcc_lo, v25, s20, v25
	v_rcp_f32_e32 v27, v26
	v_fma_f32 v28, -v26, v27, 1.0
	v_fmac_f32_e32 v27, v28, v27
	v_mul_f32_e32 v28, v29, v27
	v_fma_f32 v30, -v26, v28, v29
	v_fmac_f32_e32 v28, v30, v27
	v_fma_f32 v26, -v26, v28, v29
	v_div_fmas_f32 v26, v26, v27, v28
	v_div_fixup_f32 v27, v26, s20, v25
	v_add_co_u32 v25, vcc_lo, v21, s10
	v_add_co_ci_u32_e64 v26, null, s11, v22, vcc_lo
	global_store_dword v[25:26], v27, off
	s_or_b32 exec_lo, exec_lo, s3
	s_and_saveexec_b32 s2, s1
	s_cbranch_execz .LBB66_14
.LBB66_18:                              ;   in Loop: Header=BB66_4 Depth=1
	s_waitcnt vmcnt(0)
	v_div_scale_f32 v25, null, s20, s20, v23
	v_div_scale_f32 v28, vcc_lo, v23, s20, v23
	v_rcp_f32_e32 v26, v25
	v_fma_f32 v27, -v25, v26, 1.0
	v_fmac_f32_e32 v26, v27, v26
	v_mul_f32_e32 v27, v28, v26
	v_fma_f32 v29, -v25, v27, v28
	v_fmac_f32_e32 v27, v29, v26
	v_fma_f32 v25, -v25, v27, v28
	v_div_fmas_f32 v25, v25, v26, v27
	v_div_fixup_f32 v23, v25, s20, v23
	v_add_co_u32 v25, vcc_lo, v14, s10
	v_add_co_ci_u32_e64 v26, null, s11, v15, vcc_lo
	global_store_dword v[25:26], v23, off
	s_or_b32 exec_lo, exec_lo, s2
	s_and_saveexec_b32 s1, s0
	s_cbranch_execz .LBB66_3
.LBB66_19:                              ;   in Loop: Header=BB66_4 Depth=1
	s_waitcnt vmcnt(0)
	v_div_scale_f32 v23, null, s20, s20, v24
	v_div_scale_f32 v27, vcc_lo, v24, s20, v24
	v_rcp_f32_e32 v25, v23
	v_fma_f32 v26, -v23, v25, 1.0
	v_fmac_f32_e32 v25, v26, v25
	v_mul_f32_e32 v26, v27, v25
	v_fma_f32 v28, -v23, v26, v27
	v_fmac_f32_e32 v26, v28, v25
	v_fma_f32 v23, -v23, v26, v27
	v_div_fmas_f32 v23, v23, v25, v26
	v_div_fixup_f32 v25, v23, s20, v24
	v_add_co_u32 v23, vcc_lo, v7, s10
	v_add_co_ci_u32_e64 v24, null, s11, v8, vcc_lo
	global_store_dword v[23:24], v25, off
	s_branch .LBB66_3
.LBB66_20:
	s_mov_b32 s0, 0
.LBB66_21:
	s_andn2_b32 vcc_lo, exec_lo, s0
	s_cbranch_vccnz .LBB66_25
; %bb.22:
	v_cmp_gt_i64_e64 s0, 0x10000, s[12:13]
	v_mov_b32_e32 v2, 0
	v_lshlrev_b32_e32 v1, 2, v0
	s_mov_b32 s14, 0
	s_and_b32 s0, s0, exec_lo
	s_cselect_b32 s13, s13, 0
	s_cselect_b32 s12, s12, 0x10000
	s_mov_b32 s0, exec_lo
	v_cmpx_gt_i64_e64 s[12:13], v[1:2]
	s_cbranch_execz .LBB66_25
; %bb.23:
	s_load_dword s0, s[4:5], 0xd54
	v_lshlrev_b32_e32 v3, 4, v0
	v_mov_b32_e32 v1, v2
	v_add_co_u32 v2, s1, s10, v3
	v_add_co_ci_u32_e64 v3, null, s11, 0, s1
	s_waitcnt lgkmcnt(0)
	s_and_b32 s5, s0, 0xffff
	s_lshl_b32 s10, s5, 4
.LBB66_24:                              ; =>This Inner Loop Header: Depth=1
	v_add_co_u32 v4, vcc_lo, s6, v2
	v_add_co_ci_u32_e64 v5, null, s7, v3, vcc_lo
	v_add_co_u32 v0, vcc_lo, v0, s5
	v_add_co_ci_u32_e64 v1, null, 0, v1, vcc_lo
	global_load_dwordx4 v[4:7], v[4:5], off
	v_add_co_u32 v8, vcc_lo, s8, v2
	v_lshlrev_b64 v[10:11], 2, v[0:1]
	v_add_co_ci_u32_e64 v9, null, s9, v3, vcc_lo
	v_add_co_u32 v2, s0, v2, s10
	v_add_co_ci_u32_e64 v3, null, 0, v3, s0
	v_cmp_le_i64_e64 s1, s[12:13], v[10:11]
	s_or_b32 s14, s1, s14
	s_waitcnt vmcnt(0)
	v_div_scale_f32 v10, null, s20, s20, v4
	v_div_scale_f32 v12, null, s20, s20, v5
	v_div_scale_f32 v14, null, s20, s20, v6
	v_rcp_f32_e32 v18, v10
	v_div_scale_f32 v16, null, s20, s20, v7
	v_rcp_f32_e32 v19, v12
	v_rcp_f32_e32 v20, v14
	v_div_scale_f32 v11, vcc_lo, v4, s20, v4
	v_rcp_f32_e32 v21, v16
	v_div_scale_f32 v13, s2, v5, s20, v5
	v_fma_f32 v22, -v10, v18, 1.0
	v_div_scale_f32 v15, s3, v6, s20, v6
	v_fma_f32 v23, -v12, v19, 1.0
	v_fma_f32 v24, -v14, v20, 1.0
	v_fmac_f32_e32 v18, v22, v18
	v_div_scale_f32 v17, s4, v7, s20, v7
	v_fma_f32 v25, -v16, v21, 1.0
	v_fmac_f32_e32 v19, v23, v19
	v_fmac_f32_e32 v20, v24, v20
	v_mul_f32_e32 v22, v11, v18
	v_fmac_f32_e32 v21, v25, v21
	v_mul_f32_e32 v23, v13, v19
	v_mul_f32_e32 v24, v15, v20
	v_fma_f32 v26, -v10, v22, v11
	v_mul_f32_e32 v25, v17, v21
	v_fma_f32 v27, -v12, v23, v13
	v_fma_f32 v28, -v14, v24, v15
	v_fmac_f32_e32 v22, v26, v18
	v_fma_f32 v29, -v16, v25, v17
	v_fmac_f32_e32 v23, v27, v19
	v_fmac_f32_e32 v24, v28, v20
	v_fma_f32 v10, -v10, v22, v11
	v_fmac_f32_e32 v25, v29, v21
	v_fma_f32 v11, -v12, v23, v13
	v_fma_f32 v12, -v14, v24, v15
	v_div_fmas_f32 v10, v10, v18, v22
	s_mov_b32 vcc_lo, s2
	v_fma_f32 v13, -v16, v25, v17
	v_div_fmas_f32 v11, v11, v19, v23
	s_mov_b32 vcc_lo, s3
	v_div_fixup_f32 v4, v10, s20, v4
	v_div_fmas_f32 v12, v12, v20, v24
	s_mov_b32 vcc_lo, s4
	v_div_fixup_f32 v5, v11, s20, v5
	v_div_fmas_f32 v13, v13, v21, v25
	v_div_fixup_f32 v6, v12, s20, v6
	v_div_fixup_f32 v7, v13, s20, v7
	global_store_dwordx4 v[8:9], v[4:7], off
	s_andn2_b32 exec_lo, exec_lo, s14
	s_cbranch_execnz .LBB66_24
.LBB66_25:
	s_endpgm
	.section	.rodata,"a",@progbits
	.p2align	6, 0x0
	.amdhsa_kernel _ZN2at6native12_GLOBAL__N_125multi_tensor_apply_kernelINS1_28TensorListScalarListMetadataIfLi2EEENS1_25BinaryOpScalarListFunctorIfLi2ELi1ELi1EEEJSt7dividesIfEEEEvT_T0_DpT1_
		.amdhsa_group_segment_fixed_size 0
		.amdhsa_private_segment_fixed_size 0
		.amdhsa_kernarg_size 3656
		.amdhsa_user_sgpr_count 6
		.amdhsa_user_sgpr_private_segment_buffer 1
		.amdhsa_user_sgpr_dispatch_ptr 0
		.amdhsa_user_sgpr_queue_ptr 0
		.amdhsa_user_sgpr_kernarg_segment_ptr 1
		.amdhsa_user_sgpr_dispatch_id 0
		.amdhsa_user_sgpr_flat_scratch_init 0
		.amdhsa_user_sgpr_private_segment_size 0
		.amdhsa_wavefront_size32 1
		.amdhsa_uses_dynamic_stack 0
		.amdhsa_system_sgpr_private_segment_wavefront_offset 0
		.amdhsa_system_sgpr_workgroup_id_x 1
		.amdhsa_system_sgpr_workgroup_id_y 0
		.amdhsa_system_sgpr_workgroup_id_z 0
		.amdhsa_system_sgpr_workgroup_info 0
		.amdhsa_system_vgpr_workitem_id 0
		.amdhsa_next_free_vgpr 32
		.amdhsa_next_free_sgpr 24
		.amdhsa_reserve_vcc 1
		.amdhsa_reserve_flat_scratch 0
		.amdhsa_float_round_mode_32 0
		.amdhsa_float_round_mode_16_64 0
		.amdhsa_float_denorm_mode_32 3
		.amdhsa_float_denorm_mode_16_64 3
		.amdhsa_dx10_clamp 1
		.amdhsa_ieee_mode 1
		.amdhsa_fp16_overflow 0
		.amdhsa_workgroup_processor_mode 1
		.amdhsa_memory_ordered 1
		.amdhsa_forward_progress 1
		.amdhsa_shared_vgpr_count 0
		.amdhsa_exception_fp_ieee_invalid_op 0
		.amdhsa_exception_fp_denorm_src 0
		.amdhsa_exception_fp_ieee_div_zero 0
		.amdhsa_exception_fp_ieee_overflow 0
		.amdhsa_exception_fp_ieee_underflow 0
		.amdhsa_exception_fp_ieee_inexact 0
		.amdhsa_exception_int_div_zero 0
	.end_amdhsa_kernel
	.section	.text._ZN2at6native12_GLOBAL__N_125multi_tensor_apply_kernelINS1_28TensorListScalarListMetadataIfLi2EEENS1_25BinaryOpScalarListFunctorIfLi2ELi1ELi1EEEJSt7dividesIfEEEEvT_T0_DpT1_,"axG",@progbits,_ZN2at6native12_GLOBAL__N_125multi_tensor_apply_kernelINS1_28TensorListScalarListMetadataIfLi2EEENS1_25BinaryOpScalarListFunctorIfLi2ELi1ELi1EEEJSt7dividesIfEEEEvT_T0_DpT1_,comdat
.Lfunc_end66:
	.size	_ZN2at6native12_GLOBAL__N_125multi_tensor_apply_kernelINS1_28TensorListScalarListMetadataIfLi2EEENS1_25BinaryOpScalarListFunctorIfLi2ELi1ELi1EEEJSt7dividesIfEEEEvT_T0_DpT1_, .Lfunc_end66-_ZN2at6native12_GLOBAL__N_125multi_tensor_apply_kernelINS1_28TensorListScalarListMetadataIfLi2EEENS1_25BinaryOpScalarListFunctorIfLi2ELi1ELi1EEEJSt7dividesIfEEEEvT_T0_DpT1_
                                        ; -- End function
	.set _ZN2at6native12_GLOBAL__N_125multi_tensor_apply_kernelINS1_28TensorListScalarListMetadataIfLi2EEENS1_25BinaryOpScalarListFunctorIfLi2ELi1ELi1EEEJSt7dividesIfEEEEvT_T0_DpT1_.num_vgpr, 32
	.set _ZN2at6native12_GLOBAL__N_125multi_tensor_apply_kernelINS1_28TensorListScalarListMetadataIfLi2EEENS1_25BinaryOpScalarListFunctorIfLi2ELi1ELi1EEEJSt7dividesIfEEEEvT_T0_DpT1_.num_agpr, 0
	.set _ZN2at6native12_GLOBAL__N_125multi_tensor_apply_kernelINS1_28TensorListScalarListMetadataIfLi2EEENS1_25BinaryOpScalarListFunctorIfLi2ELi1ELi1EEEJSt7dividesIfEEEEvT_T0_DpT1_.numbered_sgpr, 24
	.set _ZN2at6native12_GLOBAL__N_125multi_tensor_apply_kernelINS1_28TensorListScalarListMetadataIfLi2EEENS1_25BinaryOpScalarListFunctorIfLi2ELi1ELi1EEEJSt7dividesIfEEEEvT_T0_DpT1_.num_named_barrier, 0
	.set _ZN2at6native12_GLOBAL__N_125multi_tensor_apply_kernelINS1_28TensorListScalarListMetadataIfLi2EEENS1_25BinaryOpScalarListFunctorIfLi2ELi1ELi1EEEJSt7dividesIfEEEEvT_T0_DpT1_.private_seg_size, 0
	.set _ZN2at6native12_GLOBAL__N_125multi_tensor_apply_kernelINS1_28TensorListScalarListMetadataIfLi2EEENS1_25BinaryOpScalarListFunctorIfLi2ELi1ELi1EEEJSt7dividesIfEEEEvT_T0_DpT1_.uses_vcc, 1
	.set _ZN2at6native12_GLOBAL__N_125multi_tensor_apply_kernelINS1_28TensorListScalarListMetadataIfLi2EEENS1_25BinaryOpScalarListFunctorIfLi2ELi1ELi1EEEJSt7dividesIfEEEEvT_T0_DpT1_.uses_flat_scratch, 0
	.set _ZN2at6native12_GLOBAL__N_125multi_tensor_apply_kernelINS1_28TensorListScalarListMetadataIfLi2EEENS1_25BinaryOpScalarListFunctorIfLi2ELi1ELi1EEEJSt7dividesIfEEEEvT_T0_DpT1_.has_dyn_sized_stack, 0
	.set _ZN2at6native12_GLOBAL__N_125multi_tensor_apply_kernelINS1_28TensorListScalarListMetadataIfLi2EEENS1_25BinaryOpScalarListFunctorIfLi2ELi1ELi1EEEJSt7dividesIfEEEEvT_T0_DpT1_.has_recursion, 0
	.set _ZN2at6native12_GLOBAL__N_125multi_tensor_apply_kernelINS1_28TensorListScalarListMetadataIfLi2EEENS1_25BinaryOpScalarListFunctorIfLi2ELi1ELi1EEEJSt7dividesIfEEEEvT_T0_DpT1_.has_indirect_call, 0
	.section	.AMDGPU.csdata,"",@progbits
; Kernel info:
; codeLenInByte = 1996
; TotalNumSgprs: 26
; NumVgprs: 32
; ScratchSize: 0
; MemoryBound: 0
; FloatMode: 240
; IeeeMode: 1
; LDSByteSize: 0 bytes/workgroup (compile time only)
; SGPRBlocks: 0
; VGPRBlocks: 3
; NumSGPRsForWavesPerEU: 26
; NumVGPRsForWavesPerEU: 32
; Occupancy: 16
; WaveLimiterHint : 0
; COMPUTE_PGM_RSRC2:SCRATCH_EN: 0
; COMPUTE_PGM_RSRC2:USER_SGPR: 6
; COMPUTE_PGM_RSRC2:TRAP_HANDLER: 0
; COMPUTE_PGM_RSRC2:TGID_X_EN: 1
; COMPUTE_PGM_RSRC2:TGID_Y_EN: 0
; COMPUTE_PGM_RSRC2:TGID_Z_EN: 0
; COMPUTE_PGM_RSRC2:TIDIG_COMP_CNT: 0
	.section	.text._ZN2at6native12_GLOBAL__N_125multi_tensor_apply_kernelINS1_28TensorListScalarListMetadataIN3c107complexIdEELi2EEENS1_25BinaryOpScalarListFunctorIS6_Li2ELi1ELi1EEEJSt7dividesIS6_EEEEvT_T0_DpT1_,"axG",@progbits,_ZN2at6native12_GLOBAL__N_125multi_tensor_apply_kernelINS1_28TensorListScalarListMetadataIN3c107complexIdEELi2EEENS1_25BinaryOpScalarListFunctorIS6_Li2ELi1ELi1EEEJSt7dividesIS6_EEEEvT_T0_DpT1_,comdat
	.globl	_ZN2at6native12_GLOBAL__N_125multi_tensor_apply_kernelINS1_28TensorListScalarListMetadataIN3c107complexIdEELi2EEENS1_25BinaryOpScalarListFunctorIS6_Li2ELi1ELi1EEEJSt7dividesIS6_EEEEvT_T0_DpT1_ ; -- Begin function _ZN2at6native12_GLOBAL__N_125multi_tensor_apply_kernelINS1_28TensorListScalarListMetadataIN3c107complexIdEELi2EEENS1_25BinaryOpScalarListFunctorIS6_Li2ELi1ELi1EEEJSt7dividesIS6_EEEEvT_T0_DpT1_
	.p2align	8
	.type	_ZN2at6native12_GLOBAL__N_125multi_tensor_apply_kernelINS1_28TensorListScalarListMetadataIN3c107complexIdEELi2EEENS1_25BinaryOpScalarListFunctorIS6_Li2ELi1ELi1EEEJSt7dividesIS6_EEEEvT_T0_DpT1_,@function
_ZN2at6native12_GLOBAL__N_125multi_tensor_apply_kernelINS1_28TensorListScalarListMetadataIN3c107complexIdEELi2EEENS1_25BinaryOpScalarListFunctorIS6_Li2ELi1ELi1EEEJSt7dividesIS6_EEEEvT_T0_DpT1_: ; @_ZN2at6native12_GLOBAL__N_125multi_tensor_apply_kernelINS1_28TensorListScalarListMetadataIN3c107complexIdEELi2EEENS1_25BinaryOpScalarListFunctorIS6_Li2ELi1ELi1EEEJSt7dividesIS6_EEEEvT_T0_DpT1_
; %bb.0:
	v_mov_b32_e32 v1, 0x800
	s_add_u32 s0, s4, s6
	s_addc_u32 s1, s5, 0
	s_mov_b32 s7, 0
	s_mov_b32 s17, s7
	global_load_ubyte v1, v1, s[0:1] offset:352
	s_lshl_b64 s[0:1], s[6:7], 2
	s_add_u32 s0, s4, s0
	s_addc_u32 s1, s5, s1
	s_load_dword s0, s[0:1], 0xaa0
	s_waitcnt lgkmcnt(0)
	s_ashr_i32 s1, s0, 31
	s_waitcnt vmcnt(0)
	v_readfirstlane_b32 s2, v1
	s_lshl_b32 s6, s2, 3
	s_clause 0x2
	s_load_dwordx2 s[2:3], s[4:5], s6 offset:0x0
	s_load_dwordx2 s[12:13], s[4:5], s6 offset:0x1e0
	;; [unrolled: 1-line block ×3, first 2 shown]
	s_add_u32 s8, s4, s6
	s_addc_u32 s9, s5, 0
	s_lshl_b64 s[18:19], s[0:1], 20
	s_load_dwordx4 s[8:11], s[8:9], s6 offset:0x5a0
	s_waitcnt lgkmcnt(0)
	s_add_u32 s24, s2, s18
	s_addc_u32 s25, s3, s19
	s_and_b32 s6, s24, 63
	s_add_u32 s26, s12, s18
	s_addc_u32 s27, s13, s19
	s_lshl_b64 s[0:1], s[0:1], 16
	s_and_b32 s16, s26, 63
	s_sub_u32 s12, s14, s0
	s_subb_u32 s13, s15, s1
	s_and_b32 s0, s14, 3
	s_mov_b32 s1, s7
	s_or_b64 s[0:1], s[16:17], s[0:1]
	s_or_b64 s[0:1], s[0:1], s[6:7]
	s_cmp_eq_u64 s[0:1], 0
	s_mov_b32 s0, -1
	s_cbranch_scc1 .LBB67_53
; %bb.1:
	v_cmp_lt_i64_e64 s0, s[12:13], 1
	s_and_b32 vcc_lo, exec_lo, s0
	s_cbranch_vccnz .LBB67_52
; %bb.2:
	v_div_scale_f64 v[1:2], null, s[8:9], s[8:9], s[10:11]
	v_div_scale_f64 v[7:8], vcc_lo, s[10:11], s[8:9], s[10:11]
	v_cmp_lt_f64_e64 s1, s[8:9], 0
	v_cmp_lt_f64_e64 s2, s[10:11], 0
	v_cmp_gt_i64_e64 s3, 0x10000, s[12:13]
	v_cmp_gt_u64_e64 s6, 0x10000, s[12:13]
	s_mov_b64 s[22:23], 0
	s_and_b32 s3, s3, exec_lo
	s_cselect_b32 s15, s13, 0
	s_cselect_b32 s14, s12, 0x10000
	v_rcp_f64_e32 v[3:4], v[1:2]
	v_fma_f64 v[5:6], -v[1:2], v[3:4], 1.0
	v_fma_f64 v[3:4], v[3:4], v[5:6], v[3:4]
	v_fma_f64 v[5:6], -v[1:2], v[3:4], 1.0
	v_fma_f64 v[3:4], v[3:4], v[5:6], v[3:4]
	v_mul_f64 v[5:6], v[7:8], v[3:4]
	v_fma_f64 v[1:2], -v[1:2], v[5:6], v[7:8]
	v_div_fmas_f64 v[1:2], v[1:2], v[3:4], v[5:6]
	v_div_scale_f64 v[5:6], null, s[10:11], s[10:11], s[8:9]
	v_div_fixup_f64 v[21:22], v[1:2], s[8:9], s[10:11]
	v_rcp_f64_e32 v[9:10], v[5:6]
	v_fma_f64 v[1:2], s[10:11], v[21:22], s[8:9]
	v_fma_f64 v[13:14], -v[5:6], v[9:10], 1.0
	v_div_scale_f64 v[3:4], null, v[1:2], v[1:2], 1.0
	v_div_scale_f64 v[15:16], vcc_lo, 1.0, v[1:2], 1.0
	v_fma_f64 v[9:10], v[9:10], v[13:14], v[9:10]
	v_rcp_f64_e32 v[7:8], v[3:4]
	v_fma_f64 v[13:14], -v[5:6], v[9:10], 1.0
	v_fma_f64 v[11:12], -v[3:4], v[7:8], 1.0
	v_fma_f64 v[9:10], v[9:10], v[13:14], v[9:10]
	v_fma_f64 v[7:8], v[7:8], v[11:12], v[7:8]
	v_fma_f64 v[11:12], -v[3:4], v[7:8], 1.0
	v_fma_f64 v[7:8], v[7:8], v[11:12], v[7:8]
	v_div_scale_f64 v[11:12], s0, s[8:9], s[10:11], s[8:9]
	v_mul_f64 v[13:14], v[15:16], v[7:8]
	v_mul_f64 v[17:18], v[11:12], v[9:10]
	v_fma_f64 v[3:4], -v[3:4], v[13:14], v[15:16]
	v_fma_f64 v[5:6], -v[5:6], v[17:18], v[11:12]
	v_div_fmas_f64 v[3:4], v[3:4], v[7:8], v[13:14]
	s_mov_b32 vcc_lo, s0
	s_load_dword s0, s[4:5], 0xfb4
	v_div_fmas_f64 v[5:6], v[5:6], v[9:10], v[17:18]
	s_waitcnt lgkmcnt(0)
	s_and_b32 s7, s0, 0xffff
	s_and_b32 s0, s6, exec_lo
	s_cselect_b32 s17, s13, 0
	v_div_fixup_f64 v[23:24], v[5:6], s[10:11], s[8:9]
	s_cselect_b32 s16, s12, 0x10000
	s_lshl_b32 s28, s7, 1
	s_xor_b32 s0, s9, 0x80000000
	s_and_b32 s1, s1, exec_lo
	s_cselect_b32 s19, s0, s9
	s_cselect_b32 s18, s8, s8
	s_xor_b32 s0, s11, 0x80000000
	s_and_b32 s1, s2, exec_lo
	s_cselect_b32 s21, s0, s11
	s_cselect_b32 s20, s10, s10
	v_cmp_neq_f64_e64 s0, s[8:9], 0
	v_cmp_neq_f64_e64 s1, s[10:11], 0
	v_cmp_ge_f64_e64 s29, s[18:19], s[20:21]
	v_div_fixup_f64 v[25:26], v[3:4], v[1:2], 1.0
	s_mul_i32 s30, s7, 3
	s_lshl_b32 s33, s7, 2
	v_fma_f64 v[5:6], s[8:9], v[23:24], s[10:11]
	s_or_b32 s31, s0, s1
	v_div_scale_f64 v[7:8], null, v[5:6], v[5:6], 1.0
	v_rcp_f64_e32 v[9:10], v[7:8]
	v_fma_f64 v[11:12], -v[7:8], v[9:10], 1.0
	v_fma_f64 v[9:10], v[9:10], v[11:12], v[9:10]
	v_fma_f64 v[11:12], -v[7:8], v[9:10], 1.0
	v_fma_f64 v[9:10], v[9:10], v[11:12], v[9:10]
	v_div_scale_f64 v[11:12], vcc_lo, 1.0, v[5:6], 1.0
	v_mul_f64 v[13:14], v[11:12], v[9:10]
	v_fma_f64 v[7:8], -v[7:8], v[13:14], v[11:12]
	v_div_fmas_f64 v[7:8], v[7:8], v[9:10], v[13:14]
	v_div_fixup_f64 v[27:28], v[7:8], v[5:6], 1.0
	s_branch .LBB67_4
.LBB67_3:                               ;   in Loop: Header=BB67_4 Depth=1
	s_or_b32 exec_lo, exec_lo, s0
	s_add_u32 s22, s22, s33
	s_addc_u32 s23, s23, 0
	v_cmp_ge_i64_e64 s0, s[22:23], s[14:15]
	s_and_b32 vcc_lo, exec_lo, s0
	s_cbranch_vccnz .LBB67_52
.LBB67_4:                               ; =>This Inner Loop Header: Depth=1
	v_add_co_u32 v29, s0, s22, v0
	v_add_co_ci_u32_e64 v30, null, s23, 0, s0
	s_waitcnt vmcnt(0)
	v_mov_b32_e32 v15, 0
	v_mov_b32_e32 v19, 0
	;; [unrolled: 1-line block ×3, first 2 shown]
	v_cmp_gt_u64_e64 s0, s[16:17], v[29:30]
	v_mov_b32_e32 v16, 0
	v_mov_b32_e32 v20, 0
	;; [unrolled: 1-line block ×3, first 2 shown]
	s_and_saveexec_b32 s1, s0
	s_cbranch_execz .LBB67_6
; %bb.5:                                ;   in Loop: Header=BB67_4 Depth=1
	v_lshlrev_b64 v[1:2], 4, v[29:30]
	v_add_co_u32 v1, vcc_lo, s24, v1
	v_add_co_ci_u32_e64 v2, null, s25, v2, vcc_lo
	global_load_dwordx4 v[17:20], v[1:2], off
.LBB67_6:                               ;   in Loop: Header=BB67_4 Depth=1
	s_or_b32 exec_lo, exec_lo, s1
	v_add_co_u32 v31, vcc_lo, v29, s7
	v_add_co_ci_u32_e64 v32, null, 0, v30, vcc_lo
	v_mov_b32_e32 v13, 0
	v_mov_b32_e32 v14, 0
	v_cmp_gt_u64_e64 s1, s[16:17], v[31:32]
	s_and_saveexec_b32 s2, s1
	s_cbranch_execz .LBB67_8
; %bb.7:                                ;   in Loop: Header=BB67_4 Depth=1
	v_lshlrev_b64 v[1:2], 4, v[31:32]
	v_add_co_u32 v1, vcc_lo, s24, v1
	v_add_co_ci_u32_e64 v2, null, s25, v2, vcc_lo
	global_load_dwordx4 v[13:16], v[1:2], off
.LBB67_8:                               ;   in Loop: Header=BB67_4 Depth=1
	s_or_b32 exec_lo, exec_lo, s2
	v_add_co_u32 v33, vcc_lo, v29, s28
	v_add_co_ci_u32_e64 v34, null, 0, v30, vcc_lo
	v_mov_b32_e32 v3, 0
	v_mov_b32_e32 v11, 0
	;; [unrolled: 1-line block ×3, first 2 shown]
	v_cmp_gt_u64_e64 s2, s[16:17], v[33:34]
	v_mov_b32_e32 v4, 0
	v_mov_b32_e32 v12, 0
	;; [unrolled: 1-line block ×3, first 2 shown]
	s_and_saveexec_b32 s3, s2
	s_cbranch_execz .LBB67_10
; %bb.9:                                ;   in Loop: Header=BB67_4 Depth=1
	v_lshlrev_b64 v[1:2], 4, v[33:34]
	v_add_co_u32 v1, vcc_lo, s24, v1
	v_add_co_ci_u32_e64 v2, null, s25, v2, vcc_lo
	global_load_dwordx4 v[9:12], v[1:2], off
.LBB67_10:                              ;   in Loop: Header=BB67_4 Depth=1
	s_or_b32 exec_lo, exec_lo, s3
	v_add_co_u32 v35, vcc_lo, v29, s30
	v_add_co_ci_u32_e64 v36, null, 0, v30, vcc_lo
	v_mov_b32_e32 v1, 0
	v_mov_b32_e32 v2, 0
	v_cmp_gt_u64_e64 s3, s[16:17], v[35:36]
	s_and_saveexec_b32 s6, s3
	s_cbranch_execz .LBB67_12
; %bb.11:                               ;   in Loop: Header=BB67_4 Depth=1
	v_lshlrev_b64 v[1:2], 4, v[35:36]
	v_add_co_u32 v1, vcc_lo, s24, v1
	v_add_co_ci_u32_e64 v2, null, s25, v2, vcc_lo
	global_load_dwordx4 v[1:4], v[1:2], off
.LBB67_12:                              ;   in Loop: Header=BB67_4 Depth=1
	s_or_b32 exec_lo, exec_lo, s6
	s_and_b32 vcc_lo, exec_lo, s29
	s_mov_b32 s6, -1
                                        ; implicit-def: $vgpr7_vgpr8
	s_cbranch_vccz .LBB67_40
; %bb.13:                               ;   in Loop: Header=BB67_4 Depth=1
	s_and_b32 vcc_lo, exec_lo, s31
                                        ; implicit-def: $vgpr7_vgpr8
	s_cbranch_vccz .LBB67_15
; %bb.14:                               ;   in Loop: Header=BB67_4 Depth=1
	s_waitcnt vmcnt(0)
	v_fma_f64 v[5:6], v[21:22], v[19:20], v[17:18]
	v_fma_f64 v[7:8], -v[21:22], v[17:18], v[19:20]
	s_mov_b32 s6, 0
	v_mul_f64 v[5:6], v[25:26], v[5:6]
	v_mul_f64 v[7:8], v[25:26], v[7:8]
.LBB67_15:                              ;   in Loop: Header=BB67_4 Depth=1
	s_andn2_b32 vcc_lo, exec_lo, s6
	s_cbranch_vccnz .LBB67_17
; %bb.16:                               ;   in Loop: Header=BB67_4 Depth=1
	s_waitcnt vmcnt(0)
	v_div_scale_f64 v[5:6], null, s[18:19], s[18:19], v[17:18]
	v_div_scale_f64 v[7:8], null, s[20:21], s[20:21], v[19:20]
	v_div_scale_f64 v[45:46], vcc_lo, v[17:18], s[18:19], v[17:18]
	v_rcp_f64_e32 v[37:38], v[5:6]
	v_rcp_f64_e32 v[39:40], v[7:8]
	v_fma_f64 v[41:42], -v[5:6], v[37:38], 1.0
	v_fma_f64 v[43:44], -v[7:8], v[39:40], 1.0
	v_fma_f64 v[37:38], v[37:38], v[41:42], v[37:38]
	v_fma_f64 v[39:40], v[39:40], v[43:44], v[39:40]
	v_fma_f64 v[41:42], -v[5:6], v[37:38], 1.0
	v_fma_f64 v[43:44], -v[7:8], v[39:40], 1.0
	v_fma_f64 v[37:38], v[37:38], v[41:42], v[37:38]
	v_div_scale_f64 v[41:42], s6, v[19:20], s[20:21], v[19:20]
	v_fma_f64 v[39:40], v[39:40], v[43:44], v[39:40]
	v_mul_f64 v[43:44], v[45:46], v[37:38]
	v_mul_f64 v[47:48], v[41:42], v[39:40]
	v_fma_f64 v[5:6], -v[5:6], v[43:44], v[45:46]
	v_fma_f64 v[7:8], -v[7:8], v[47:48], v[41:42]
	v_div_fmas_f64 v[5:6], v[5:6], v[37:38], v[43:44]
	s_mov_b32 vcc_lo, s6
	v_div_fmas_f64 v[7:8], v[7:8], v[39:40], v[47:48]
	v_div_fixup_f64 v[5:6], v[5:6], s[18:19], v[17:18]
	v_div_fixup_f64 v[7:8], v[7:8], s[20:21], v[19:20]
.LBB67_17:                              ;   in Loop: Header=BB67_4 Depth=1
	s_cbranch_execz .LBB67_41
.LBB67_18:                              ;   in Loop: Header=BB67_4 Depth=1
	s_andn2_b32 vcc_lo, exec_lo, s29
	s_mov_b32 s6, -1
                                        ; implicit-def: $vgpr19_vgpr20
	s_cbranch_vccnz .LBB67_42
.LBB67_19:                              ;   in Loop: Header=BB67_4 Depth=1
	s_andn2_b32 vcc_lo, exec_lo, s31
                                        ; implicit-def: $vgpr19_vgpr20
	s_cbranch_vccnz .LBB67_21
; %bb.20:                               ;   in Loop: Header=BB67_4 Depth=1
	s_waitcnt vmcnt(0)
	v_fma_f64 v[17:18], v[21:22], v[15:16], v[13:14]
	v_fma_f64 v[19:20], -v[21:22], v[13:14], v[15:16]
	s_mov_b32 s6, 0
	v_mul_f64 v[17:18], v[25:26], v[17:18]
	v_mul_f64 v[19:20], v[25:26], v[19:20]
.LBB67_21:                              ;   in Loop: Header=BB67_4 Depth=1
	s_andn2_b32 vcc_lo, exec_lo, s6
	s_cbranch_vccnz .LBB67_23
; %bb.22:                               ;   in Loop: Header=BB67_4 Depth=1
	s_waitcnt vmcnt(0)
	v_div_scale_f64 v[17:18], null, s[18:19], s[18:19], v[13:14]
	v_div_scale_f64 v[19:20], null, s[20:21], s[20:21], v[15:16]
	v_div_scale_f64 v[45:46], vcc_lo, v[13:14], s[18:19], v[13:14]
	v_rcp_f64_e32 v[37:38], v[17:18]
	v_rcp_f64_e32 v[39:40], v[19:20]
	v_fma_f64 v[41:42], -v[17:18], v[37:38], 1.0
	v_fma_f64 v[43:44], -v[19:20], v[39:40], 1.0
	v_fma_f64 v[37:38], v[37:38], v[41:42], v[37:38]
	v_fma_f64 v[39:40], v[39:40], v[43:44], v[39:40]
	v_fma_f64 v[41:42], -v[17:18], v[37:38], 1.0
	v_fma_f64 v[43:44], -v[19:20], v[39:40], 1.0
	v_fma_f64 v[37:38], v[37:38], v[41:42], v[37:38]
	v_div_scale_f64 v[41:42], s6, v[15:16], s[20:21], v[15:16]
	v_fma_f64 v[39:40], v[39:40], v[43:44], v[39:40]
	v_mul_f64 v[43:44], v[45:46], v[37:38]
	v_mul_f64 v[47:48], v[41:42], v[39:40]
	v_fma_f64 v[17:18], -v[17:18], v[43:44], v[45:46]
	v_fma_f64 v[19:20], -v[19:20], v[47:48], v[41:42]
	v_div_fmas_f64 v[17:18], v[17:18], v[37:38], v[43:44]
	s_mov_b32 vcc_lo, s6
	v_div_fmas_f64 v[19:20], v[19:20], v[39:40], v[47:48]
	v_div_fixup_f64 v[17:18], v[17:18], s[18:19], v[13:14]
	v_div_fixup_f64 v[19:20], v[19:20], s[20:21], v[15:16]
.LBB67_23:                              ;   in Loop: Header=BB67_4 Depth=1
	s_cbranch_execz .LBB67_43
.LBB67_24:                              ;   in Loop: Header=BB67_4 Depth=1
	s_andn2_b32 vcc_lo, exec_lo, s29
	s_mov_b32 s6, -1
                                        ; implicit-def: $vgpr15_vgpr16
	s_cbranch_vccnz .LBB67_44
.LBB67_25:                              ;   in Loop: Header=BB67_4 Depth=1
	s_andn2_b32 vcc_lo, exec_lo, s31
                                        ; implicit-def: $vgpr15_vgpr16
	s_cbranch_vccnz .LBB67_27
; %bb.26:                               ;   in Loop: Header=BB67_4 Depth=1
	s_waitcnt vmcnt(0)
	v_fma_f64 v[13:14], v[21:22], v[11:12], v[9:10]
	v_fma_f64 v[15:16], -v[21:22], v[9:10], v[11:12]
	s_mov_b32 s6, 0
	v_mul_f64 v[13:14], v[25:26], v[13:14]
	v_mul_f64 v[15:16], v[25:26], v[15:16]
.LBB67_27:                              ;   in Loop: Header=BB67_4 Depth=1
	s_andn2_b32 vcc_lo, exec_lo, s6
	s_cbranch_vccnz .LBB67_29
; %bb.28:                               ;   in Loop: Header=BB67_4 Depth=1
	s_waitcnt vmcnt(0)
	v_div_scale_f64 v[13:14], null, s[18:19], s[18:19], v[9:10]
	v_div_scale_f64 v[15:16], null, s[20:21], s[20:21], v[11:12]
	v_div_scale_f64 v[45:46], vcc_lo, v[9:10], s[18:19], v[9:10]
	v_rcp_f64_e32 v[37:38], v[13:14]
	v_rcp_f64_e32 v[39:40], v[15:16]
	v_fma_f64 v[41:42], -v[13:14], v[37:38], 1.0
	v_fma_f64 v[43:44], -v[15:16], v[39:40], 1.0
	v_fma_f64 v[37:38], v[37:38], v[41:42], v[37:38]
	v_fma_f64 v[39:40], v[39:40], v[43:44], v[39:40]
	v_fma_f64 v[41:42], -v[13:14], v[37:38], 1.0
	v_fma_f64 v[43:44], -v[15:16], v[39:40], 1.0
	v_fma_f64 v[37:38], v[37:38], v[41:42], v[37:38]
	v_div_scale_f64 v[41:42], s6, v[11:12], s[20:21], v[11:12]
	v_fma_f64 v[39:40], v[39:40], v[43:44], v[39:40]
	v_mul_f64 v[43:44], v[45:46], v[37:38]
	v_mul_f64 v[47:48], v[41:42], v[39:40]
	v_fma_f64 v[13:14], -v[13:14], v[43:44], v[45:46]
	v_fma_f64 v[15:16], -v[15:16], v[47:48], v[41:42]
	v_div_fmas_f64 v[13:14], v[13:14], v[37:38], v[43:44]
	s_mov_b32 vcc_lo, s6
	v_div_fmas_f64 v[15:16], v[15:16], v[39:40], v[47:48]
	v_div_fixup_f64 v[13:14], v[13:14], s[18:19], v[9:10]
	v_div_fixup_f64 v[15:16], v[15:16], s[20:21], v[11:12]
.LBB67_29:                              ;   in Loop: Header=BB67_4 Depth=1
	s_cbranch_execz .LBB67_45
.LBB67_30:                              ;   in Loop: Header=BB67_4 Depth=1
	s_andn2_b32 vcc_lo, exec_lo, s29
	s_mov_b32 s6, -1
                                        ; implicit-def: $vgpr11_vgpr12
	s_cbranch_vccnz .LBB67_46
.LBB67_31:                              ;   in Loop: Header=BB67_4 Depth=1
	s_andn2_b32 vcc_lo, exec_lo, s31
                                        ; implicit-def: $vgpr11_vgpr12
	s_cbranch_vccnz .LBB67_33
; %bb.32:                               ;   in Loop: Header=BB67_4 Depth=1
	s_waitcnt vmcnt(0)
	v_fma_f64 v[9:10], v[21:22], v[3:4], v[1:2]
	v_fma_f64 v[11:12], -v[21:22], v[1:2], v[3:4]
	s_mov_b32 s6, 0
	v_mul_f64 v[9:10], v[25:26], v[9:10]
	v_mul_f64 v[11:12], v[25:26], v[11:12]
.LBB67_33:                              ;   in Loop: Header=BB67_4 Depth=1
	s_andn2_b32 vcc_lo, exec_lo, s6
	s_cbranch_vccnz .LBB67_35
; %bb.34:                               ;   in Loop: Header=BB67_4 Depth=1
	s_waitcnt vmcnt(0)
	v_div_scale_f64 v[9:10], null, s[18:19], s[18:19], v[1:2]
	v_div_scale_f64 v[11:12], null, s[20:21], s[20:21], v[3:4]
	v_div_scale_f64 v[45:46], vcc_lo, v[1:2], s[18:19], v[1:2]
	v_rcp_f64_e32 v[37:38], v[9:10]
	v_rcp_f64_e32 v[39:40], v[11:12]
	v_fma_f64 v[41:42], -v[9:10], v[37:38], 1.0
	v_fma_f64 v[43:44], -v[11:12], v[39:40], 1.0
	v_fma_f64 v[37:38], v[37:38], v[41:42], v[37:38]
	v_fma_f64 v[39:40], v[39:40], v[43:44], v[39:40]
	v_fma_f64 v[41:42], -v[9:10], v[37:38], 1.0
	v_fma_f64 v[43:44], -v[11:12], v[39:40], 1.0
	v_fma_f64 v[37:38], v[37:38], v[41:42], v[37:38]
	v_div_scale_f64 v[41:42], s6, v[3:4], s[20:21], v[3:4]
	v_fma_f64 v[39:40], v[39:40], v[43:44], v[39:40]
	v_mul_f64 v[43:44], v[45:46], v[37:38]
	v_mul_f64 v[47:48], v[41:42], v[39:40]
	v_fma_f64 v[9:10], -v[9:10], v[43:44], v[45:46]
	v_fma_f64 v[11:12], -v[11:12], v[47:48], v[41:42]
	v_div_fmas_f64 v[9:10], v[9:10], v[37:38], v[43:44]
	s_mov_b32 vcc_lo, s6
	v_div_fmas_f64 v[11:12], v[11:12], v[39:40], v[47:48]
	v_div_fixup_f64 v[9:10], v[9:10], s[18:19], v[1:2]
	v_div_fixup_f64 v[11:12], v[11:12], s[20:21], v[3:4]
.LBB67_35:                              ;   in Loop: Header=BB67_4 Depth=1
	s_cbranch_execz .LBB67_47
.LBB67_36:                              ;   in Loop: Header=BB67_4 Depth=1
	s_and_saveexec_b32 s6, s0
	s_xor_b32 s0, exec_lo, s6
	s_cbranch_execz .LBB67_48
.LBB67_37:                              ;   in Loop: Header=BB67_4 Depth=1
	s_waitcnt vmcnt(0)
	v_lshlrev_b64 v[1:2], 4, v[29:30]
	v_add_co_u32 v1, vcc_lo, s26, v1
	v_add_co_ci_u32_e64 v2, null, s27, v2, vcc_lo
	global_store_dwordx4 v[1:2], v[5:8], off
	s_or_b32 exec_lo, exec_lo, s0
	s_and_saveexec_b32 s0, s1
	s_cbranch_execnz .LBB67_49
.LBB67_38:                              ;   in Loop: Header=BB67_4 Depth=1
	s_or_b32 exec_lo, exec_lo, s0
	s_and_saveexec_b32 s0, s2
	s_cbranch_execz .LBB67_50
.LBB67_39:                              ;   in Loop: Header=BB67_4 Depth=1
	s_waitcnt vmcnt(0)
	v_lshlrev_b64 v[1:2], 4, v[33:34]
	v_add_co_u32 v1, vcc_lo, s26, v1
	v_add_co_ci_u32_e64 v2, null, s27, v2, vcc_lo
	global_store_dwordx4 v[1:2], v[13:16], off
	s_or_b32 exec_lo, exec_lo, s0
	s_and_saveexec_b32 s0, s3
	s_cbranch_execz .LBB67_3
	s_branch .LBB67_51
.LBB67_40:                              ;   in Loop: Header=BB67_4 Depth=1
	s_andn2_b32 vcc_lo, exec_lo, s6
	s_cbranch_vccnz .LBB67_18
.LBB67_41:                              ;   in Loop: Header=BB67_4 Depth=1
	s_waitcnt vmcnt(0)
	v_fma_f64 v[5:6], v[23:24], v[17:18], v[19:20]
	v_fma_f64 v[7:8], v[23:24], v[19:20], -v[17:18]
	v_mul_f64 v[5:6], v[27:28], v[5:6]
	v_mul_f64 v[7:8], v[27:28], v[7:8]
	s_andn2_b32 vcc_lo, exec_lo, s29
	s_mov_b32 s6, -1
                                        ; implicit-def: $vgpr19_vgpr20
	s_cbranch_vccz .LBB67_19
.LBB67_42:                              ;   in Loop: Header=BB67_4 Depth=1
	s_andn2_b32 vcc_lo, exec_lo, s6
	s_cbranch_vccnz .LBB67_24
.LBB67_43:                              ;   in Loop: Header=BB67_4 Depth=1
	s_waitcnt vmcnt(0)
	v_fma_f64 v[17:18], v[23:24], v[13:14], v[15:16]
	v_fma_f64 v[13:14], v[23:24], v[15:16], -v[13:14]
	v_mul_f64 v[17:18], v[27:28], v[17:18]
	v_mul_f64 v[19:20], v[27:28], v[13:14]
	s_andn2_b32 vcc_lo, exec_lo, s29
	s_mov_b32 s6, -1
                                        ; implicit-def: $vgpr15_vgpr16
	s_cbranch_vccz .LBB67_25
.LBB67_44:                              ;   in Loop: Header=BB67_4 Depth=1
	s_andn2_b32 vcc_lo, exec_lo, s6
	s_cbranch_vccnz .LBB67_30
.LBB67_45:                              ;   in Loop: Header=BB67_4 Depth=1
	s_waitcnt vmcnt(0)
	v_fma_f64 v[13:14], v[23:24], v[9:10], v[11:12]
	v_fma_f64 v[9:10], v[23:24], v[11:12], -v[9:10]
	v_mul_f64 v[13:14], v[27:28], v[13:14]
	v_mul_f64 v[15:16], v[27:28], v[9:10]
	s_andn2_b32 vcc_lo, exec_lo, s29
	s_mov_b32 s6, -1
                                        ; implicit-def: $vgpr11_vgpr12
	s_cbranch_vccz .LBB67_31
.LBB67_46:                              ;   in Loop: Header=BB67_4 Depth=1
	s_andn2_b32 vcc_lo, exec_lo, s6
	s_cbranch_vccnz .LBB67_36
.LBB67_47:                              ;   in Loop: Header=BB67_4 Depth=1
	s_waitcnt vmcnt(0)
	v_fma_f64 v[9:10], v[23:24], v[1:2], v[3:4]
	v_fma_f64 v[1:2], v[23:24], v[3:4], -v[1:2]
	v_mul_f64 v[9:10], v[27:28], v[9:10]
	v_mul_f64 v[11:12], v[27:28], v[1:2]
	s_and_saveexec_b32 s6, s0
	s_xor_b32 s0, exec_lo, s6
	s_cbranch_execnz .LBB67_37
.LBB67_48:                              ;   in Loop: Header=BB67_4 Depth=1
	s_or_b32 exec_lo, exec_lo, s0
	s_and_saveexec_b32 s0, s1
	s_cbranch_execz .LBB67_38
.LBB67_49:                              ;   in Loop: Header=BB67_4 Depth=1
	s_waitcnt vmcnt(0)
	v_lshlrev_b64 v[1:2], 4, v[31:32]
	v_add_co_u32 v1, vcc_lo, s26, v1
	v_add_co_ci_u32_e64 v2, null, s27, v2, vcc_lo
	global_store_dwordx4 v[1:2], v[17:20], off
	s_or_b32 exec_lo, exec_lo, s0
	s_and_saveexec_b32 s0, s2
	s_cbranch_execnz .LBB67_39
.LBB67_50:                              ;   in Loop: Header=BB67_4 Depth=1
	s_or_b32 exec_lo, exec_lo, s0
	s_and_saveexec_b32 s0, s3
	s_cbranch_execz .LBB67_3
.LBB67_51:                              ;   in Loop: Header=BB67_4 Depth=1
	s_waitcnt vmcnt(0)
	v_lshlrev_b64 v[1:2], 4, v[35:36]
	v_add_co_u32 v1, vcc_lo, s26, v1
	v_add_co_ci_u32_e64 v2, null, s27, v2, vcc_lo
	global_store_dwordx4 v[1:2], v[9:12], off
	s_branch .LBB67_3
.LBB67_52:
	s_mov_b32 s0, 0
.LBB67_53:
	s_andn2_b32 vcc_lo, exec_lo, s0
	s_cbranch_vccnz .LBB67_89
; %bb.54:
	v_cmp_gt_i64_e64 s0, 0x10000, s[12:13]
	s_waitcnt vmcnt(0)
	v_mov_b32_e32 v2, 0
	v_lshlrev_b32_e32 v1, 2, v0
	s_mov_b32 s1, 0
	s_and_b32 s0, s0, exec_lo
	s_cselect_b32 s3, s13, 0
	s_cselect_b32 s2, s12, 0x10000
	s_mov_b32 s0, exec_lo
	v_cmpx_gt_i64_e64 s[2:3], v[1:2]
	s_cbranch_execz .LBB67_89
; %bb.55:
	v_div_scale_f64 v[3:4], null, s[8:9], s[8:9], s[10:11]
	v_div_scale_f64 v[9:10], vcc_lo, s[10:11], s[8:9], s[10:11]
	v_cmp_lt_f64_e64 s12, s[10:11], 0
	s_xor_b32 s6, s9, 0x80000000
	s_load_dword s4, s[4:5], 0xfb4
	v_mov_b32_e32 v1, v2
	v_lshlrev_b32_e32 v30, 6, v0
	v_rcp_f64_e32 v[5:6], v[3:4]
	v_fma_f64 v[7:8], -v[3:4], v[5:6], 1.0
	v_fma_f64 v[5:6], v[5:6], v[7:8], v[5:6]
	v_fma_f64 v[7:8], -v[3:4], v[5:6], 1.0
	v_fma_f64 v[5:6], v[5:6], v[7:8], v[5:6]
	v_mul_f64 v[7:8], v[9:10], v[5:6]
	v_fma_f64 v[3:4], -v[3:4], v[7:8], v[9:10]
	v_div_fmas_f64 v[3:4], v[3:4], v[5:6], v[7:8]
	v_div_scale_f64 v[7:8], null, s[10:11], s[10:11], s[8:9]
	v_div_fixup_f64 v[22:23], v[3:4], s[8:9], s[10:11]
	v_rcp_f64_e32 v[11:12], v[7:8]
	v_fma_f64 v[3:4], s[10:11], v[22:23], s[8:9]
	v_fma_f64 v[15:16], -v[7:8], v[11:12], 1.0
	v_div_scale_f64 v[5:6], null, v[3:4], v[3:4], 1.0
	v_div_scale_f64 v[17:18], vcc_lo, 1.0, v[3:4], 1.0
	v_fma_f64 v[11:12], v[11:12], v[15:16], v[11:12]
	v_rcp_f64_e32 v[9:10], v[5:6]
	v_fma_f64 v[15:16], -v[7:8], v[11:12], 1.0
	v_fma_f64 v[13:14], -v[5:6], v[9:10], 1.0
	v_fma_f64 v[11:12], v[11:12], v[15:16], v[11:12]
	v_fma_f64 v[9:10], v[9:10], v[13:14], v[9:10]
	v_fma_f64 v[13:14], -v[5:6], v[9:10], 1.0
	v_fma_f64 v[9:10], v[9:10], v[13:14], v[9:10]
	v_div_scale_f64 v[13:14], s0, s[8:9], s[10:11], s[8:9]
	v_mul_f64 v[15:16], v[17:18], v[9:10]
	v_mul_f64 v[19:20], v[13:14], v[11:12]
	v_fma_f64 v[5:6], -v[5:6], v[15:16], v[17:18]
	v_fma_f64 v[7:8], -v[7:8], v[19:20], v[13:14]
	v_div_fmas_f64 v[5:6], v[5:6], v[9:10], v[15:16]
	s_mov_b32 vcc_lo, s0
	v_cmp_lt_f64_e64 s0, s[8:9], 0
	v_div_fmas_f64 v[7:8], v[7:8], v[11:12], v[19:20]
	v_div_fixup_f64 v[26:27], v[5:6], v[3:4], 1.0
	s_and_b32 s0, s0, exec_lo
	v_div_fixup_f64 v[24:25], v[7:8], s[10:11], s[8:9]
	s_cselect_b32 s7, s6, s9
	s_cselect_b32 s6, s8, s8
	s_xor_b32 s0, s11, 0x80000000
	s_and_b32 s12, s12, exec_lo
	s_cselect_b32 s13, s0, s11
	s_cselect_b32 s12, s10, s10
	v_cmp_neq_f64_e64 s0, s[8:9], 0
	v_cmp_ge_f64_e64 s14, s[6:7], s[12:13]
	s_waitcnt lgkmcnt(0)
	s_and_b32 s4, s4, 0xffff
	v_fma_f64 v[7:8], s[8:9], v[24:25], s[10:11]
	v_cmp_neq_f64_e64 s8, s[10:11], 0
	v_div_scale_f64 v[9:10], null, v[7:8], v[7:8], 1.0
	s_or_b32 s5, s0, s8
	s_lshl_b32 s8, s4, 6
	v_rcp_f64_e32 v[11:12], v[9:10]
	v_fma_f64 v[13:14], -v[9:10], v[11:12], 1.0
	v_fma_f64 v[11:12], v[11:12], v[13:14], v[11:12]
	v_fma_f64 v[13:14], -v[9:10], v[11:12], 1.0
	v_fma_f64 v[11:12], v[11:12], v[13:14], v[11:12]
	v_div_scale_f64 v[13:14], vcc_lo, 1.0, v[7:8], 1.0
	v_mul_f64 v[15:16], v[13:14], v[11:12]
	v_fma_f64 v[9:10], -v[9:10], v[15:16], v[13:14]
	v_div_fmas_f64 v[9:10], v[9:10], v[11:12], v[15:16]
	v_div_fixup_f64 v[28:29], v[9:10], v[7:8], 1.0
	s_branch .LBB67_57
.LBB67_56:                              ;   in Loop: Header=BB67_57 Depth=1
	v_add_co_u32 v0, vcc_lo, v0, s4
	v_add_co_ci_u32_e64 v1, null, 0, v1, vcc_lo
	s_waitcnt vmcnt(3)
	v_add_co_u32 v2, s0, s26, v30
	s_add_u32 s26, s26, s8
	v_lshlrev_b64 v[4:5], 2, v[0:1]
	v_add_co_ci_u32_e64 v3, null, s27, 0, s0
	s_addc_u32 s27, s27, 0
	s_add_u32 s24, s24, s8
	s_addc_u32 s25, s25, 0
	v_cmp_le_i64_e32 vcc_lo, s[2:3], v[4:5]
	global_store_dwordx4 v[2:3], v[6:9], off
	s_waitcnt vmcnt(0)
	global_store_dwordx4 v[2:3], v[14:17], off offset:16
	global_store_dwordx4 v[2:3], v[18:21], off offset:32
	;; [unrolled: 1-line block ×3, first 2 shown]
	s_or_b32 s1, vcc_lo, s1
	s_andn2_b32 exec_lo, exec_lo, s1
	s_cbranch_execz .LBB67_89
.LBB67_57:                              ; =>This Inner Loop Header: Depth=1
	v_add_co_u32 v6, s0, s24, v30
	v_add_co_ci_u32_e64 v7, null, s25, 0, s0
	s_andn2_b32 vcc_lo, exec_lo, s14
	s_mov_b32 s0, -1
	s_clause 0x3
	global_load_dwordx4 v[2:5], v[6:7], off offset:48
	global_load_dwordx4 v[10:13], v[6:7], off offset:32
	;; [unrolled: 1-line block ×3, first 2 shown]
	global_load_dwordx4 v[14:17], v[6:7], off
                                        ; implicit-def: $vgpr8_vgpr9
	s_cbranch_vccnz .LBB67_81
; %bb.58:                               ;   in Loop: Header=BB67_57 Depth=1
	s_and_b32 vcc_lo, exec_lo, s5
                                        ; implicit-def: $vgpr8_vgpr9
	s_cbranch_vccz .LBB67_60
; %bb.59:                               ;   in Loop: Header=BB67_57 Depth=1
	s_waitcnt vmcnt(0)
	v_fma_f64 v[6:7], v[22:23], v[16:17], v[14:15]
	v_fma_f64 v[8:9], -v[22:23], v[14:15], v[16:17]
	s_mov_b32 s0, 0
	v_mul_f64 v[6:7], v[26:27], v[6:7]
	v_mul_f64 v[8:9], v[26:27], v[8:9]
.LBB67_60:                              ;   in Loop: Header=BB67_57 Depth=1
	s_andn2_b32 vcc_lo, exec_lo, s0
	s_cbranch_vccnz .LBB67_62
; %bb.61:                               ;   in Loop: Header=BB67_57 Depth=1
	s_waitcnt vmcnt(0)
	v_div_scale_f64 v[6:7], null, s[6:7], s[6:7], v[14:15]
	v_div_scale_f64 v[8:9], null, s[12:13], s[12:13], v[16:17]
	v_div_scale_f64 v[39:40], vcc_lo, v[14:15], s[6:7], v[14:15]
	v_rcp_f64_e32 v[31:32], v[6:7]
	v_rcp_f64_e32 v[33:34], v[8:9]
	v_fma_f64 v[35:36], -v[6:7], v[31:32], 1.0
	v_fma_f64 v[37:38], -v[8:9], v[33:34], 1.0
	v_fma_f64 v[31:32], v[31:32], v[35:36], v[31:32]
	v_fma_f64 v[33:34], v[33:34], v[37:38], v[33:34]
	v_fma_f64 v[35:36], -v[6:7], v[31:32], 1.0
	v_fma_f64 v[37:38], -v[8:9], v[33:34], 1.0
	v_fma_f64 v[31:32], v[31:32], v[35:36], v[31:32]
	v_div_scale_f64 v[35:36], s0, v[16:17], s[12:13], v[16:17]
	v_fma_f64 v[33:34], v[33:34], v[37:38], v[33:34]
	v_mul_f64 v[37:38], v[39:40], v[31:32]
	v_mul_f64 v[41:42], v[35:36], v[33:34]
	v_fma_f64 v[6:7], -v[6:7], v[37:38], v[39:40]
	v_fma_f64 v[8:9], -v[8:9], v[41:42], v[35:36]
	v_div_fmas_f64 v[6:7], v[6:7], v[31:32], v[37:38]
	s_mov_b32 vcc_lo, s0
	v_div_fmas_f64 v[8:9], v[8:9], v[33:34], v[41:42]
	v_div_fixup_f64 v[6:7], v[6:7], s[6:7], v[14:15]
	v_div_fixup_f64 v[8:9], v[8:9], s[12:13], v[16:17]
.LBB67_62:                              ;   in Loop: Header=BB67_57 Depth=1
	s_cbranch_execz .LBB67_82
.LBB67_63:                              ;   in Loop: Header=BB67_57 Depth=1
	s_andn2_b32 vcc_lo, exec_lo, s14
	s_mov_b32 s0, -1
                                        ; implicit-def: $vgpr16_vgpr17
	s_cbranch_vccnz .LBB67_83
.LBB67_64:                              ;   in Loop: Header=BB67_57 Depth=1
	s_andn2_b32 vcc_lo, exec_lo, s5
                                        ; implicit-def: $vgpr16_vgpr17
	s_cbranch_vccnz .LBB67_66
; %bb.65:                               ;   in Loop: Header=BB67_57 Depth=1
	s_waitcnt vmcnt(0)
	v_fma_f64 v[14:15], v[22:23], v[20:21], v[18:19]
	v_fma_f64 v[16:17], -v[22:23], v[18:19], v[20:21]
	s_mov_b32 s0, 0
	v_mul_f64 v[14:15], v[26:27], v[14:15]
	v_mul_f64 v[16:17], v[26:27], v[16:17]
.LBB67_66:                              ;   in Loop: Header=BB67_57 Depth=1
	s_andn2_b32 vcc_lo, exec_lo, s0
	s_cbranch_vccnz .LBB67_68
; %bb.67:                               ;   in Loop: Header=BB67_57 Depth=1
	s_waitcnt vmcnt(0)
	v_div_scale_f64 v[14:15], null, s[6:7], s[6:7], v[18:19]
	v_div_scale_f64 v[16:17], null, s[12:13], s[12:13], v[20:21]
	v_div_scale_f64 v[39:40], vcc_lo, v[18:19], s[6:7], v[18:19]
	v_rcp_f64_e32 v[31:32], v[14:15]
	v_rcp_f64_e32 v[33:34], v[16:17]
	v_fma_f64 v[35:36], -v[14:15], v[31:32], 1.0
	v_fma_f64 v[37:38], -v[16:17], v[33:34], 1.0
	v_fma_f64 v[31:32], v[31:32], v[35:36], v[31:32]
	v_fma_f64 v[33:34], v[33:34], v[37:38], v[33:34]
	v_fma_f64 v[35:36], -v[14:15], v[31:32], 1.0
	v_fma_f64 v[37:38], -v[16:17], v[33:34], 1.0
	v_fma_f64 v[31:32], v[31:32], v[35:36], v[31:32]
	v_div_scale_f64 v[35:36], s0, v[20:21], s[12:13], v[20:21]
	v_fma_f64 v[33:34], v[33:34], v[37:38], v[33:34]
	v_mul_f64 v[37:38], v[39:40], v[31:32]
	v_mul_f64 v[41:42], v[35:36], v[33:34]
	v_fma_f64 v[14:15], -v[14:15], v[37:38], v[39:40]
	v_fma_f64 v[16:17], -v[16:17], v[41:42], v[35:36]
	v_div_fmas_f64 v[14:15], v[14:15], v[31:32], v[37:38]
	s_mov_b32 vcc_lo, s0
	v_div_fmas_f64 v[16:17], v[16:17], v[33:34], v[41:42]
	v_div_fixup_f64 v[14:15], v[14:15], s[6:7], v[18:19]
	v_div_fixup_f64 v[16:17], v[16:17], s[12:13], v[20:21]
.LBB67_68:                              ;   in Loop: Header=BB67_57 Depth=1
	s_cbranch_execz .LBB67_84
.LBB67_69:                              ;   in Loop: Header=BB67_57 Depth=1
	s_andn2_b32 vcc_lo, exec_lo, s14
	s_mov_b32 s0, -1
                                        ; implicit-def: $vgpr20_vgpr21
	s_cbranch_vccnz .LBB67_85
.LBB67_70:                              ;   in Loop: Header=BB67_57 Depth=1
	s_andn2_b32 vcc_lo, exec_lo, s5
                                        ; implicit-def: $vgpr20_vgpr21
	s_cbranch_vccnz .LBB67_72
; %bb.71:                               ;   in Loop: Header=BB67_57 Depth=1
	s_waitcnt vmcnt(1)
	v_fma_f64 v[18:19], v[22:23], v[12:13], v[10:11]
	v_fma_f64 v[20:21], -v[22:23], v[10:11], v[12:13]
	s_mov_b32 s0, 0
	v_mul_f64 v[18:19], v[26:27], v[18:19]
	v_mul_f64 v[20:21], v[26:27], v[20:21]
.LBB67_72:                              ;   in Loop: Header=BB67_57 Depth=1
	s_andn2_b32 vcc_lo, exec_lo, s0
	s_cbranch_vccnz .LBB67_74
; %bb.73:                               ;   in Loop: Header=BB67_57 Depth=1
	s_waitcnt vmcnt(1)
	v_div_scale_f64 v[18:19], null, s[6:7], s[6:7], v[10:11]
	v_div_scale_f64 v[20:21], null, s[12:13], s[12:13], v[12:13]
	v_div_scale_f64 v[39:40], vcc_lo, v[10:11], s[6:7], v[10:11]
	v_rcp_f64_e32 v[31:32], v[18:19]
	v_rcp_f64_e32 v[33:34], v[20:21]
	v_fma_f64 v[35:36], -v[18:19], v[31:32], 1.0
	v_fma_f64 v[37:38], -v[20:21], v[33:34], 1.0
	v_fma_f64 v[31:32], v[31:32], v[35:36], v[31:32]
	v_fma_f64 v[33:34], v[33:34], v[37:38], v[33:34]
	v_fma_f64 v[35:36], -v[18:19], v[31:32], 1.0
	v_fma_f64 v[37:38], -v[20:21], v[33:34], 1.0
	v_fma_f64 v[31:32], v[31:32], v[35:36], v[31:32]
	v_div_scale_f64 v[35:36], s0, v[12:13], s[12:13], v[12:13]
	v_fma_f64 v[33:34], v[33:34], v[37:38], v[33:34]
	v_mul_f64 v[37:38], v[39:40], v[31:32]
	v_mul_f64 v[41:42], v[35:36], v[33:34]
	v_fma_f64 v[18:19], -v[18:19], v[37:38], v[39:40]
	v_fma_f64 v[20:21], -v[20:21], v[41:42], v[35:36]
	v_div_fmas_f64 v[18:19], v[18:19], v[31:32], v[37:38]
	s_mov_b32 vcc_lo, s0
	v_div_fmas_f64 v[20:21], v[20:21], v[33:34], v[41:42]
	v_div_fixup_f64 v[18:19], v[18:19], s[6:7], v[10:11]
	v_div_fixup_f64 v[20:21], v[20:21], s[12:13], v[12:13]
.LBB67_74:                              ;   in Loop: Header=BB67_57 Depth=1
	s_cbranch_execz .LBB67_86
.LBB67_75:                              ;   in Loop: Header=BB67_57 Depth=1
	s_andn2_b32 vcc_lo, exec_lo, s14
	s_mov_b32 s0, -1
                                        ; implicit-def: $vgpr12_vgpr13
	s_cbranch_vccnz .LBB67_87
.LBB67_76:                              ;   in Loop: Header=BB67_57 Depth=1
	s_andn2_b32 vcc_lo, exec_lo, s5
                                        ; implicit-def: $vgpr12_vgpr13
	s_cbranch_vccnz .LBB67_78
; %bb.77:                               ;   in Loop: Header=BB67_57 Depth=1
	s_waitcnt vmcnt(2)
	v_fma_f64 v[10:11], v[22:23], v[4:5], v[2:3]
	v_fma_f64 v[12:13], -v[22:23], v[2:3], v[4:5]
	s_mov_b32 s0, 0
	v_mul_f64 v[10:11], v[26:27], v[10:11]
	v_mul_f64 v[12:13], v[26:27], v[12:13]
.LBB67_78:                              ;   in Loop: Header=BB67_57 Depth=1
	s_andn2_b32 vcc_lo, exec_lo, s0
	s_cbranch_vccnz .LBB67_80
; %bb.79:                               ;   in Loop: Header=BB67_57 Depth=1
	s_waitcnt vmcnt(2)
	v_div_scale_f64 v[10:11], null, s[6:7], s[6:7], v[2:3]
	v_div_scale_f64 v[12:13], null, s[12:13], s[12:13], v[4:5]
	v_div_scale_f64 v[39:40], vcc_lo, v[2:3], s[6:7], v[2:3]
	v_rcp_f64_e32 v[31:32], v[10:11]
	v_rcp_f64_e32 v[33:34], v[12:13]
	v_fma_f64 v[35:36], -v[10:11], v[31:32], 1.0
	v_fma_f64 v[37:38], -v[12:13], v[33:34], 1.0
	v_fma_f64 v[31:32], v[31:32], v[35:36], v[31:32]
	v_fma_f64 v[33:34], v[33:34], v[37:38], v[33:34]
	v_fma_f64 v[35:36], -v[10:11], v[31:32], 1.0
	v_fma_f64 v[37:38], -v[12:13], v[33:34], 1.0
	v_fma_f64 v[31:32], v[31:32], v[35:36], v[31:32]
	v_div_scale_f64 v[35:36], s0, v[4:5], s[12:13], v[4:5]
	v_fma_f64 v[33:34], v[33:34], v[37:38], v[33:34]
	v_mul_f64 v[37:38], v[39:40], v[31:32]
	v_mul_f64 v[41:42], v[35:36], v[33:34]
	v_fma_f64 v[10:11], -v[10:11], v[37:38], v[39:40]
	v_fma_f64 v[12:13], -v[12:13], v[41:42], v[35:36]
	v_div_fmas_f64 v[10:11], v[10:11], v[31:32], v[37:38]
	s_mov_b32 vcc_lo, s0
	v_div_fmas_f64 v[12:13], v[12:13], v[33:34], v[41:42]
	v_div_fixup_f64 v[10:11], v[10:11], s[6:7], v[2:3]
	v_div_fixup_f64 v[12:13], v[12:13], s[12:13], v[4:5]
.LBB67_80:                              ;   in Loop: Header=BB67_57 Depth=1
	s_cbranch_execnz .LBB67_56
	s_branch .LBB67_88
.LBB67_81:                              ;   in Loop: Header=BB67_57 Depth=1
	s_andn2_b32 vcc_lo, exec_lo, s0
	s_cbranch_vccnz .LBB67_63
.LBB67_82:                              ;   in Loop: Header=BB67_57 Depth=1
	s_waitcnt vmcnt(0)
	v_fma_f64 v[6:7], v[24:25], v[14:15], v[16:17]
	v_fma_f64 v[8:9], v[24:25], v[16:17], -v[14:15]
	v_mul_f64 v[6:7], v[28:29], v[6:7]
	v_mul_f64 v[8:9], v[28:29], v[8:9]
	s_andn2_b32 vcc_lo, exec_lo, s14
	s_mov_b32 s0, -1
                                        ; implicit-def: $vgpr16_vgpr17
	s_cbranch_vccz .LBB67_64
.LBB67_83:                              ;   in Loop: Header=BB67_57 Depth=1
	s_andn2_b32 vcc_lo, exec_lo, s0
	s_cbranch_vccnz .LBB67_69
.LBB67_84:                              ;   in Loop: Header=BB67_57 Depth=1
	s_waitcnt vmcnt(0)
	v_fma_f64 v[14:15], v[24:25], v[18:19], v[20:21]
	v_fma_f64 v[16:17], v[24:25], v[20:21], -v[18:19]
	v_mul_f64 v[14:15], v[28:29], v[14:15]
	v_mul_f64 v[16:17], v[28:29], v[16:17]
	s_andn2_b32 vcc_lo, exec_lo, s14
	s_mov_b32 s0, -1
                                        ; implicit-def: $vgpr20_vgpr21
	s_cbranch_vccz .LBB67_70
.LBB67_85:                              ;   in Loop: Header=BB67_57 Depth=1
	s_andn2_b32 vcc_lo, exec_lo, s0
	s_cbranch_vccnz .LBB67_75
.LBB67_86:                              ;   in Loop: Header=BB67_57 Depth=1
	s_waitcnt vmcnt(1)
	v_fma_f64 v[18:19], v[24:25], v[10:11], v[12:13]
	v_fma_f64 v[10:11], v[24:25], v[12:13], -v[10:11]
	v_mul_f64 v[18:19], v[28:29], v[18:19]
	v_mul_f64 v[20:21], v[28:29], v[10:11]
	s_andn2_b32 vcc_lo, exec_lo, s14
	s_mov_b32 s0, -1
                                        ; implicit-def: $vgpr12_vgpr13
	s_cbranch_vccz .LBB67_76
.LBB67_87:                              ;   in Loop: Header=BB67_57 Depth=1
	s_andn2_b32 vcc_lo, exec_lo, s0
	s_cbranch_vccnz .LBB67_56
.LBB67_88:                              ;   in Loop: Header=BB67_57 Depth=1
	s_waitcnt vmcnt(2)
	v_fma_f64 v[10:11], v[24:25], v[2:3], v[4:5]
	v_fma_f64 v[2:3], v[24:25], v[4:5], -v[2:3]
	v_mul_f64 v[10:11], v[28:29], v[10:11]
	v_mul_f64 v[12:13], v[28:29], v[2:3]
	s_branch .LBB67_56
.LBB67_89:
	s_endpgm
	.section	.rodata,"a",@progbits
	.p2align	6, 0x0
	.amdhsa_kernel _ZN2at6native12_GLOBAL__N_125multi_tensor_apply_kernelINS1_28TensorListScalarListMetadataIN3c107complexIdEELi2EEENS1_25BinaryOpScalarListFunctorIS6_Li2ELi1ELi1EEEJSt7dividesIS6_EEEEvT_T0_DpT1_
		.amdhsa_group_segment_fixed_size 0
		.amdhsa_private_segment_fixed_size 0
		.amdhsa_kernarg_size 4264
		.amdhsa_user_sgpr_count 6
		.amdhsa_user_sgpr_private_segment_buffer 1
		.amdhsa_user_sgpr_dispatch_ptr 0
		.amdhsa_user_sgpr_queue_ptr 0
		.amdhsa_user_sgpr_kernarg_segment_ptr 1
		.amdhsa_user_sgpr_dispatch_id 0
		.amdhsa_user_sgpr_flat_scratch_init 0
		.amdhsa_user_sgpr_private_segment_size 0
		.amdhsa_wavefront_size32 1
		.amdhsa_uses_dynamic_stack 0
		.amdhsa_system_sgpr_private_segment_wavefront_offset 0
		.amdhsa_system_sgpr_workgroup_id_x 1
		.amdhsa_system_sgpr_workgroup_id_y 0
		.amdhsa_system_sgpr_workgroup_id_z 0
		.amdhsa_system_sgpr_workgroup_info 0
		.amdhsa_system_vgpr_workitem_id 0
		.amdhsa_next_free_vgpr 49
		.amdhsa_next_free_sgpr 34
		.amdhsa_reserve_vcc 1
		.amdhsa_reserve_flat_scratch 0
		.amdhsa_float_round_mode_32 0
		.amdhsa_float_round_mode_16_64 0
		.amdhsa_float_denorm_mode_32 3
		.amdhsa_float_denorm_mode_16_64 3
		.amdhsa_dx10_clamp 1
		.amdhsa_ieee_mode 1
		.amdhsa_fp16_overflow 0
		.amdhsa_workgroup_processor_mode 1
		.amdhsa_memory_ordered 1
		.amdhsa_forward_progress 1
		.amdhsa_shared_vgpr_count 0
		.amdhsa_exception_fp_ieee_invalid_op 0
		.amdhsa_exception_fp_denorm_src 0
		.amdhsa_exception_fp_ieee_div_zero 0
		.amdhsa_exception_fp_ieee_overflow 0
		.amdhsa_exception_fp_ieee_underflow 0
		.amdhsa_exception_fp_ieee_inexact 0
		.amdhsa_exception_int_div_zero 0
	.end_amdhsa_kernel
	.section	.text._ZN2at6native12_GLOBAL__N_125multi_tensor_apply_kernelINS1_28TensorListScalarListMetadataIN3c107complexIdEELi2EEENS1_25BinaryOpScalarListFunctorIS6_Li2ELi1ELi1EEEJSt7dividesIS6_EEEEvT_T0_DpT1_,"axG",@progbits,_ZN2at6native12_GLOBAL__N_125multi_tensor_apply_kernelINS1_28TensorListScalarListMetadataIN3c107complexIdEELi2EEENS1_25BinaryOpScalarListFunctorIS6_Li2ELi1ELi1EEEJSt7dividesIS6_EEEEvT_T0_DpT1_,comdat
.Lfunc_end67:
	.size	_ZN2at6native12_GLOBAL__N_125multi_tensor_apply_kernelINS1_28TensorListScalarListMetadataIN3c107complexIdEELi2EEENS1_25BinaryOpScalarListFunctorIS6_Li2ELi1ELi1EEEJSt7dividesIS6_EEEEvT_T0_DpT1_, .Lfunc_end67-_ZN2at6native12_GLOBAL__N_125multi_tensor_apply_kernelINS1_28TensorListScalarListMetadataIN3c107complexIdEELi2EEENS1_25BinaryOpScalarListFunctorIS6_Li2ELi1ELi1EEEJSt7dividesIS6_EEEEvT_T0_DpT1_
                                        ; -- End function
	.set _ZN2at6native12_GLOBAL__N_125multi_tensor_apply_kernelINS1_28TensorListScalarListMetadataIN3c107complexIdEELi2EEENS1_25BinaryOpScalarListFunctorIS6_Li2ELi1ELi1EEEJSt7dividesIS6_EEEEvT_T0_DpT1_.num_vgpr, 49
	.set _ZN2at6native12_GLOBAL__N_125multi_tensor_apply_kernelINS1_28TensorListScalarListMetadataIN3c107complexIdEELi2EEENS1_25BinaryOpScalarListFunctorIS6_Li2ELi1ELi1EEEJSt7dividesIS6_EEEEvT_T0_DpT1_.num_agpr, 0
	.set _ZN2at6native12_GLOBAL__N_125multi_tensor_apply_kernelINS1_28TensorListScalarListMetadataIN3c107complexIdEELi2EEENS1_25BinaryOpScalarListFunctorIS6_Li2ELi1ELi1EEEJSt7dividesIS6_EEEEvT_T0_DpT1_.numbered_sgpr, 34
	.set _ZN2at6native12_GLOBAL__N_125multi_tensor_apply_kernelINS1_28TensorListScalarListMetadataIN3c107complexIdEELi2EEENS1_25BinaryOpScalarListFunctorIS6_Li2ELi1ELi1EEEJSt7dividesIS6_EEEEvT_T0_DpT1_.num_named_barrier, 0
	.set _ZN2at6native12_GLOBAL__N_125multi_tensor_apply_kernelINS1_28TensorListScalarListMetadataIN3c107complexIdEELi2EEENS1_25BinaryOpScalarListFunctorIS6_Li2ELi1ELi1EEEJSt7dividesIS6_EEEEvT_T0_DpT1_.private_seg_size, 0
	.set _ZN2at6native12_GLOBAL__N_125multi_tensor_apply_kernelINS1_28TensorListScalarListMetadataIN3c107complexIdEELi2EEENS1_25BinaryOpScalarListFunctorIS6_Li2ELi1ELi1EEEJSt7dividesIS6_EEEEvT_T0_DpT1_.uses_vcc, 1
	.set _ZN2at6native12_GLOBAL__N_125multi_tensor_apply_kernelINS1_28TensorListScalarListMetadataIN3c107complexIdEELi2EEENS1_25BinaryOpScalarListFunctorIS6_Li2ELi1ELi1EEEJSt7dividesIS6_EEEEvT_T0_DpT1_.uses_flat_scratch, 0
	.set _ZN2at6native12_GLOBAL__N_125multi_tensor_apply_kernelINS1_28TensorListScalarListMetadataIN3c107complexIdEELi2EEENS1_25BinaryOpScalarListFunctorIS6_Li2ELi1ELi1EEEJSt7dividesIS6_EEEEvT_T0_DpT1_.has_dyn_sized_stack, 0
	.set _ZN2at6native12_GLOBAL__N_125multi_tensor_apply_kernelINS1_28TensorListScalarListMetadataIN3c107complexIdEELi2EEENS1_25BinaryOpScalarListFunctorIS6_Li2ELi1ELi1EEEJSt7dividesIS6_EEEEvT_T0_DpT1_.has_recursion, 0
	.set _ZN2at6native12_GLOBAL__N_125multi_tensor_apply_kernelINS1_28TensorListScalarListMetadataIN3c107complexIdEELi2EEENS1_25BinaryOpScalarListFunctorIS6_Li2ELi1ELi1EEEJSt7dividesIS6_EEEEvT_T0_DpT1_.has_indirect_call, 0
	.section	.AMDGPU.csdata,"",@progbits
; Kernel info:
; codeLenInByte = 4488
; TotalNumSgprs: 36
; NumVgprs: 49
; ScratchSize: 0
; MemoryBound: 1
; FloatMode: 240
; IeeeMode: 1
; LDSByteSize: 0 bytes/workgroup (compile time only)
; SGPRBlocks: 0
; VGPRBlocks: 6
; NumSGPRsForWavesPerEU: 36
; NumVGPRsForWavesPerEU: 49
; Occupancy: 16
; WaveLimiterHint : 0
; COMPUTE_PGM_RSRC2:SCRATCH_EN: 0
; COMPUTE_PGM_RSRC2:USER_SGPR: 6
; COMPUTE_PGM_RSRC2:TRAP_HANDLER: 0
; COMPUTE_PGM_RSRC2:TGID_X_EN: 1
; COMPUTE_PGM_RSRC2:TGID_Y_EN: 0
; COMPUTE_PGM_RSRC2:TGID_Z_EN: 0
; COMPUTE_PGM_RSRC2:TIDIG_COMP_CNT: 0
	.section	.text._ZN2at6native12_GLOBAL__N_125multi_tensor_apply_kernelINS1_28TensorListScalarListMetadataIN3c107complexIfEELi2EEENS1_25BinaryOpScalarListFunctorIS6_Li2ELi1ELi1EEEJSt7dividesIS6_EEEEvT_T0_DpT1_,"axG",@progbits,_ZN2at6native12_GLOBAL__N_125multi_tensor_apply_kernelINS1_28TensorListScalarListMetadataIN3c107complexIfEELi2EEENS1_25BinaryOpScalarListFunctorIS6_Li2ELi1ELi1EEEJSt7dividesIS6_EEEEvT_T0_DpT1_,comdat
	.globl	_ZN2at6native12_GLOBAL__N_125multi_tensor_apply_kernelINS1_28TensorListScalarListMetadataIN3c107complexIfEELi2EEENS1_25BinaryOpScalarListFunctorIS6_Li2ELi1ELi1EEEJSt7dividesIS6_EEEEvT_T0_DpT1_ ; -- Begin function _ZN2at6native12_GLOBAL__N_125multi_tensor_apply_kernelINS1_28TensorListScalarListMetadataIN3c107complexIfEELi2EEENS1_25BinaryOpScalarListFunctorIS6_Li2ELi1ELi1EEEJSt7dividesIS6_EEEEvT_T0_DpT1_
	.p2align	8
	.type	_ZN2at6native12_GLOBAL__N_125multi_tensor_apply_kernelINS1_28TensorListScalarListMetadataIN3c107complexIfEELi2EEENS1_25BinaryOpScalarListFunctorIS6_Li2ELi1ELi1EEEJSt7dividesIS6_EEEEvT_T0_DpT1_,@function
_ZN2at6native12_GLOBAL__N_125multi_tensor_apply_kernelINS1_28TensorListScalarListMetadataIN3c107complexIfEELi2EEENS1_25BinaryOpScalarListFunctorIS6_Li2ELi1ELi1EEEJSt7dividesIS6_EEEEvT_T0_DpT1_: ; @_ZN2at6native12_GLOBAL__N_125multi_tensor_apply_kernelINS1_28TensorListScalarListMetadataIN3c107complexIfEELi2EEENS1_25BinaryOpScalarListFunctorIS6_Li2ELi1ELi1EEEJSt7dividesIS6_EEEEvT_T0_DpT1_
; %bb.0:
	v_mov_b32_e32 v1, 0x800
	s_add_u32 s0, s4, s6
	s_addc_u32 s1, s5, 0
	s_mov_b32 s7, 0
	s_mov_b32 s17, s7
	global_load_ubyte v1, v1, s[0:1]
	s_lshl_b64 s[0:1], s[6:7], 2
	s_add_u32 s0, s4, s0
	s_addc_u32 s1, s5, s1
	s_load_dword s0, s[0:1], 0x940
	s_waitcnt vmcnt(0)
	v_readfirstlane_b32 s1, v1
	s_lshl_b32 s1, s1, 3
	s_clause 0x3
	s_load_dwordx2 s[2:3], s[4:5], s1 offset:0x0
	s_load_dwordx2 s[8:9], s[4:5], s1 offset:0x600
	;; [unrolled: 1-line block ×4, first 2 shown]
	s_waitcnt lgkmcnt(0)
	s_ashr_i32 s1, s0, 31
	s_lshl_b64 s[14:15], s[0:1], 19
	s_add_u32 s18, s2, s14
	s_addc_u32 s19, s3, s15
	s_and_b32 s6, s18, 31
	s_add_u32 s20, s10, s14
	s_addc_u32 s21, s11, s15
	s_lshl_b64 s[0:1], s[0:1], 16
	s_and_b32 s16, s20, 31
	s_sub_u32 s10, s12, s0
	s_subb_u32 s11, s13, s1
	s_and_b32 s0, s12, 3
	s_mov_b32 s1, s7
	s_or_b64 s[0:1], s[16:17], s[0:1]
	s_or_b64 s[0:1], s[0:1], s[6:7]
	s_cmp_eq_u64 s[0:1], 0
	s_mov_b32 s0, -1
	s_cbranch_scc1 .LBB68_53
; %bb.1:
	v_cmp_lt_i64_e64 s0, s[10:11], 1
	s_and_b32 vcc_lo, exec_lo, s0
	s_cbranch_vccnz .LBB68_52
; %bb.2:
	v_div_scale_f32 v1, null, s8, s8, s9
	v_div_scale_f32 v4, vcc_lo, s9, s8, s9
	v_cmp_gt_i64_e64 s1, 0x10000, s[10:11]
	v_rcp_f32_e32 v2, v1
	v_cmp_gt_u64_e64 s2, 0x10000, s[10:11]
	v_cmp_lt_f32_e64 s3, s8, 0
	s_mov_b64 s[16:17], 0
	s_and_b32 s1, s1, exec_lo
	s_cselect_b32 s13, s11, 0
	s_cselect_b32 s12, s10, 0x10000
	v_cndmask_b32_e64 v21, s8, -s8, s3
	v_cmp_neq_f32_e64 s1, s8, 0
	v_fma_f32 v3, -v1, v2, 1.0
	v_fmac_f32_e32 v2, v3, v2
	v_mul_f32_e32 v3, v4, v2
	v_fma_f32 v5, -v1, v3, v4
	v_fmac_f32_e32 v3, v5, v2
	v_fma_f32 v1, -v1, v3, v4
	v_div_fmas_f32 v1, v1, v2, v3
	v_div_scale_f32 v3, null, s9, s9, s8
	v_div_fixup_f32 v19, v1, s8, s9
	v_rcp_f32_e32 v5, v3
	v_fma_f32 v1, v19, s9, s8
	v_div_scale_f32 v2, null, v1, v1, 1.0
	v_fma_f32 v7, -v3, v5, 1.0
	v_div_scale_f32 v8, vcc_lo, 1.0, v1, 1.0
	v_rcp_f32_e32 v4, v2
	v_fmac_f32_e32 v5, v7, v5
	v_fma_f32 v6, -v2, v4, 1.0
	v_fmac_f32_e32 v4, v6, v4
	v_div_scale_f32 v6, s0, s8, s9, s8
	v_mul_f32_e32 v7, v8, v4
	v_mul_f32_e32 v9, v6, v5
	v_fma_f32 v10, -v2, v7, v8
	v_fma_f32 v11, -v3, v9, v6
	v_fmac_f32_e32 v7, v10, v4
	v_fmac_f32_e32 v9, v11, v5
	v_fma_f32 v2, -v2, v7, v8
	v_fma_f32 v3, -v3, v9, v6
	v_div_fmas_f32 v2, v2, v4, v7
	s_mov_b32 vcc_lo, s0
	s_load_dword s0, s[4:5], 0xe54
	v_div_fmas_f32 v3, v3, v5, v9
	v_div_fixup_f32 v23, v2, v1, 1.0
	v_div_fixup_f32 v20, v3, s9, s8
	v_fma_f32 v3, v20, s8, s9
	v_div_scale_f32 v4, null, v3, v3, 1.0
	v_div_scale_f32 v7, vcc_lo, 1.0, v3, 1.0
	s_waitcnt lgkmcnt(0)
	s_and_b32 s22, s0, 0xffff
	v_rcp_f32_e32 v5, v4
	s_and_b32 s0, s2, exec_lo
	v_cmp_lt_f32_e64 s0, s9, 0
	v_cmp_neq_f32_e64 s2, s9, 0
	s_cselect_b32 s15, s11, 0
	s_cselect_b32 s14, s10, 0x10000
	s_lshl_b32 s23, s22, 1
	v_cndmask_b32_e64 v22, s9, -s9, s0
	s_mul_i32 s24, s22, 3
	s_or_b32 s25, s1, s2
	v_fma_f32 v6, -v4, v5, 1.0
	s_lshl_b32 s26, s22, 2
	v_cmp_ge_f32_e64 s0, v21, v22
	v_fmac_f32_e32 v5, v6, v5
	v_mul_f32_e32 v6, v7, v5
	v_fma_f32 v8, -v4, v6, v7
	v_fmac_f32_e32 v6, v8, v5
	v_fma_f32 v4, -v4, v6, v7
	v_div_fmas_f32 v4, v4, v5, v6
	v_div_fixup_f32 v24, v4, v3, 1.0
	s_branch .LBB68_4
.LBB68_3:                               ;   in Loop: Header=BB68_4 Depth=1
	s_or_b32 exec_lo, exec_lo, s1
	s_add_u32 s16, s16, s26
	s_addc_u32 s17, s17, 0
	v_cmp_ge_i64_e64 s1, s[16:17], s[12:13]
	s_and_b32 vcc_lo, exec_lo, s1
	s_cbranch_vccnz .LBB68_52
.LBB68_4:                               ; =>This Inner Loop Header: Depth=1
	v_add_co_u32 v1, s1, s16, v0
	v_add_co_ci_u32_e64 v2, null, s17, 0, s1
	s_waitcnt vmcnt(0)
	v_mov_b32_e32 v16, 0
	v_mov_b32_e32 v15, 0
	v_cmp_gt_u64_e64 s1, s[14:15], v[1:2]
	s_and_saveexec_b32 s2, s1
	s_cbranch_execz .LBB68_6
; %bb.5:                                ;   in Loop: Header=BB68_4 Depth=1
	v_lshlrev_b64 v[3:4], 3, v[1:2]
	v_add_co_u32 v3, vcc_lo, s18, v3
	v_add_co_ci_u32_e64 v4, null, s19, v4, vcc_lo
	global_load_dwordx2 v[15:16], v[3:4], off
.LBB68_6:                               ;   in Loop: Header=BB68_4 Depth=1
	s_or_b32 exec_lo, exec_lo, s2
	v_add_co_u32 v3, vcc_lo, v1, s22
	v_add_co_ci_u32_e64 v4, null, 0, v2, vcc_lo
	v_mov_b32_e32 v14, 0
	v_mov_b32_e32 v18, 0
	;; [unrolled: 1-line block ×3, first 2 shown]
	v_cmp_gt_u64_e64 s2, s[14:15], v[3:4]
	s_and_saveexec_b32 s3, s2
	s_cbranch_execz .LBB68_8
; %bb.7:                                ;   in Loop: Header=BB68_4 Depth=1
	v_lshlrev_b64 v[5:6], 3, v[3:4]
	v_add_co_u32 v5, vcc_lo, s18, v5
	v_add_co_ci_u32_e64 v6, null, s19, v6, vcc_lo
	global_load_dwordx2 v[17:18], v[5:6], off
.LBB68_8:                               ;   in Loop: Header=BB68_4 Depth=1
	s_or_b32 exec_lo, exec_lo, s3
	v_add_co_u32 v5, vcc_lo, v1, s23
	v_add_co_ci_u32_e64 v6, null, 0, v2, vcc_lo
	v_mov_b32_e32 v13, 0
	v_cmp_gt_u64_e64 s3, s[14:15], v[5:6]
	s_and_saveexec_b32 s6, s3
	s_cbranch_execz .LBB68_10
; %bb.9:                                ;   in Loop: Header=BB68_4 Depth=1
	v_lshlrev_b64 v[7:8], 3, v[5:6]
	v_add_co_u32 v7, vcc_lo, s18, v7
	v_add_co_ci_u32_e64 v8, null, s19, v8, vcc_lo
	global_load_dwordx2 v[13:14], v[7:8], off
.LBB68_10:                              ;   in Loop: Header=BB68_4 Depth=1
	s_or_b32 exec_lo, exec_lo, s6
	v_add_co_u32 v7, vcc_lo, v1, s24
	v_add_co_ci_u32_e64 v8, null, 0, v2, vcc_lo
	v_mov_b32_e32 v10, 0
	v_mov_b32_e32 v9, 0
	v_cmp_gt_u64_e64 s6, s[14:15], v[7:8]
	s_and_saveexec_b32 s7, s6
	s_cbranch_execz .LBB68_12
; %bb.11:                               ;   in Loop: Header=BB68_4 Depth=1
	v_lshlrev_b64 v[9:10], 3, v[7:8]
	v_add_co_u32 v9, vcc_lo, s18, v9
	v_add_co_ci_u32_e64 v10, null, s19, v10, vcc_lo
	global_load_dwordx2 v[9:10], v[9:10], off
.LBB68_12:                              ;   in Loop: Header=BB68_4 Depth=1
	s_or_b32 exec_lo, exec_lo, s7
	s_and_b32 vcc_lo, exec_lo, s0
	s_mov_b32 s7, -1
                                        ; implicit-def: $vgpr12
	s_cbranch_vccz .LBB68_40
; %bb.13:                               ;   in Loop: Header=BB68_4 Depth=1
	s_and_b32 vcc_lo, exec_lo, s25
                                        ; implicit-def: $vgpr12
	s_cbranch_vccz .LBB68_15
; %bb.14:                               ;   in Loop: Header=BB68_4 Depth=1
	s_waitcnt vmcnt(0)
	v_fma_f32 v11, v19, v16, v15
	v_fma_f32 v12, -v19, v15, v16
	s_mov_b32 s7, 0
	v_mul_f32_e32 v11, v23, v11
	v_mul_f32_e32 v12, v23, v12
.LBB68_15:                              ;   in Loop: Header=BB68_4 Depth=1
	s_andn2_b32 vcc_lo, exec_lo, s7
	s_cbranch_vccnz .LBB68_17
; %bb.16:                               ;   in Loop: Header=BB68_4 Depth=1
	s_waitcnt vmcnt(0)
	v_div_scale_f32 v11, null, v21, v21, v15
	v_div_scale_f32 v12, null, v22, v22, v16
	v_div_scale_f32 v29, vcc_lo, v15, v21, v15
	v_rcp_f32_e32 v25, v11
	v_rcp_f32_e32 v26, v12
	v_fma_f32 v27, -v11, v25, 1.0
	v_fma_f32 v28, -v12, v26, 1.0
	v_fmac_f32_e32 v25, v27, v25
	v_div_scale_f32 v27, s7, v16, v22, v16
	v_fmac_f32_e32 v26, v28, v26
	v_mul_f32_e32 v28, v29, v25
	v_mul_f32_e32 v30, v27, v26
	v_fma_f32 v31, -v11, v28, v29
	v_fma_f32 v32, -v12, v30, v27
	v_fmac_f32_e32 v28, v31, v25
	v_fmac_f32_e32 v30, v32, v26
	v_fma_f32 v11, -v11, v28, v29
	v_fma_f32 v12, -v12, v30, v27
	v_div_fmas_f32 v11, v11, v25, v28
	s_mov_b32 vcc_lo, s7
	v_div_fmas_f32 v12, v12, v26, v30
	v_div_fixup_f32 v11, v11, v21, v15
	v_div_fixup_f32 v12, v12, v22, v16
.LBB68_17:                              ;   in Loop: Header=BB68_4 Depth=1
	s_cbranch_execz .LBB68_41
.LBB68_18:                              ;   in Loop: Header=BB68_4 Depth=1
	s_andn2_b32 vcc_lo, exec_lo, s0
	s_mov_b32 s7, -1
                                        ; implicit-def: $vgpr16
	s_cbranch_vccnz .LBB68_42
.LBB68_19:                              ;   in Loop: Header=BB68_4 Depth=1
	s_andn2_b32 vcc_lo, exec_lo, s25
                                        ; implicit-def: $vgpr16
	s_cbranch_vccnz .LBB68_21
; %bb.20:                               ;   in Loop: Header=BB68_4 Depth=1
	s_waitcnt vmcnt(0)
	v_fma_f32 v15, v19, v18, v17
	v_fma_f32 v16, -v19, v17, v18
	s_mov_b32 s7, 0
	v_mul_f32_e32 v15, v23, v15
	v_mul_f32_e32 v16, v23, v16
.LBB68_21:                              ;   in Loop: Header=BB68_4 Depth=1
	s_andn2_b32 vcc_lo, exec_lo, s7
	s_cbranch_vccnz .LBB68_23
; %bb.22:                               ;   in Loop: Header=BB68_4 Depth=1
	s_waitcnt vmcnt(0)
	v_div_scale_f32 v15, null, v21, v21, v17
	v_div_scale_f32 v16, null, v22, v22, v18
	v_div_scale_f32 v29, vcc_lo, v17, v21, v17
	v_rcp_f32_e32 v25, v15
	v_rcp_f32_e32 v26, v16
	v_fma_f32 v27, -v15, v25, 1.0
	v_fma_f32 v28, -v16, v26, 1.0
	v_fmac_f32_e32 v25, v27, v25
	v_div_scale_f32 v27, s7, v18, v22, v18
	v_fmac_f32_e32 v26, v28, v26
	v_mul_f32_e32 v28, v29, v25
	v_mul_f32_e32 v30, v27, v26
	v_fma_f32 v31, -v15, v28, v29
	v_fma_f32 v32, -v16, v30, v27
	v_fmac_f32_e32 v28, v31, v25
	v_fmac_f32_e32 v30, v32, v26
	v_fma_f32 v15, -v15, v28, v29
	v_fma_f32 v16, -v16, v30, v27
	v_div_fmas_f32 v15, v15, v25, v28
	s_mov_b32 vcc_lo, s7
	v_div_fmas_f32 v16, v16, v26, v30
	v_div_fixup_f32 v15, v15, v21, v17
	v_div_fixup_f32 v16, v16, v22, v18
.LBB68_23:                              ;   in Loop: Header=BB68_4 Depth=1
	s_cbranch_execz .LBB68_43
.LBB68_24:                              ;   in Loop: Header=BB68_4 Depth=1
	s_andn2_b32 vcc_lo, exec_lo, s0
	s_mov_b32 s7, -1
                                        ; implicit-def: $vgpr18
	s_cbranch_vccnz .LBB68_44
.LBB68_25:                              ;   in Loop: Header=BB68_4 Depth=1
	s_andn2_b32 vcc_lo, exec_lo, s25
                                        ; implicit-def: $vgpr18
	s_cbranch_vccnz .LBB68_27
; %bb.26:                               ;   in Loop: Header=BB68_4 Depth=1
	s_waitcnt vmcnt(0)
	v_fma_f32 v17, v19, v14, v13
	v_fma_f32 v18, -v19, v13, v14
	s_mov_b32 s7, 0
	v_mul_f32_e32 v17, v23, v17
	v_mul_f32_e32 v18, v23, v18
.LBB68_27:                              ;   in Loop: Header=BB68_4 Depth=1
	s_andn2_b32 vcc_lo, exec_lo, s7
	s_cbranch_vccnz .LBB68_29
; %bb.28:                               ;   in Loop: Header=BB68_4 Depth=1
	s_waitcnt vmcnt(0)
	v_div_scale_f32 v17, null, v21, v21, v13
	v_div_scale_f32 v18, null, v22, v22, v14
	v_div_scale_f32 v29, vcc_lo, v13, v21, v13
	v_rcp_f32_e32 v25, v17
	v_rcp_f32_e32 v26, v18
	v_fma_f32 v27, -v17, v25, 1.0
	v_fma_f32 v28, -v18, v26, 1.0
	v_fmac_f32_e32 v25, v27, v25
	v_div_scale_f32 v27, s7, v14, v22, v14
	v_fmac_f32_e32 v26, v28, v26
	v_mul_f32_e32 v28, v29, v25
	v_mul_f32_e32 v30, v27, v26
	v_fma_f32 v31, -v17, v28, v29
	v_fma_f32 v32, -v18, v30, v27
	v_fmac_f32_e32 v28, v31, v25
	v_fmac_f32_e32 v30, v32, v26
	v_fma_f32 v17, -v17, v28, v29
	v_fma_f32 v18, -v18, v30, v27
	v_div_fmas_f32 v17, v17, v25, v28
	s_mov_b32 vcc_lo, s7
	v_div_fmas_f32 v18, v18, v26, v30
	v_div_fixup_f32 v17, v17, v21, v13
	v_div_fixup_f32 v18, v18, v22, v14
.LBB68_29:                              ;   in Loop: Header=BB68_4 Depth=1
	s_cbranch_execz .LBB68_45
.LBB68_30:                              ;   in Loop: Header=BB68_4 Depth=1
	s_andn2_b32 vcc_lo, exec_lo, s0
	s_mov_b32 s7, -1
                                        ; implicit-def: $vgpr14
	s_cbranch_vccnz .LBB68_46
.LBB68_31:                              ;   in Loop: Header=BB68_4 Depth=1
	s_andn2_b32 vcc_lo, exec_lo, s25
                                        ; implicit-def: $vgpr14
	s_cbranch_vccnz .LBB68_33
; %bb.32:                               ;   in Loop: Header=BB68_4 Depth=1
	s_waitcnt vmcnt(0)
	v_fma_f32 v13, v19, v10, v9
	v_fma_f32 v14, -v19, v9, v10
	s_mov_b32 s7, 0
	v_mul_f32_e32 v13, v23, v13
	v_mul_f32_e32 v14, v23, v14
.LBB68_33:                              ;   in Loop: Header=BB68_4 Depth=1
	s_andn2_b32 vcc_lo, exec_lo, s7
	s_cbranch_vccnz .LBB68_35
; %bb.34:                               ;   in Loop: Header=BB68_4 Depth=1
	s_waitcnt vmcnt(0)
	v_div_scale_f32 v13, null, v21, v21, v9
	v_div_scale_f32 v14, null, v22, v22, v10
	v_div_scale_f32 v29, vcc_lo, v9, v21, v9
	v_rcp_f32_e32 v25, v13
	v_rcp_f32_e32 v26, v14
	v_fma_f32 v27, -v13, v25, 1.0
	v_fma_f32 v28, -v14, v26, 1.0
	v_fmac_f32_e32 v25, v27, v25
	v_div_scale_f32 v27, s7, v10, v22, v10
	v_fmac_f32_e32 v26, v28, v26
	v_mul_f32_e32 v28, v29, v25
	v_mul_f32_e32 v30, v27, v26
	v_fma_f32 v31, -v13, v28, v29
	v_fma_f32 v32, -v14, v30, v27
	v_fmac_f32_e32 v28, v31, v25
	v_fmac_f32_e32 v30, v32, v26
	v_fma_f32 v13, -v13, v28, v29
	v_fma_f32 v14, -v14, v30, v27
	v_div_fmas_f32 v13, v13, v25, v28
	s_mov_b32 vcc_lo, s7
	v_div_fmas_f32 v14, v14, v26, v30
	v_div_fixup_f32 v13, v13, v21, v9
	v_div_fixup_f32 v14, v14, v22, v10
.LBB68_35:                              ;   in Loop: Header=BB68_4 Depth=1
	s_cbranch_execz .LBB68_47
.LBB68_36:                              ;   in Loop: Header=BB68_4 Depth=1
	s_and_saveexec_b32 s7, s1
	s_xor_b32 s1, exec_lo, s7
	s_cbranch_execz .LBB68_48
.LBB68_37:                              ;   in Loop: Header=BB68_4 Depth=1
	v_lshlrev_b64 v[1:2], 3, v[1:2]
	v_add_co_u32 v1, vcc_lo, s20, v1
	v_add_co_ci_u32_e64 v2, null, s21, v2, vcc_lo
	global_store_dwordx2 v[1:2], v[11:12], off
	s_or_b32 exec_lo, exec_lo, s1
	s_and_saveexec_b32 s1, s2
	s_cbranch_execnz .LBB68_49
.LBB68_38:                              ;   in Loop: Header=BB68_4 Depth=1
	s_or_b32 exec_lo, exec_lo, s1
	s_and_saveexec_b32 s1, s3
	s_cbranch_execz .LBB68_50
.LBB68_39:                              ;   in Loop: Header=BB68_4 Depth=1
	v_lshlrev_b64 v[1:2], 3, v[5:6]
	v_add_co_u32 v1, vcc_lo, s20, v1
	v_add_co_ci_u32_e64 v2, null, s21, v2, vcc_lo
	s_waitcnt vmcnt(0)
	global_store_dwordx2 v[1:2], v[17:18], off
	s_or_b32 exec_lo, exec_lo, s1
	s_and_saveexec_b32 s1, s6
	s_cbranch_execz .LBB68_3
	s_branch .LBB68_51
.LBB68_40:                              ;   in Loop: Header=BB68_4 Depth=1
	s_andn2_b32 vcc_lo, exec_lo, s7
	s_cbranch_vccnz .LBB68_18
.LBB68_41:                              ;   in Loop: Header=BB68_4 Depth=1
	s_waitcnt vmcnt(0)
	v_fma_f32 v11, v20, v15, v16
	v_fma_f32 v12, v20, v16, -v15
	v_mul_f32_e32 v11, v24, v11
	v_mul_f32_e32 v12, v24, v12
	s_andn2_b32 vcc_lo, exec_lo, s0
	s_mov_b32 s7, -1
                                        ; implicit-def: $vgpr16
	s_cbranch_vccz .LBB68_19
.LBB68_42:                              ;   in Loop: Header=BB68_4 Depth=1
	s_andn2_b32 vcc_lo, exec_lo, s7
	s_cbranch_vccnz .LBB68_24
.LBB68_43:                              ;   in Loop: Header=BB68_4 Depth=1
	s_waitcnt vmcnt(0)
	v_fma_f32 v15, v20, v17, v18
	v_fma_f32 v16, v20, v18, -v17
	v_mul_f32_e32 v15, v24, v15
	v_mul_f32_e32 v16, v24, v16
	s_andn2_b32 vcc_lo, exec_lo, s0
	s_mov_b32 s7, -1
                                        ; implicit-def: $vgpr18
	s_cbranch_vccz .LBB68_25
.LBB68_44:                              ;   in Loop: Header=BB68_4 Depth=1
	s_andn2_b32 vcc_lo, exec_lo, s7
	s_cbranch_vccnz .LBB68_30
.LBB68_45:                              ;   in Loop: Header=BB68_4 Depth=1
	s_waitcnt vmcnt(0)
	v_fma_f32 v17, v20, v13, v14
	v_fma_f32 v13, v20, v14, -v13
	v_mul_f32_e32 v17, v24, v17
	v_mul_f32_e32 v18, v24, v13
	s_andn2_b32 vcc_lo, exec_lo, s0
	s_mov_b32 s7, -1
                                        ; implicit-def: $vgpr14
	s_cbranch_vccz .LBB68_31
.LBB68_46:                              ;   in Loop: Header=BB68_4 Depth=1
	s_andn2_b32 vcc_lo, exec_lo, s7
	s_cbranch_vccnz .LBB68_36
.LBB68_47:                              ;   in Loop: Header=BB68_4 Depth=1
	s_waitcnt vmcnt(0)
	v_fma_f32 v13, v20, v9, v10
	v_fma_f32 v9, v20, v10, -v9
	v_mul_f32_e32 v13, v24, v13
	v_mul_f32_e32 v14, v24, v9
	s_and_saveexec_b32 s7, s1
	s_xor_b32 s1, exec_lo, s7
	s_cbranch_execnz .LBB68_37
.LBB68_48:                              ;   in Loop: Header=BB68_4 Depth=1
	s_or_b32 exec_lo, exec_lo, s1
	s_and_saveexec_b32 s1, s2
	s_cbranch_execz .LBB68_38
.LBB68_49:                              ;   in Loop: Header=BB68_4 Depth=1
	v_lshlrev_b64 v[1:2], 3, v[3:4]
	v_add_co_u32 v1, vcc_lo, s20, v1
	v_add_co_ci_u32_e64 v2, null, s21, v2, vcc_lo
	s_waitcnt vmcnt(0)
	global_store_dwordx2 v[1:2], v[15:16], off
	s_or_b32 exec_lo, exec_lo, s1
	s_and_saveexec_b32 s1, s3
	s_cbranch_execnz .LBB68_39
.LBB68_50:                              ;   in Loop: Header=BB68_4 Depth=1
	s_or_b32 exec_lo, exec_lo, s1
	s_and_saveexec_b32 s1, s6
	s_cbranch_execz .LBB68_3
.LBB68_51:                              ;   in Loop: Header=BB68_4 Depth=1
	v_lshlrev_b64 v[1:2], 3, v[7:8]
	v_add_co_u32 v1, vcc_lo, s20, v1
	v_add_co_ci_u32_e64 v2, null, s21, v2, vcc_lo
	s_waitcnt vmcnt(0)
	global_store_dwordx2 v[1:2], v[13:14], off
	s_branch .LBB68_3
.LBB68_52:
	s_mov_b32 s0, 0
.LBB68_53:
	s_andn2_b32 vcc_lo, exec_lo, s0
	s_cbranch_vccnz .LBB68_89
; %bb.54:
	v_cmp_gt_i64_e64 s0, 0x10000, s[10:11]
	v_mov_b32_e32 v2, 0
	v_lshlrev_b32_e32 v1, 2, v0
	s_mov_b32 s6, 0
	s_and_b32 s0, s0, exec_lo
	s_cselect_b32 s3, s11, 0
	s_cselect_b32 s2, s10, 0x10000
	s_mov_b32 s0, exec_lo
	v_cmpx_gt_i64_e64 s[2:3], v[1:2]
	s_cbranch_execz .LBB68_89
; %bb.55:
	v_div_scale_f32 v1, null, s8, s8, s9
	v_div_scale_f32 v5, vcc_lo, s9, s8, s9
	s_load_dword s1, s[4:5], 0xe54
	v_rcp_f32_e32 v3, v1
	v_cmp_neq_f32_e64 s5, s8, 0
	v_cmp_neq_f32_e64 s7, s9, 0
	s_waitcnt vmcnt(0)
	v_lshlrev_b32_e32 v18, 5, v0
	s_or_b32 s5, s5, s7
	v_fma_f32 v4, -v1, v3, 1.0
	v_fmac_f32_e32 v3, v4, v3
	s_waitcnt lgkmcnt(0)
	s_and_b32 s4, s1, 0xffff
	v_mul_f32_e32 v4, v5, v3
	s_lshl_b32 s7, s4, 5
	v_fma_f32 v6, -v1, v4, v5
	v_fmac_f32_e32 v4, v6, v3
	v_fma_f32 v1, -v1, v4, v5
	v_div_fmas_f32 v1, v1, v3, v4
	v_div_scale_f32 v4, null, s9, s9, s8
	v_div_fixup_f32 v14, v1, s8, s9
	v_rcp_f32_e32 v6, v4
	v_fma_f32 v3, v14, s9, s8
	v_div_scale_f32 v1, null, v3, v3, 1.0
	v_fma_f32 v8, -v4, v6, 1.0
	v_div_scale_f32 v9, vcc_lo, 1.0, v3, 1.0
	v_rcp_f32_e32 v5, v1
	v_fmac_f32_e32 v6, v8, v6
	v_fma_f32 v7, -v1, v5, 1.0
	v_fmac_f32_e32 v5, v7, v5
	v_div_scale_f32 v7, s0, s8, s9, s8
	v_mul_f32_e32 v8, v9, v5
	v_mul_f32_e32 v10, v7, v6
	v_fma_f32 v11, -v1, v8, v9
	v_fma_f32 v12, -v4, v10, v7
	v_fmac_f32_e32 v8, v11, v5
	v_fmac_f32_e32 v10, v12, v6
	v_fma_f32 v1, -v1, v8, v9
	v_fma_f32 v4, -v4, v10, v7
	v_div_fmas_f32 v5, v1, v5, v8
	s_mov_b32 vcc_lo, s0
	v_cmp_lt_f32_e64 s0, s8, 0
	v_div_fmas_f32 v1, v4, v6, v10
	v_div_fixup_f32 v19, v5, v3, 1.0
	v_cndmask_b32_e64 v16, s8, -s8, s0
	v_div_fixup_f32 v15, v1, s9, s8
	v_cmp_lt_f32_e64 s0, s9, 0
	v_fma_f32 v4, v15, s8, s9
	v_cndmask_b32_e64 v17, s9, -s9, s0
	v_div_scale_f32 v6, null, v4, v4, 1.0
	v_div_scale_f32 v8, vcc_lo, 1.0, v4, 1.0
	v_cmp_ge_f32_e64 s0, v16, v17
	v_rcp_f32_e32 v7, v6
	v_fma_f32 v1, -v6, v7, 1.0
	v_fmac_f32_e32 v7, v1, v7
	v_mul_f32_e32 v9, v8, v7
	v_fma_f32 v1, -v6, v9, v8
	v_fmac_f32_e32 v9, v1, v7
	v_mov_b32_e32 v1, v2
	v_fma_f32 v2, -v6, v9, v8
	v_div_fmas_f32 v2, v2, v7, v9
	v_div_fixup_f32 v20, v2, v4, 1.0
	s_branch .LBB68_57
.LBB68_56:                              ;   in Loop: Header=BB68_57 Depth=1
	v_add_co_u32 v0, vcc_lo, v0, s4
	v_add_co_ci_u32_e64 v1, null, 0, v1, vcc_lo
	s_waitcnt vmcnt(1)
	v_lshlrev_b64 v[2:3], 2, v[0:1]
	v_cmp_le_i64_e32 vcc_lo, s[2:3], v[2:3]
	v_add_co_u32 v2, s1, s20, v18
	s_add_u32 s20, s20, s7
	v_add_co_ci_u32_e64 v3, null, s21, 0, s1
	s_addc_u32 s21, s21, 0
	s_add_u32 s18, s18, s7
	s_addc_u32 s19, s19, 0
	s_or_b32 s6, vcc_lo, s6
	s_waitcnt vmcnt(0)
	global_store_dwordx4 v[2:3], v[6:9], off
	global_store_dwordx4 v[2:3], v[10:13], off offset:16
	s_andn2_b32 exec_lo, exec_lo, s6
	s_cbranch_execz .LBB68_89
.LBB68_57:                              ; =>This Inner Loop Header: Depth=1
	v_add_co_u32 v6, s1, s18, v18
	v_add_co_ci_u32_e64 v7, null, s19, 0, s1
	s_andn2_b32 vcc_lo, exec_lo, s0
	s_mov_b32 s1, -1
	s_clause 0x1
	global_load_dwordx4 v[2:5], v[6:7], off offset:16
	global_load_dwordx4 v[8:11], v[6:7], off
                                        ; implicit-def: $vgpr7
	s_cbranch_vccnz .LBB68_81
; %bb.58:                               ;   in Loop: Header=BB68_57 Depth=1
	s_and_b32 vcc_lo, exec_lo, s5
                                        ; implicit-def: $vgpr7
	s_cbranch_vccz .LBB68_60
; %bb.59:                               ;   in Loop: Header=BB68_57 Depth=1
	s_waitcnt vmcnt(0)
	v_fma_f32 v6, v14, v9, v8
	v_fma_f32 v7, -v14, v8, v9
	s_mov_b32 s1, 0
	v_mul_f32_e32 v6, v19, v6
	v_mul_f32_e32 v7, v19, v7
.LBB68_60:                              ;   in Loop: Header=BB68_57 Depth=1
	s_andn2_b32 vcc_lo, exec_lo, s1
	s_cbranch_vccnz .LBB68_62
; %bb.61:                               ;   in Loop: Header=BB68_57 Depth=1
	s_waitcnt vmcnt(0)
	v_div_scale_f32 v6, null, v16, v16, v8
	v_div_scale_f32 v7, null, v17, v17, v9
	v_div_scale_f32 v23, vcc_lo, v8, v16, v8
	v_rcp_f32_e32 v12, v6
	v_rcp_f32_e32 v13, v7
	v_fma_f32 v21, -v6, v12, 1.0
	v_fma_f32 v22, -v7, v13, 1.0
	v_fmac_f32_e32 v12, v21, v12
	v_div_scale_f32 v21, s1, v9, v17, v9
	v_fmac_f32_e32 v13, v22, v13
	v_mul_f32_e32 v22, v23, v12
	v_mul_f32_e32 v24, v21, v13
	v_fma_f32 v25, -v6, v22, v23
	v_fma_f32 v26, -v7, v24, v21
	v_fmac_f32_e32 v22, v25, v12
	v_fmac_f32_e32 v24, v26, v13
	v_fma_f32 v6, -v6, v22, v23
	v_fma_f32 v7, -v7, v24, v21
	v_div_fmas_f32 v6, v6, v12, v22
	s_mov_b32 vcc_lo, s1
	v_div_fmas_f32 v7, v7, v13, v24
	v_div_fixup_f32 v6, v6, v16, v8
	v_div_fixup_f32 v7, v7, v17, v9
.LBB68_62:                              ;   in Loop: Header=BB68_57 Depth=1
	s_cbranch_execz .LBB68_82
.LBB68_63:                              ;   in Loop: Header=BB68_57 Depth=1
	s_andn2_b32 vcc_lo, exec_lo, s0
	s_mov_b32 s1, -1
	s_cbranch_vccnz .LBB68_83
.LBB68_64:                              ;   in Loop: Header=BB68_57 Depth=1
	s_andn2_b32 vcc_lo, exec_lo, s5
	s_cbranch_vccnz .LBB68_66
; %bb.65:                               ;   in Loop: Header=BB68_57 Depth=1
	s_waitcnt vmcnt(0)
	v_fma_f32 v8, v14, v11, v10
	v_fma_f32 v9, -v14, v10, v11
	s_mov_b32 s1, 0
	v_mul_f32_e32 v8, v19, v8
	v_mul_f32_e32 v9, v19, v9
.LBB68_66:                              ;   in Loop: Header=BB68_57 Depth=1
	s_andn2_b32 vcc_lo, exec_lo, s1
	s_cbranch_vccnz .LBB68_68
; %bb.67:                               ;   in Loop: Header=BB68_57 Depth=1
	s_waitcnt vmcnt(0)
	v_div_scale_f32 v8, null, v16, v16, v10
	v_div_scale_f32 v9, null, v17, v17, v11
	v_div_scale_f32 v23, vcc_lo, v10, v16, v10
	v_rcp_f32_e32 v12, v8
	v_rcp_f32_e32 v13, v9
	v_fma_f32 v21, -v8, v12, 1.0
	v_fma_f32 v22, -v9, v13, 1.0
	v_fmac_f32_e32 v12, v21, v12
	v_div_scale_f32 v21, s1, v11, v17, v11
	v_fmac_f32_e32 v13, v22, v13
	v_mul_f32_e32 v22, v23, v12
	v_mul_f32_e32 v24, v21, v13
	v_fma_f32 v25, -v8, v22, v23
	v_fma_f32 v26, -v9, v24, v21
	v_fmac_f32_e32 v22, v25, v12
	v_fmac_f32_e32 v24, v26, v13
	v_fma_f32 v8, -v8, v22, v23
	v_fma_f32 v9, -v9, v24, v21
	v_div_fmas_f32 v8, v8, v12, v22
	s_mov_b32 vcc_lo, s1
	v_div_fmas_f32 v9, v9, v13, v24
	v_div_fixup_f32 v8, v8, v16, v10
	v_div_fixup_f32 v9, v9, v17, v11
.LBB68_68:                              ;   in Loop: Header=BB68_57 Depth=1
	s_cbranch_execz .LBB68_84
.LBB68_69:                              ;   in Loop: Header=BB68_57 Depth=1
	s_andn2_b32 vcc_lo, exec_lo, s0
	s_mov_b32 s1, -1
                                        ; implicit-def: $vgpr11
	s_cbranch_vccnz .LBB68_85
.LBB68_70:                              ;   in Loop: Header=BB68_57 Depth=1
	s_andn2_b32 vcc_lo, exec_lo, s5
                                        ; implicit-def: $vgpr11
	s_cbranch_vccnz .LBB68_72
; %bb.71:                               ;   in Loop: Header=BB68_57 Depth=1
	s_waitcnt vmcnt(0)
	v_fma_f32 v10, v14, v3, v2
	v_fma_f32 v11, -v14, v2, v3
	s_mov_b32 s1, 0
	v_mul_f32_e32 v10, v19, v10
	v_mul_f32_e32 v11, v19, v11
.LBB68_72:                              ;   in Loop: Header=BB68_57 Depth=1
	s_andn2_b32 vcc_lo, exec_lo, s1
	s_cbranch_vccnz .LBB68_74
; %bb.73:                               ;   in Loop: Header=BB68_57 Depth=1
	s_waitcnt vmcnt(0)
	v_div_scale_f32 v10, null, v16, v16, v2
	v_div_scale_f32 v11, null, v17, v17, v3
	v_div_scale_f32 v23, vcc_lo, v2, v16, v2
	v_rcp_f32_e32 v12, v10
	v_rcp_f32_e32 v13, v11
	v_fma_f32 v21, -v10, v12, 1.0
	v_fma_f32 v22, -v11, v13, 1.0
	v_fmac_f32_e32 v12, v21, v12
	v_div_scale_f32 v21, s1, v3, v17, v3
	v_fmac_f32_e32 v13, v22, v13
	v_mul_f32_e32 v22, v23, v12
	v_mul_f32_e32 v24, v21, v13
	v_fma_f32 v25, -v10, v22, v23
	v_fma_f32 v26, -v11, v24, v21
	v_fmac_f32_e32 v22, v25, v12
	v_fmac_f32_e32 v24, v26, v13
	v_fma_f32 v10, -v10, v22, v23
	v_fma_f32 v11, -v11, v24, v21
	v_div_fmas_f32 v10, v10, v12, v22
	s_mov_b32 vcc_lo, s1
	v_div_fmas_f32 v11, v11, v13, v24
	v_div_fixup_f32 v10, v10, v16, v2
	v_div_fixup_f32 v11, v11, v17, v3
.LBB68_74:                              ;   in Loop: Header=BB68_57 Depth=1
	s_cbranch_execz .LBB68_86
.LBB68_75:                              ;   in Loop: Header=BB68_57 Depth=1
	s_andn2_b32 vcc_lo, exec_lo, s0
	s_mov_b32 s1, -1
	s_cbranch_vccnz .LBB68_87
.LBB68_76:                              ;   in Loop: Header=BB68_57 Depth=1
	s_andn2_b32 vcc_lo, exec_lo, s5
	s_cbranch_vccnz .LBB68_78
; %bb.77:                               ;   in Loop: Header=BB68_57 Depth=1
	s_waitcnt vmcnt(1)
	v_fma_f32 v2, v14, v5, v4
	v_fma_f32 v3, -v14, v4, v5
	s_mov_b32 s1, 0
	v_mul_f32_e32 v12, v19, v2
	v_mul_f32_e32 v13, v19, v3
.LBB68_78:                              ;   in Loop: Header=BB68_57 Depth=1
	s_andn2_b32 vcc_lo, exec_lo, s1
	s_cbranch_vccnz .LBB68_80
; %bb.79:                               ;   in Loop: Header=BB68_57 Depth=1
	s_waitcnt vmcnt(1)
	v_div_scale_f32 v2, null, v16, v16, v4
	v_div_scale_f32 v3, null, v17, v17, v5
	v_div_scale_f32 v23, vcc_lo, v4, v16, v4
	v_rcp_f32_e32 v12, v2
	v_rcp_f32_e32 v13, v3
	v_fma_f32 v21, -v2, v12, 1.0
	v_fma_f32 v22, -v3, v13, 1.0
	v_fmac_f32_e32 v12, v21, v12
	v_div_scale_f32 v21, s1, v5, v17, v5
	v_fmac_f32_e32 v13, v22, v13
	v_mul_f32_e32 v22, v23, v12
	v_mul_f32_e32 v24, v21, v13
	v_fma_f32 v25, -v2, v22, v23
	v_fma_f32 v26, -v3, v24, v21
	v_fmac_f32_e32 v22, v25, v12
	v_fmac_f32_e32 v24, v26, v13
	v_fma_f32 v2, -v2, v22, v23
	v_fma_f32 v3, -v3, v24, v21
	v_div_fmas_f32 v2, v2, v12, v22
	s_mov_b32 vcc_lo, s1
	v_div_fmas_f32 v3, v3, v13, v24
	v_div_fixup_f32 v12, v2, v16, v4
	v_div_fixup_f32 v13, v3, v17, v5
.LBB68_80:                              ;   in Loop: Header=BB68_57 Depth=1
	s_cbranch_execnz .LBB68_56
	s_branch .LBB68_88
.LBB68_81:                              ;   in Loop: Header=BB68_57 Depth=1
	s_andn2_b32 vcc_lo, exec_lo, s1
	s_cbranch_vccnz .LBB68_63
.LBB68_82:                              ;   in Loop: Header=BB68_57 Depth=1
	s_waitcnt vmcnt(0)
	v_fma_f32 v6, v15, v8, v9
	v_fma_f32 v7, v15, v9, -v8
	v_mul_f32_e32 v6, v20, v6
	v_mul_f32_e32 v7, v20, v7
	s_andn2_b32 vcc_lo, exec_lo, s0
	s_mov_b32 s1, -1
	s_cbranch_vccz .LBB68_64
.LBB68_83:                              ;   in Loop: Header=BB68_57 Depth=1
	s_andn2_b32 vcc_lo, exec_lo, s1
	s_cbranch_vccnz .LBB68_69
.LBB68_84:                              ;   in Loop: Header=BB68_57 Depth=1
	s_waitcnt vmcnt(0)
	v_fma_f32 v8, v15, v10, v11
	v_fma_f32 v9, v15, v11, -v10
	v_mul_f32_e32 v8, v20, v8
	v_mul_f32_e32 v9, v20, v9
	s_andn2_b32 vcc_lo, exec_lo, s0
	s_mov_b32 s1, -1
                                        ; implicit-def: $vgpr11
	s_cbranch_vccz .LBB68_70
.LBB68_85:                              ;   in Loop: Header=BB68_57 Depth=1
	s_andn2_b32 vcc_lo, exec_lo, s1
	s_cbranch_vccnz .LBB68_75
.LBB68_86:                              ;   in Loop: Header=BB68_57 Depth=1
	s_waitcnt vmcnt(0)
	v_fma_f32 v10, v15, v2, v3
	v_fma_f32 v2, v15, v3, -v2
	v_mul_f32_e32 v10, v20, v10
	v_mul_f32_e32 v11, v20, v2
	s_andn2_b32 vcc_lo, exec_lo, s0
	s_mov_b32 s1, -1
	s_cbranch_vccz .LBB68_76
.LBB68_87:                              ;   in Loop: Header=BB68_57 Depth=1
	s_andn2_b32 vcc_lo, exec_lo, s1
	s_cbranch_vccnz .LBB68_56
.LBB68_88:                              ;   in Loop: Header=BB68_57 Depth=1
	s_waitcnt vmcnt(1)
	v_fma_f32 v2, v15, v4, v5
	v_fma_f32 v3, v15, v5, -v4
	v_mul_f32_e32 v12, v20, v2
	v_mul_f32_e32 v13, v20, v3
	s_branch .LBB68_56
.LBB68_89:
	s_endpgm
	.section	.rodata,"a",@progbits
	.p2align	6, 0x0
	.amdhsa_kernel _ZN2at6native12_GLOBAL__N_125multi_tensor_apply_kernelINS1_28TensorListScalarListMetadataIN3c107complexIfEELi2EEENS1_25BinaryOpScalarListFunctorIS6_Li2ELi1ELi1EEEJSt7dividesIS6_EEEEvT_T0_DpT1_
		.amdhsa_group_segment_fixed_size 0
		.amdhsa_private_segment_fixed_size 0
		.amdhsa_kernarg_size 3912
		.amdhsa_user_sgpr_count 6
		.amdhsa_user_sgpr_private_segment_buffer 1
		.amdhsa_user_sgpr_dispatch_ptr 0
		.amdhsa_user_sgpr_queue_ptr 0
		.amdhsa_user_sgpr_kernarg_segment_ptr 1
		.amdhsa_user_sgpr_dispatch_id 0
		.amdhsa_user_sgpr_flat_scratch_init 0
		.amdhsa_user_sgpr_private_segment_size 0
		.amdhsa_wavefront_size32 1
		.amdhsa_uses_dynamic_stack 0
		.amdhsa_system_sgpr_private_segment_wavefront_offset 0
		.amdhsa_system_sgpr_workgroup_id_x 1
		.amdhsa_system_sgpr_workgroup_id_y 0
		.amdhsa_system_sgpr_workgroup_id_z 0
		.amdhsa_system_sgpr_workgroup_info 0
		.amdhsa_system_vgpr_workitem_id 0
		.amdhsa_next_free_vgpr 33
		.amdhsa_next_free_sgpr 27
		.amdhsa_reserve_vcc 1
		.amdhsa_reserve_flat_scratch 0
		.amdhsa_float_round_mode_32 0
		.amdhsa_float_round_mode_16_64 0
		.amdhsa_float_denorm_mode_32 3
		.amdhsa_float_denorm_mode_16_64 3
		.amdhsa_dx10_clamp 1
		.amdhsa_ieee_mode 1
		.amdhsa_fp16_overflow 0
		.amdhsa_workgroup_processor_mode 1
		.amdhsa_memory_ordered 1
		.amdhsa_forward_progress 1
		.amdhsa_shared_vgpr_count 0
		.amdhsa_exception_fp_ieee_invalid_op 0
		.amdhsa_exception_fp_denorm_src 0
		.amdhsa_exception_fp_ieee_div_zero 0
		.amdhsa_exception_fp_ieee_overflow 0
		.amdhsa_exception_fp_ieee_underflow 0
		.amdhsa_exception_fp_ieee_inexact 0
		.amdhsa_exception_int_div_zero 0
	.end_amdhsa_kernel
	.section	.text._ZN2at6native12_GLOBAL__N_125multi_tensor_apply_kernelINS1_28TensorListScalarListMetadataIN3c107complexIfEELi2EEENS1_25BinaryOpScalarListFunctorIS6_Li2ELi1ELi1EEEJSt7dividesIS6_EEEEvT_T0_DpT1_,"axG",@progbits,_ZN2at6native12_GLOBAL__N_125multi_tensor_apply_kernelINS1_28TensorListScalarListMetadataIN3c107complexIfEELi2EEENS1_25BinaryOpScalarListFunctorIS6_Li2ELi1ELi1EEEJSt7dividesIS6_EEEEvT_T0_DpT1_,comdat
.Lfunc_end68:
	.size	_ZN2at6native12_GLOBAL__N_125multi_tensor_apply_kernelINS1_28TensorListScalarListMetadataIN3c107complexIfEELi2EEENS1_25BinaryOpScalarListFunctorIS6_Li2ELi1ELi1EEEJSt7dividesIS6_EEEEvT_T0_DpT1_, .Lfunc_end68-_ZN2at6native12_GLOBAL__N_125multi_tensor_apply_kernelINS1_28TensorListScalarListMetadataIN3c107complexIfEELi2EEENS1_25BinaryOpScalarListFunctorIS6_Li2ELi1ELi1EEEJSt7dividesIS6_EEEEvT_T0_DpT1_
                                        ; -- End function
	.set _ZN2at6native12_GLOBAL__N_125multi_tensor_apply_kernelINS1_28TensorListScalarListMetadataIN3c107complexIfEELi2EEENS1_25BinaryOpScalarListFunctorIS6_Li2ELi1ELi1EEEJSt7dividesIS6_EEEEvT_T0_DpT1_.num_vgpr, 33
	.set _ZN2at6native12_GLOBAL__N_125multi_tensor_apply_kernelINS1_28TensorListScalarListMetadataIN3c107complexIfEELi2EEENS1_25BinaryOpScalarListFunctorIS6_Li2ELi1ELi1EEEJSt7dividesIS6_EEEEvT_T0_DpT1_.num_agpr, 0
	.set _ZN2at6native12_GLOBAL__N_125multi_tensor_apply_kernelINS1_28TensorListScalarListMetadataIN3c107complexIfEELi2EEENS1_25BinaryOpScalarListFunctorIS6_Li2ELi1ELi1EEEJSt7dividesIS6_EEEEvT_T0_DpT1_.numbered_sgpr, 27
	.set _ZN2at6native12_GLOBAL__N_125multi_tensor_apply_kernelINS1_28TensorListScalarListMetadataIN3c107complexIfEELi2EEENS1_25BinaryOpScalarListFunctorIS6_Li2ELi1ELi1EEEJSt7dividesIS6_EEEEvT_T0_DpT1_.num_named_barrier, 0
	.set _ZN2at6native12_GLOBAL__N_125multi_tensor_apply_kernelINS1_28TensorListScalarListMetadataIN3c107complexIfEELi2EEENS1_25BinaryOpScalarListFunctorIS6_Li2ELi1ELi1EEEJSt7dividesIS6_EEEEvT_T0_DpT1_.private_seg_size, 0
	.set _ZN2at6native12_GLOBAL__N_125multi_tensor_apply_kernelINS1_28TensorListScalarListMetadataIN3c107complexIfEELi2EEENS1_25BinaryOpScalarListFunctorIS6_Li2ELi1ELi1EEEJSt7dividesIS6_EEEEvT_T0_DpT1_.uses_vcc, 1
	.set _ZN2at6native12_GLOBAL__N_125multi_tensor_apply_kernelINS1_28TensorListScalarListMetadataIN3c107complexIfEELi2EEENS1_25BinaryOpScalarListFunctorIS6_Li2ELi1ELi1EEEJSt7dividesIS6_EEEEvT_T0_DpT1_.uses_flat_scratch, 0
	.set _ZN2at6native12_GLOBAL__N_125multi_tensor_apply_kernelINS1_28TensorListScalarListMetadataIN3c107complexIfEELi2EEENS1_25BinaryOpScalarListFunctorIS6_Li2ELi1ELi1EEEJSt7dividesIS6_EEEEvT_T0_DpT1_.has_dyn_sized_stack, 0
	.set _ZN2at6native12_GLOBAL__N_125multi_tensor_apply_kernelINS1_28TensorListScalarListMetadataIN3c107complexIfEELi2EEENS1_25BinaryOpScalarListFunctorIS6_Li2ELi1ELi1EEEJSt7dividesIS6_EEEEvT_T0_DpT1_.has_recursion, 0
	.set _ZN2at6native12_GLOBAL__N_125multi_tensor_apply_kernelINS1_28TensorListScalarListMetadataIN3c107complexIfEELi2EEENS1_25BinaryOpScalarListFunctorIS6_Li2ELi1ELi1EEEJSt7dividesIS6_EEEEvT_T0_DpT1_.has_indirect_call, 0
	.section	.AMDGPU.csdata,"",@progbits
; Kernel info:
; codeLenInByte = 3944
; TotalNumSgprs: 29
; NumVgprs: 33
; ScratchSize: 0
; MemoryBound: 1
; FloatMode: 240
; IeeeMode: 1
; LDSByteSize: 0 bytes/workgroup (compile time only)
; SGPRBlocks: 0
; VGPRBlocks: 4
; NumSGPRsForWavesPerEU: 29
; NumVGPRsForWavesPerEU: 33
; Occupancy: 16
; WaveLimiterHint : 1
; COMPUTE_PGM_RSRC2:SCRATCH_EN: 0
; COMPUTE_PGM_RSRC2:USER_SGPR: 6
; COMPUTE_PGM_RSRC2:TRAP_HANDLER: 0
; COMPUTE_PGM_RSRC2:TGID_X_EN: 1
; COMPUTE_PGM_RSRC2:TGID_Y_EN: 0
; COMPUTE_PGM_RSRC2:TGID_Z_EN: 0
; COMPUTE_PGM_RSRC2:TIDIG_COMP_CNT: 0
	.section	.text._ZN2at6native12_GLOBAL__N_125multi_tensor_apply_kernelINS1_28TensorListScalarListMetadataIbLi2EEENS1_25BinaryOpScalarListFunctorIbLi2ELi1ELi1EEEJSt7dividesIbEEEEvT_T0_DpT1_,"axG",@progbits,_ZN2at6native12_GLOBAL__N_125multi_tensor_apply_kernelINS1_28TensorListScalarListMetadataIbLi2EEENS1_25BinaryOpScalarListFunctorIbLi2ELi1ELi1EEEJSt7dividesIbEEEEvT_T0_DpT1_,comdat
	.globl	_ZN2at6native12_GLOBAL__N_125multi_tensor_apply_kernelINS1_28TensorListScalarListMetadataIbLi2EEENS1_25BinaryOpScalarListFunctorIbLi2ELi1ELi1EEEJSt7dividesIbEEEEvT_T0_DpT1_ ; -- Begin function _ZN2at6native12_GLOBAL__N_125multi_tensor_apply_kernelINS1_28TensorListScalarListMetadataIbLi2EEENS1_25BinaryOpScalarListFunctorIbLi2ELi1ELi1EEEJSt7dividesIbEEEEvT_T0_DpT1_
	.p2align	8
	.type	_ZN2at6native12_GLOBAL__N_125multi_tensor_apply_kernelINS1_28TensorListScalarListMetadataIbLi2EEENS1_25BinaryOpScalarListFunctorIbLi2ELi1ELi1EEEJSt7dividesIbEEEEvT_T0_DpT1_,@function
_ZN2at6native12_GLOBAL__N_125multi_tensor_apply_kernelINS1_28TensorListScalarListMetadataIbLi2EEENS1_25BinaryOpScalarListFunctorIbLi2ELi1ELi1EEEJSt7dividesIbEEEEvT_T0_DpT1_: ; @_ZN2at6native12_GLOBAL__N_125multi_tensor_apply_kernelINS1_28TensorListScalarListMetadataIbLi2EEENS1_25BinaryOpScalarListFunctorIbLi2ELi1ELi1EEEJSt7dividesIbEEEEvT_T0_DpT1_
; %bb.0:
	v_mov_b32_e32 v1, s6
	s_add_u32 s0, s4, s6
	s_mul_hi_u32 s1, s6, 3
	s_mul_i32 s6, s6, 3
	s_addc_u32 s2, s5, 0
	global_load_ubyte v1, v1, s[4:5] offset:1600
	s_add_u32 s0, s0, s6
	s_addc_u32 s1, s2, s1
	s_load_dword s0, s[0:1], 0x780
	s_waitcnt vmcnt(0)
	v_readfirstlane_b32 s3, v1
	s_lshl_b32 s1, s3, 3
	s_clause 0x2
	s_load_dwordx2 s[6:7], s[4:5], s1 offset:0x0
	s_load_dwordx2 s[2:3], s[4:5], s1 offset:0x400
	;; [unrolled: 1-line block ×3, first 2 shown]
	s_waitcnt lgkmcnt(0)
	s_ashr_i32 s1, s0, 31
	s_lshl_b64 s[10:11], s[0:1], 16
	s_add_u32 s0, s6, s10
	s_sub_u32 s12, s2, s10
	s_subb_u32 s13, s3, s11
	s_or_b32 s1, s2, s8
	s_or_b32 s0, s1, s0
	s_and_b32 s0, s0, 3
	s_cmp_eq_u32 s0, 0
	s_mov_b32 s0, -1
	s_cbranch_scc1 .LBB69_21
; %bb.1:
	v_cmp_lt_i64_e64 s0, s[12:13], 1
	s_and_b32 vcc_lo, exec_lo, s0
	s_cbranch_vccnz .LBB69_20
; %bb.2:
	s_load_dword s0, s[4:5], 0xc94
	v_cmp_gt_i64_e64 s1, 0x10000, s[12:13]
	v_add_co_u32 v15, s2, s10, v0
	v_add_co_ci_u32_e64 v16, null, s11, 0, s2
	v_cmp_gt_u64_e64 s2, 0x10000, s[12:13]
	s_and_b32 s1, s1, exec_lo
	s_cselect_b32 s15, s13, 0
	s_cselect_b32 s14, s12, 0x10000
	v_add_co_u32 v1, vcc_lo, s6, v15
	v_add_co_ci_u32_e64 v2, null, s7, v16, vcc_lo
	v_add_co_u32 v3, vcc_lo, s8, v15
	v_add_co_ci_u32_e64 v4, null, s9, v16, vcc_lo
	v_mov_b32_e32 v23, 0
	s_waitcnt lgkmcnt(0)
	s_and_b32 s0, s0, 0xffff
	s_and_b32 s1, s2, exec_lo
	s_mul_i32 s2, s0, 3
	s_cselect_b32 s17, s13, 0
	s_cselect_b32 s16, s12, 0x10000
	s_lshl_b32 s1, s0, 1
	s_lshl_b32 s20, s0, 2
	s_add_u32 s3, s10, s2
	s_addc_u32 s18, s11, 0
	v_add_co_u32 v7, s3, s3, v0
	v_add_co_ci_u32_e64 v8, null, s18, 0, s3
	s_add_u32 s3, s10, s1
	s_addc_u32 s18, s11, 0
	v_add_co_u32 v13, s3, s3, v0
	v_add_co_u32 v5, vcc_lo, s6, v7
	v_add_co_ci_u32_e64 v14, null, s18, 0, s3
	v_add_co_ci_u32_e64 v6, null, s7, v8, vcc_lo
	v_add_co_u32 v7, vcc_lo, s8, v7
	v_add_co_ci_u32_e64 v8, null, s9, v8, vcc_lo
	v_add_co_u32 v11, vcc_lo, s6, v13
	;; [unrolled: 2-line block ×4, first 2 shown]
	v_add_co_ci_u32_e64 v20, null, 0, v16, vcc_lo
	v_add_co_u32 v9, s2, s2, v0
	v_add_co_u32 v17, vcc_lo, s6, v19
	v_add_co_u32 v15, s1, s1, v0
	v_add_co_ci_u32_e64 v18, null, s7, v20, vcc_lo
	v_add_co_u32 v19, vcc_lo, s8, v19
	v_add_co_u32 v21, s0, v0, s0
	v_add_co_ci_u32_e64 v10, null, 0, 0, s2
	v_add_co_ci_u32_e64 v16, null, 0, 0, s1
	v_add_co_ci_u32_e64 v20, null, s9, v20, vcc_lo
	v_add_co_ci_u32_e64 v22, null, 0, 0, s0
	s_mov_b64 s[18:19], 0
	s_branch .LBB69_4
.LBB69_3:                               ;   in Loop: Header=BB69_4 Depth=1
	s_or_b32 exec_lo, exec_lo, s0
	s_add_u32 s18, s18, s20
	s_addc_u32 s19, s19, 0
	v_cmp_lt_i64_e64 s0, s[18:19], s[14:15]
	s_and_b32 vcc_lo, exec_lo, s0
	s_cbranch_vccz .LBB69_20
.LBB69_4:                               ; =>This Inner Loop Header: Depth=1
	v_add_co_u32 v24, s0, v0, s18
	v_add_co_ci_u32_e64 v25, null, 0, s19, s0
	v_and_b32_e32 v23, 0xffffff00, v23
	v_cmp_gt_u64_e32 vcc_lo, s[16:17], v[24:25]
	v_mov_b32_e32 v24, 0
	s_and_saveexec_b32 s1, vcc_lo
	s_cbranch_execz .LBB69_6
; %bb.5:                                ;   in Loop: Header=BB69_4 Depth=1
	v_add_co_u32 v24, s0, v1, s18
	v_add_co_ci_u32_e64 v25, null, s19, v2, s0
	global_load_ubyte v24, v[24:25], off
	s_waitcnt vmcnt(0)
	v_perm_b32 v23, v24, v23, 0x3020104
.LBB69_6:                               ;   in Loop: Header=BB69_4 Depth=1
	s_or_b32 exec_lo, exec_lo, s1
	v_add_co_u32 v25, s0, v21, s18
	v_add_co_ci_u32_e64 v26, null, s19, v22, s0
	v_and_b32_e32 v23, 0xffff00ff, v23
	v_cmp_gt_u64_e64 s0, s[16:17], v[25:26]
	s_and_saveexec_b32 s2, s0
	s_cbranch_execz .LBB69_8
; %bb.7:                                ;   in Loop: Header=BB69_4 Depth=1
	v_add_co_u32 v25, s1, v17, s18
	v_add_co_ci_u32_e64 v26, null, s19, v18, s1
	global_load_ubyte v25, v[25:26], off
	s_waitcnt vmcnt(0)
	v_perm_b32 v23, v23, v25, 0x7060004
.LBB69_8:                               ;   in Loop: Header=BB69_4 Depth=1
	s_or_b32 exec_lo, exec_lo, s2
	v_add_co_u32 v25, s1, v15, s18
	v_add_co_ci_u32_e64 v26, null, s19, v16, s1
	v_lshrrev_b32_e32 v27, 24, v23
	v_cmp_gt_u64_e64 s1, s[16:17], v[25:26]
	v_perm_b32 v23, v27, v23, 0x40c0100
	s_and_saveexec_b32 s3, s1
	s_cbranch_execz .LBB69_10
; %bb.9:                                ;   in Loop: Header=BB69_4 Depth=1
	v_add_co_u32 v25, s2, v11, s18
	v_add_co_ci_u32_e64 v26, null, s19, v12, s2
	global_load_ubyte v25, v[25:26], off
	s_waitcnt vmcnt(0)
	v_perm_b32 v23, v23, v25, 0x7000504
.LBB69_10:                              ;   in Loop: Header=BB69_4 Depth=1
	s_or_b32 exec_lo, exec_lo, s3
	v_add_co_u32 v25, s2, v9, s18
	v_add_co_ci_u32_e64 v26, null, s19, v10, s2
	v_and_b32_e32 v23, 0xffffff, v23
	v_cmp_gt_u64_e64 s2, s[16:17], v[25:26]
	s_and_saveexec_b32 s21, s2
	s_cbranch_execnz .LBB69_15
; %bb.11:                               ;   in Loop: Header=BB69_4 Depth=1
	s_or_b32 exec_lo, exec_lo, s21
	s_and_saveexec_b32 s3, vcc_lo
	s_cbranch_execnz .LBB69_16
.LBB69_12:                              ;   in Loop: Header=BB69_4 Depth=1
	s_or_b32 exec_lo, exec_lo, s3
	s_and_saveexec_b32 s3, s0
	s_cbranch_execnz .LBB69_17
.LBB69_13:                              ;   in Loop: Header=BB69_4 Depth=1
	s_or_b32 exec_lo, exec_lo, s3
	s_and_saveexec_b32 s0, s1
	s_cbranch_execnz .LBB69_18
.LBB69_14:                              ;   in Loop: Header=BB69_4 Depth=1
	s_or_b32 exec_lo, exec_lo, s0
	s_and_saveexec_b32 s0, s2
	s_cbranch_execz .LBB69_3
	s_branch .LBB69_19
.LBB69_15:                              ;   in Loop: Header=BB69_4 Depth=1
	v_add_co_u32 v25, s3, v5, s18
	v_add_co_ci_u32_e64 v26, null, s19, v6, s3
	global_load_ubyte v25, v[25:26], off
	s_waitcnt vmcnt(0)
	v_lshlrev_b16 v25, 8, v25
	v_or_b32_sdwa v25, v23, v25 dst_sel:WORD_1 dst_unused:UNUSED_PAD src0_sel:WORD_1 src1_sel:DWORD
	v_and_or_b32 v23, 0xffff, v23, v25
	s_or_b32 exec_lo, exec_lo, s21
	s_and_saveexec_b32 s3, vcc_lo
	s_cbranch_execz .LBB69_12
.LBB69_16:                              ;   in Loop: Header=BB69_4 Depth=1
	v_add_co_u32 v25, vcc_lo, v3, s18
	v_add_co_ci_u32_e64 v26, null, s19, v4, vcc_lo
	global_store_byte v[25:26], v24, off
	s_or_b32 exec_lo, exec_lo, s3
	s_and_saveexec_b32 s3, s0
	s_cbranch_execz .LBB69_13
.LBB69_17:                              ;   in Loop: Header=BB69_4 Depth=1
	v_add_co_u32 v24, vcc_lo, v19, s18
	v_add_co_ci_u32_e64 v25, null, s19, v20, vcc_lo
	v_lshrrev_b32_e32 v26, 8, v23
	global_store_byte v[24:25], v26, off
	s_or_b32 exec_lo, exec_lo, s3
	s_and_saveexec_b32 s0, s1
	s_cbranch_execz .LBB69_14
.LBB69_18:                              ;   in Loop: Header=BB69_4 Depth=1
	v_add_co_u32 v24, vcc_lo, v13, s18
	v_add_co_ci_u32_e64 v25, null, s19, v14, vcc_lo
	global_store_byte_d16_hi v[24:25], v23, off
	s_or_b32 exec_lo, exec_lo, s0
	s_and_saveexec_b32 s0, s2
	s_cbranch_execz .LBB69_3
.LBB69_19:                              ;   in Loop: Header=BB69_4 Depth=1
	v_add_co_u32 v24, vcc_lo, v7, s18
	v_add_co_ci_u32_e64 v25, null, s19, v8, vcc_lo
	v_lshrrev_b32_e32 v26, 24, v23
	global_store_byte v[24:25], v26, off
	s_branch .LBB69_3
.LBB69_20:
	s_mov_b32 s0, 0
.LBB69_21:
	s_andn2_b32 vcc_lo, exec_lo, s0
	s_cbranch_vccnz .LBB69_25
; %bb.22:
	v_cmp_gt_i64_e64 s0, 0x10000, s[12:13]
	v_mov_b32_e32 v3, 0
	v_lshlrev_b32_e32 v2, 2, v0
	s_mov_b32 s1, 0
	s_and_b32 s0, s0, exec_lo
	s_cselect_b32 s3, s13, 0
	s_cselect_b32 s2, s12, 0x10000
	s_mov_b32 s0, exec_lo
	v_cmpx_gt_i64_e64 s[2:3], v[2:3]
	s_cbranch_execz .LBB69_25
; %bb.23:
	s_load_dword s0, s[4:5], 0xc94
	v_add_co_u32 v2, s4, s10, v2
	v_mov_b32_e32 v1, v3
	v_add_co_ci_u32_e64 v3, null, s11, 0, s4
	s_waitcnt lgkmcnt(0)
	s_and_b32 s4, s0, 0xffff
	s_lshl_b32 s5, s4, 2
	.p2align	6
.LBB69_24:                              ; =>This Inner Loop Header: Depth=1
	v_add_co_u32 v4, vcc_lo, s6, v2
	v_add_co_ci_u32_e64 v5, null, s7, v3, vcc_lo
	v_add_co_u32 v0, vcc_lo, v0, s4
	v_add_co_ci_u32_e64 v1, null, 0, v1, vcc_lo
	global_load_dword v8, v[4:5], off
	v_add_co_u32 v6, vcc_lo, s8, v2
	v_lshlrev_b64 v[4:5], 2, v[0:1]
	v_add_co_ci_u32_e64 v7, null, s9, v3, vcc_lo
	v_add_co_u32 v2, s0, v2, s5
	v_add_co_ci_u32_e64 v3, null, 0, v3, s0
	v_cmp_le_i64_e32 vcc_lo, s[2:3], v[4:5]
	s_or_b32 s1, vcc_lo, s1
	s_waitcnt vmcnt(0)
	global_store_dword v[6:7], v8, off
	s_andn2_b32 exec_lo, exec_lo, s1
	s_cbranch_execnz .LBB69_24
.LBB69_25:
	s_endpgm
	.section	.rodata,"a",@progbits
	.p2align	6, 0x0
	.amdhsa_kernel _ZN2at6native12_GLOBAL__N_125multi_tensor_apply_kernelINS1_28TensorListScalarListMetadataIbLi2EEENS1_25BinaryOpScalarListFunctorIbLi2ELi1ELi1EEEJSt7dividesIbEEEEvT_T0_DpT1_
		.amdhsa_group_segment_fixed_size 0
		.amdhsa_private_segment_fixed_size 0
		.amdhsa_kernarg_size 3464
		.amdhsa_user_sgpr_count 6
		.amdhsa_user_sgpr_private_segment_buffer 1
		.amdhsa_user_sgpr_dispatch_ptr 0
		.amdhsa_user_sgpr_queue_ptr 0
		.amdhsa_user_sgpr_kernarg_segment_ptr 1
		.amdhsa_user_sgpr_dispatch_id 0
		.amdhsa_user_sgpr_flat_scratch_init 0
		.amdhsa_user_sgpr_private_segment_size 0
		.amdhsa_wavefront_size32 1
		.amdhsa_uses_dynamic_stack 0
		.amdhsa_system_sgpr_private_segment_wavefront_offset 0
		.amdhsa_system_sgpr_workgroup_id_x 1
		.amdhsa_system_sgpr_workgroup_id_y 0
		.amdhsa_system_sgpr_workgroup_id_z 0
		.amdhsa_system_sgpr_workgroup_info 0
		.amdhsa_system_vgpr_workitem_id 0
		.amdhsa_next_free_vgpr 28
		.amdhsa_next_free_sgpr 22
		.amdhsa_reserve_vcc 1
		.amdhsa_reserve_flat_scratch 0
		.amdhsa_float_round_mode_32 0
		.amdhsa_float_round_mode_16_64 0
		.amdhsa_float_denorm_mode_32 3
		.amdhsa_float_denorm_mode_16_64 3
		.amdhsa_dx10_clamp 1
		.amdhsa_ieee_mode 1
		.amdhsa_fp16_overflow 0
		.amdhsa_workgroup_processor_mode 1
		.amdhsa_memory_ordered 1
		.amdhsa_forward_progress 1
		.amdhsa_shared_vgpr_count 0
		.amdhsa_exception_fp_ieee_invalid_op 0
		.amdhsa_exception_fp_denorm_src 0
		.amdhsa_exception_fp_ieee_div_zero 0
		.amdhsa_exception_fp_ieee_overflow 0
		.amdhsa_exception_fp_ieee_underflow 0
		.amdhsa_exception_fp_ieee_inexact 0
		.amdhsa_exception_int_div_zero 0
	.end_amdhsa_kernel
	.section	.text._ZN2at6native12_GLOBAL__N_125multi_tensor_apply_kernelINS1_28TensorListScalarListMetadataIbLi2EEENS1_25BinaryOpScalarListFunctorIbLi2ELi1ELi1EEEJSt7dividesIbEEEEvT_T0_DpT1_,"axG",@progbits,_ZN2at6native12_GLOBAL__N_125multi_tensor_apply_kernelINS1_28TensorListScalarListMetadataIbLi2EEENS1_25BinaryOpScalarListFunctorIbLi2ELi1ELi1EEEJSt7dividesIbEEEEvT_T0_DpT1_,comdat
.Lfunc_end69:
	.size	_ZN2at6native12_GLOBAL__N_125multi_tensor_apply_kernelINS1_28TensorListScalarListMetadataIbLi2EEENS1_25BinaryOpScalarListFunctorIbLi2ELi1ELi1EEEJSt7dividesIbEEEEvT_T0_DpT1_, .Lfunc_end69-_ZN2at6native12_GLOBAL__N_125multi_tensor_apply_kernelINS1_28TensorListScalarListMetadataIbLi2EEENS1_25BinaryOpScalarListFunctorIbLi2ELi1ELi1EEEJSt7dividesIbEEEEvT_T0_DpT1_
                                        ; -- End function
	.set _ZN2at6native12_GLOBAL__N_125multi_tensor_apply_kernelINS1_28TensorListScalarListMetadataIbLi2EEENS1_25BinaryOpScalarListFunctorIbLi2ELi1ELi1EEEJSt7dividesIbEEEEvT_T0_DpT1_.num_vgpr, 28
	.set _ZN2at6native12_GLOBAL__N_125multi_tensor_apply_kernelINS1_28TensorListScalarListMetadataIbLi2EEENS1_25BinaryOpScalarListFunctorIbLi2ELi1ELi1EEEJSt7dividesIbEEEEvT_T0_DpT1_.num_agpr, 0
	.set _ZN2at6native12_GLOBAL__N_125multi_tensor_apply_kernelINS1_28TensorListScalarListMetadataIbLi2EEENS1_25BinaryOpScalarListFunctorIbLi2ELi1ELi1EEEJSt7dividesIbEEEEvT_T0_DpT1_.numbered_sgpr, 22
	.set _ZN2at6native12_GLOBAL__N_125multi_tensor_apply_kernelINS1_28TensorListScalarListMetadataIbLi2EEENS1_25BinaryOpScalarListFunctorIbLi2ELi1ELi1EEEJSt7dividesIbEEEEvT_T0_DpT1_.num_named_barrier, 0
	.set _ZN2at6native12_GLOBAL__N_125multi_tensor_apply_kernelINS1_28TensorListScalarListMetadataIbLi2EEENS1_25BinaryOpScalarListFunctorIbLi2ELi1ELi1EEEJSt7dividesIbEEEEvT_T0_DpT1_.private_seg_size, 0
	.set _ZN2at6native12_GLOBAL__N_125multi_tensor_apply_kernelINS1_28TensorListScalarListMetadataIbLi2EEENS1_25BinaryOpScalarListFunctorIbLi2ELi1ELi1EEEJSt7dividesIbEEEEvT_T0_DpT1_.uses_vcc, 1
	.set _ZN2at6native12_GLOBAL__N_125multi_tensor_apply_kernelINS1_28TensorListScalarListMetadataIbLi2EEENS1_25BinaryOpScalarListFunctorIbLi2ELi1ELi1EEEJSt7dividesIbEEEEvT_T0_DpT1_.uses_flat_scratch, 0
	.set _ZN2at6native12_GLOBAL__N_125multi_tensor_apply_kernelINS1_28TensorListScalarListMetadataIbLi2EEENS1_25BinaryOpScalarListFunctorIbLi2ELi1ELi1EEEJSt7dividesIbEEEEvT_T0_DpT1_.has_dyn_sized_stack, 0
	.set _ZN2at6native12_GLOBAL__N_125multi_tensor_apply_kernelINS1_28TensorListScalarListMetadataIbLi2EEENS1_25BinaryOpScalarListFunctorIbLi2ELi1ELi1EEEJSt7dividesIbEEEEvT_T0_DpT1_.has_recursion, 0
	.set _ZN2at6native12_GLOBAL__N_125multi_tensor_apply_kernelINS1_28TensorListScalarListMetadataIbLi2EEENS1_25BinaryOpScalarListFunctorIbLi2ELi1ELi1EEEJSt7dividesIbEEEEvT_T0_DpT1_.has_indirect_call, 0
	.section	.AMDGPU.csdata,"",@progbits
; Kernel info:
; codeLenInByte = 1328
; TotalNumSgprs: 24
; NumVgprs: 28
; ScratchSize: 0
; MemoryBound: 0
; FloatMode: 240
; IeeeMode: 1
; LDSByteSize: 0 bytes/workgroup (compile time only)
; SGPRBlocks: 0
; VGPRBlocks: 3
; NumSGPRsForWavesPerEU: 24
; NumVGPRsForWavesPerEU: 28
; Occupancy: 16
; WaveLimiterHint : 0
; COMPUTE_PGM_RSRC2:SCRATCH_EN: 0
; COMPUTE_PGM_RSRC2:USER_SGPR: 6
; COMPUTE_PGM_RSRC2:TRAP_HANDLER: 0
; COMPUTE_PGM_RSRC2:TGID_X_EN: 1
; COMPUTE_PGM_RSRC2:TGID_Y_EN: 0
; COMPUTE_PGM_RSRC2:TGID_Z_EN: 0
; COMPUTE_PGM_RSRC2:TIDIG_COMP_CNT: 0
	.section	.text._ZN2at6native12_GLOBAL__N_125multi_tensor_apply_kernelINS1_28TensorListScalarListMetadataIfLi2EEENS1_25BinaryOpScalarListFunctorIN3c104HalfELi2ELi1ELi1EEEJSt7dividesIfEEEEvT_T0_DpT1_,"axG",@progbits,_ZN2at6native12_GLOBAL__N_125multi_tensor_apply_kernelINS1_28TensorListScalarListMetadataIfLi2EEENS1_25BinaryOpScalarListFunctorIN3c104HalfELi2ELi1ELi1EEEJSt7dividesIfEEEEvT_T0_DpT1_,comdat
	.globl	_ZN2at6native12_GLOBAL__N_125multi_tensor_apply_kernelINS1_28TensorListScalarListMetadataIfLi2EEENS1_25BinaryOpScalarListFunctorIN3c104HalfELi2ELi1ELi1EEEJSt7dividesIfEEEEvT_T0_DpT1_ ; -- Begin function _ZN2at6native12_GLOBAL__N_125multi_tensor_apply_kernelINS1_28TensorListScalarListMetadataIfLi2EEENS1_25BinaryOpScalarListFunctorIN3c104HalfELi2ELi1ELi1EEEJSt7dividesIfEEEEvT_T0_DpT1_
	.p2align	8
	.type	_ZN2at6native12_GLOBAL__N_125multi_tensor_apply_kernelINS1_28TensorListScalarListMetadataIfLi2EEENS1_25BinaryOpScalarListFunctorIN3c104HalfELi2ELi1ELi1EEEJSt7dividesIfEEEEvT_T0_DpT1_,@function
_ZN2at6native12_GLOBAL__N_125multi_tensor_apply_kernelINS1_28TensorListScalarListMetadataIfLi2EEENS1_25BinaryOpScalarListFunctorIN3c104HalfELi2ELi1ELi1EEEJSt7dividesIfEEEEvT_T0_DpT1_: ; @_ZN2at6native12_GLOBAL__N_125multi_tensor_apply_kernelINS1_28TensorListScalarListMetadataIfLi2EEENS1_25BinaryOpScalarListFunctorIN3c104HalfELi2ELi1ELi1EEEJSt7dividesIfEEEEvT_T0_DpT1_
; %bb.0:
	v_mov_b32_e32 v1, s6
	s_add_u32 s0, s4, s6
	s_mul_hi_u32 s1, s6, 3
	s_mul_i32 s6, s6, 3
	s_addc_u32 s2, s5, 0
	global_load_ubyte v1, v1, s[4:5] offset:1792
	s_add_u32 s0, s0, s6
	s_addc_u32 s1, s2, s1
	s_mov_b32 s15, 0
	s_load_dword s0, s[0:1], 0x840
	s_mov_b32 s17, s15
	s_waitcnt vmcnt(0)
	v_readfirstlane_b32 s1, v1
	v_lshlrev_b32_e32 v1, 2, v1
	s_lshl_b32 s10, s1, 3
	v_sub_co_u32 v1, s1, 0, v1
	v_sub_co_ci_u32_e64 v2, null, 0, 0, s1
	s_waitcnt lgkmcnt(0)
	s_ashr_i32 s1, s0, 31
	s_clause 0x2
	s_load_dwordx2 s[2:3], s[4:5], s10 offset:0x400
	s_load_dwordx2 s[6:7], s[4:5], s10 offset:0x0
	;; [unrolled: 1-line block ×3, first 2 shown]
	s_add_u32 s10, s4, s10
	s_addc_u32 s11, s5, 0
	v_add_co_u32 v1, vcc_lo, s10, v1
	v_add_co_ci_u32_e64 v2, null, s11, v2, vcc_lo
	v_readfirstlane_b32 s10, v1
	v_readfirstlane_b32 s11, v2
	s_load_dword s20, s[10:11], 0x600
	s_lshl_b64 s[10:11], s[0:1], 17
	s_lshl_b64 s[0:1], s[0:1], 16
	s_waitcnt lgkmcnt(0)
	s_add_u32 s12, s6, s10
	s_and_b32 s16, s8, 7
	s_and_b32 s14, s12, 7
	s_sub_u32 s12, s2, s0
	s_subb_u32 s13, s3, s1
	s_and_b32 s0, s2, 3
	s_mov_b32 s1, s15
	s_or_b64 s[0:1], s[16:17], s[0:1]
	s_or_b64 s[0:1], s[0:1], s[14:15]
	s_cmp_eq_u64 s[0:1], 0
	s_mov_b32 s0, -1
	s_cbranch_scc1 .LBB70_21
; %bb.1:
	v_cmp_lt_i64_e64 s0, s[12:13], 1
	s_and_b32 vcc_lo, exec_lo, s0
	s_cbranch_vccnz .LBB70_20
; %bb.2:
	s_load_dword s0, s[4:5], 0xd54
	v_cmp_gt_i64_e64 s1, 0x10000, s[12:13]
	v_lshlrev_b32_e32 v9, 1, v0
	v_cmp_gt_u64_e64 s2, 0x10000, s[12:13]
	v_mov_b32_e32 v10, 0
	s_mov_b64 s[18:19], 0
	s_and_b32 s1, s1, exec_lo
	v_add_co_u32 v1, s3, s6, v9
	s_cselect_b32 s15, s13, 0
	s_cselect_b32 s14, s12, 0x10000
	v_add_co_ci_u32_e64 v2, null, s7, 0, s3
	v_add_co_u32 v3, s3, s8, v9
	v_add_co_ci_u32_e64 v4, null, s9, 0, s3
	s_waitcnt lgkmcnt(0)
	s_and_b32 s0, s0, 0xffff
	s_and_b32 s1, s2, exec_lo
	s_cselect_b32 s17, s13, 0
	s_cselect_b32 s16, s12, 0x10000
	s_mul_i32 s2, s0, 3
	s_lshl_b32 s21, s0, 2
	v_mad_u64_u32 v[7:8], null, s0, 6, v[9:10]
	v_add_co_u32 v14, s3, s21, v9
	v_add_co_u32 v9, s2, s2, v0
	v_add_co_ci_u32_e64 v10, null, 0, 0, s2
	v_add_co_u32 v13, s2, v0, s0
	s_lshl_b32 s1, s0, 1
	v_add_co_u32 v5, vcc_lo, s6, v7
	v_lshlrev_b32_e32 v21, 1, v13
	v_add_co_ci_u32_e64 v15, null, 0, 0, s3
	v_add_co_ci_u32_e64 v6, null, s7, v8, vcc_lo
	v_add_co_u32 v7, vcc_lo, s8, v7
	v_add_co_u32 v17, s1, s1, v0
	v_add_co_ci_u32_e64 v8, null, s9, v8, vcc_lo
	v_add_co_u32 v11, vcc_lo, s6, v14
	v_add_co_ci_u32_e64 v18, null, 0, 0, s1
	v_add_co_u32 v19, s1, s6, v21
	v_add_co_ci_u32_e64 v12, null, s7, v15, vcc_lo
	v_add_co_u32 v14, vcc_lo, s8, v14
	v_add_co_ci_u32_e64 v20, null, s7, 0, s1
	v_add_co_u32 v21, s1, s8, v21
	v_add_co_ci_u32_e64 v15, null, s9, v15, vcc_lo
	v_add_co_ci_u32_e64 v16, null, 0, 0, s2
	v_add_co_ci_u32_e64 v22, null, s9, 0, s1
	s_lshl_b32 s22, s0, 3
	s_branch .LBB70_4
.LBB70_3:                               ;   in Loop: Header=BB70_4 Depth=1
	s_or_b32 exec_lo, exec_lo, s1
	v_add_co_u32 v1, vcc_lo, v1, s22
	v_add_co_ci_u32_e64 v2, null, 0, v2, vcc_lo
	v_add_co_u32 v3, vcc_lo, v3, s22
	v_add_co_ci_u32_e64 v4, null, 0, v4, vcc_lo
	;; [unrolled: 2-line block ×4, first 2 shown]
	v_add_co_u32 v11, vcc_lo, v11, s22
	s_add_u32 s18, s18, s21
	v_add_co_ci_u32_e64 v12, null, 0, v12, vcc_lo
	v_add_co_u32 v14, vcc_lo, v14, s22
	s_addc_u32 s19, s19, 0
	v_add_co_ci_u32_e64 v15, null, 0, v15, vcc_lo
	v_add_co_u32 v19, vcc_lo, v19, s22
	v_cmp_lt_i64_e64 s0, s[18:19], s[14:15]
	v_add_co_ci_u32_e64 v20, null, 0, v20, vcc_lo
	v_add_co_u32 v21, vcc_lo, v21, s22
	v_add_co_ci_u32_e64 v22, null, 0, v22, vcc_lo
	s_and_b32 vcc_lo, exec_lo, s0
	s_cbranch_vccz .LBB70_20
.LBB70_4:                               ; =>This Inner Loop Header: Depth=1
	v_add_co_u32 v23, s0, v0, s18
	v_add_co_ci_u32_e64 v24, null, 0, s19, s0
	v_mov_b32_e32 v26, 0
	v_cmp_gt_u64_e32 vcc_lo, s[16:17], v[23:24]
	s_and_saveexec_b32 s1, vcc_lo
	s_cbranch_execz .LBB70_6
; %bb.5:                                ;   in Loop: Header=BB70_4 Depth=1
	v_add_co_u32 v23, s0, v1, s10
	v_add_co_ci_u32_e64 v24, null, s11, v2, s0
	global_load_ushort v23, v[23:24], off
	s_waitcnt vmcnt(0)
	v_cvt_f32_f16_e32 v26, v23
.LBB70_6:                               ;   in Loop: Header=BB70_4 Depth=1
	s_or_b32 exec_lo, exec_lo, s1
	v_add_co_u32 v23, s0, v13, s18
	v_add_co_ci_u32_e64 v24, null, s19, v16, s0
	v_mov_b32_e32 v25, 0
	v_cmp_gt_u64_e64 s2, s[16:17], v[23:24]
	v_mov_b32_e32 v23, 0
	s_and_saveexec_b32 s1, s2
	s_cbranch_execz .LBB70_8
; %bb.7:                                ;   in Loop: Header=BB70_4 Depth=1
	v_add_co_u32 v24, s0, v19, s10
	v_add_co_ci_u32_e64 v25, null, s11, v20, s0
	global_load_ushort v24, v[24:25], off
	s_waitcnt vmcnt(0)
	v_cvt_f32_f16_e32 v25, v24
.LBB70_8:                               ;   in Loop: Header=BB70_4 Depth=1
	s_or_b32 exec_lo, exec_lo, s1
	v_add_co_u32 v27, s0, v17, s18
	v_add_co_ci_u32_e64 v28, null, s19, v18, s0
	v_cmp_gt_u64_e64 s1, s[16:17], v[27:28]
	s_and_saveexec_b32 s3, s1
	s_cbranch_execz .LBB70_10
; %bb.9:                                ;   in Loop: Header=BB70_4 Depth=1
	v_add_co_u32 v23, s0, v11, s10
	v_add_co_ci_u32_e64 v24, null, s11, v12, s0
	global_load_ushort v23, v[23:24], off
	s_waitcnt vmcnt(0)
	v_cvt_f32_f16_e32 v23, v23
.LBB70_10:                              ;   in Loop: Header=BB70_4 Depth=1
	s_or_b32 exec_lo, exec_lo, s3
	v_add_co_u32 v27, s0, v9, s18
	v_add_co_ci_u32_e64 v28, null, s19, v10, s0
	v_mov_b32_e32 v24, 0
	v_cmp_gt_u64_e64 s0, s[16:17], v[27:28]
	s_and_saveexec_b32 s23, s0
	s_cbranch_execnz .LBB70_15
; %bb.11:                               ;   in Loop: Header=BB70_4 Depth=1
	s_or_b32 exec_lo, exec_lo, s23
	s_and_saveexec_b32 s3, vcc_lo
	s_cbranch_execnz .LBB70_16
.LBB70_12:                              ;   in Loop: Header=BB70_4 Depth=1
	s_or_b32 exec_lo, exec_lo, s3
	s_and_saveexec_b32 s3, s2
	s_cbranch_execnz .LBB70_17
.LBB70_13:                              ;   in Loop: Header=BB70_4 Depth=1
	s_or_b32 exec_lo, exec_lo, s3
	s_and_saveexec_b32 s2, s1
	s_cbranch_execnz .LBB70_18
.LBB70_14:                              ;   in Loop: Header=BB70_4 Depth=1
	s_or_b32 exec_lo, exec_lo, s2
	s_and_saveexec_b32 s1, s0
	s_cbranch_execz .LBB70_3
	s_branch .LBB70_19
.LBB70_15:                              ;   in Loop: Header=BB70_4 Depth=1
	v_add_co_u32 v27, s3, v5, s10
	v_add_co_ci_u32_e64 v28, null, s11, v6, s3
	global_load_ushort v24, v[27:28], off
	s_waitcnt vmcnt(0)
	v_cvt_f32_f16_e32 v24, v24
	s_or_b32 exec_lo, exec_lo, s23
	s_and_saveexec_b32 s3, vcc_lo
	s_cbranch_execz .LBB70_12
.LBB70_16:                              ;   in Loop: Header=BB70_4 Depth=1
	v_div_scale_f32 v27, null, s20, s20, v26
	v_rcp_f32_e32 v28, v27
	v_fma_f32 v29, -v27, v28, 1.0
	v_fmac_f32_e32 v28, v29, v28
	v_div_scale_f32 v29, vcc_lo, v26, s20, v26
	v_mul_f32_e32 v30, v29, v28
	v_fma_f32 v31, -v27, v30, v29
	v_fmac_f32_e32 v30, v31, v28
	v_fma_f32 v27, -v27, v30, v29
	v_div_fmas_f32 v27, v27, v28, v30
	v_div_fixup_f32 v28, v27, s20, v26
	v_add_co_u32 v26, vcc_lo, v3, s10
	v_add_co_ci_u32_e64 v27, null, s11, v4, vcc_lo
	v_cvt_f16_f32_e32 v28, v28
	global_store_short v[26:27], v28, off
	s_or_b32 exec_lo, exec_lo, s3
	s_and_saveexec_b32 s3, s2
	s_cbranch_execz .LBB70_13
.LBB70_17:                              ;   in Loop: Header=BB70_4 Depth=1
	v_div_scale_f32 v26, null, s20, s20, v25
	v_div_scale_f32 v29, vcc_lo, v25, s20, v25
	v_rcp_f32_e32 v27, v26
	v_fma_f32 v28, -v26, v27, 1.0
	v_fmac_f32_e32 v27, v28, v27
	v_mul_f32_e32 v28, v29, v27
	v_fma_f32 v30, -v26, v28, v29
	v_fmac_f32_e32 v28, v30, v27
	v_fma_f32 v26, -v26, v28, v29
	v_div_fmas_f32 v26, v26, v27, v28
	v_div_fixup_f32 v25, v26, s20, v25
	v_cvt_f16_f32_e32 v27, v25
	v_add_co_u32 v25, vcc_lo, v21, s10
	v_add_co_ci_u32_e64 v26, null, s11, v22, vcc_lo
	global_store_short v[25:26], v27, off
	s_or_b32 exec_lo, exec_lo, s3
	s_and_saveexec_b32 s2, s1
	s_cbranch_execz .LBB70_14
.LBB70_18:                              ;   in Loop: Header=BB70_4 Depth=1
	v_div_scale_f32 v25, null, s20, s20, v23
	v_div_scale_f32 v28, vcc_lo, v23, s20, v23
	v_rcp_f32_e32 v26, v25
	v_fma_f32 v27, -v25, v26, 1.0
	v_fmac_f32_e32 v26, v27, v26
	v_mul_f32_e32 v27, v28, v26
	v_fma_f32 v29, -v25, v27, v28
	v_fmac_f32_e32 v27, v29, v26
	v_fma_f32 v25, -v25, v27, v28
	v_div_fmas_f32 v25, v25, v26, v27
	v_div_fixup_f32 v23, v25, s20, v23
	v_add_co_u32 v25, vcc_lo, v14, s10
	v_add_co_ci_u32_e64 v26, null, s11, v15, vcc_lo
	v_cvt_f16_f32_e32 v23, v23
	global_store_short v[25:26], v23, off
	s_or_b32 exec_lo, exec_lo, s2
	s_and_saveexec_b32 s1, s0
	s_cbranch_execz .LBB70_3
.LBB70_19:                              ;   in Loop: Header=BB70_4 Depth=1
	v_div_scale_f32 v23, null, s20, s20, v24
	v_div_scale_f32 v27, vcc_lo, v24, s20, v24
	v_rcp_f32_e32 v25, v23
	v_fma_f32 v26, -v23, v25, 1.0
	v_fmac_f32_e32 v25, v26, v25
	v_mul_f32_e32 v26, v27, v25
	v_fma_f32 v28, -v23, v26, v27
	v_fmac_f32_e32 v26, v28, v25
	v_fma_f32 v23, -v23, v26, v27
	v_div_fmas_f32 v23, v23, v25, v26
	v_div_fixup_f32 v23, v23, s20, v24
	v_cvt_f16_f32_e32 v25, v23
	v_add_co_u32 v23, vcc_lo, v7, s10
	v_add_co_ci_u32_e64 v24, null, s11, v8, vcc_lo
	global_store_short v[23:24], v25, off
	s_branch .LBB70_3
.LBB70_20:
	s_mov_b32 s0, 0
.LBB70_21:
	s_andn2_b32 vcc_lo, exec_lo, s0
	s_cbranch_vccnz .LBB70_25
; %bb.22:
	v_cmp_gt_i64_e64 s0, 0x10000, s[12:13]
	v_mov_b32_e32 v2, 0
	v_lshlrev_b32_e32 v1, 2, v0
	s_mov_b32 s3, 0
	s_and_b32 s0, s0, exec_lo
	s_cselect_b32 s13, s13, 0
	s_cselect_b32 s12, s12, 0x10000
	s_mov_b32 s0, exec_lo
	v_cmpx_gt_i64_e64 s[12:13], v[1:2]
	s_cbranch_execz .LBB70_25
; %bb.23:
	s_load_dword s0, s[4:5], 0xd54
	v_lshlrev_b32_e32 v3, 3, v0
	v_mov_b32_e32 v1, v2
	s_mov_b32 s5, s20
	v_add_co_u32 v2, s1, s10, v3
	v_add_co_ci_u32_e64 v3, null, s11, 0, s1
	s_waitcnt lgkmcnt(0)
	s_and_b32 s4, s0, 0xffff
	s_lshl_b32 s10, s4, 3
.LBB70_24:                              ; =>This Inner Loop Header: Depth=1
	v_add_co_u32 v4, vcc_lo, s6, v2
	v_add_co_ci_u32_e64 v5, null, s7, v3, vcc_lo
	v_add_co_u32 v0, vcc_lo, v0, s4
	v_add_co_ci_u32_e64 v1, null, 0, v1, vcc_lo
	global_load_dwordx2 v[4:5], v[4:5], off
	v_add_co_u32 v6, vcc_lo, s8, v2
	v_add_co_ci_u32_e64 v7, null, s9, v3, vcc_lo
	v_lshlrev_b64 v[8:9], 2, v[0:1]
	s_waitcnt vmcnt(0)
	v_cvt_f32_f16_e32 v10, v4
	v_cvt_f32_f16_sdwa v11, v5 dst_sel:DWORD dst_unused:UNUSED_PAD src0_sel:WORD_1
	v_cvt_f32_f16_e32 v5, v5
	v_cvt_f32_f16_sdwa v4, v4 dst_sel:DWORD dst_unused:UNUSED_PAD src0_sel:WORD_1
	v_div_scale_f32 v12, null, s20, s20, v10
	v_div_scale_f32 v14, null, s20, s20, v11
	;; [unrolled: 1-line block ×3, first 2 shown]
	v_rcp_f32_e32 v20, v12
	v_div_scale_f32 v18, null, s20, s20, v4
	v_rcp_f32_e32 v21, v14
	v_rcp_f32_e32 v22, v16
	v_div_scale_f32 v13, vcc_lo, v10, s20, v10
	v_rcp_f32_e32 v23, v18
	v_div_scale_f32 v15, s0, v11, s20, v11
	v_fma_f32 v24, -v12, v20, 1.0
	v_div_scale_f32 v17, s1, v5, s5, v5
	v_fma_f32 v25, -v14, v21, 1.0
	v_fma_f32 v26, -v16, v22, 1.0
	v_fmac_f32_e32 v20, v24, v20
	v_div_scale_f32 v19, s2, v4, s20, v4
	v_fma_f32 v27, -v18, v23, 1.0
	v_fmac_f32_e32 v21, v25, v21
	v_fmac_f32_e32 v22, v26, v22
	v_mul_f32_e32 v24, v13, v20
	v_fmac_f32_e32 v23, v27, v23
	v_mul_f32_e32 v25, v15, v21
	v_mul_f32_e32 v26, v17, v22
	v_fma_f32 v28, -v12, v24, v13
	v_mul_f32_e32 v27, v19, v23
	v_fma_f32 v29, -v14, v25, v15
	v_fma_f32 v30, -v16, v26, v17
	v_fmac_f32_e32 v24, v28, v20
	v_fma_f32 v31, -v18, v27, v19
	v_fmac_f32_e32 v25, v29, v21
	v_fmac_f32_e32 v26, v30, v22
	v_fma_f32 v12, -v12, v24, v13
	v_fmac_f32_e32 v27, v31, v23
	v_fma_f32 v13, -v14, v25, v15
	v_fma_f32 v14, -v16, v26, v17
	v_div_fmas_f32 v12, v12, v20, v24
	s_mov_b32 vcc_lo, s0
	v_fma_f32 v15, -v18, v27, v19
	v_div_fmas_f32 v13, v13, v21, v25
	s_mov_b32 vcc_lo, s1
	v_div_fixup_f32 v10, v12, s20, v10
	v_div_fmas_f32 v14, v14, v22, v26
	s_mov_b32 vcc_lo, s2
	v_div_fixup_f32 v11, v13, s20, v11
	v_div_fmas_f32 v15, v15, v23, v27
	v_cvt_f16_f32_e32 v10, v10
	v_div_fixup_f32 v5, v14, s5, v5
	v_cmp_le_i64_e64 s0, s[12:13], v[8:9]
	v_cvt_f16_f32_e32 v11, v11
	v_div_fixup_f32 v4, v15, s20, v4
	v_add_co_u32 v2, vcc_lo, v2, s10
	v_cvt_f16_f32_e32 v5, v5
	v_add_co_ci_u32_e64 v3, null, 0, v3, vcc_lo
	v_cvt_f16_f32_e32 v4, v4
	s_or_b32 s3, s0, s3
	v_pack_b32_f16 v5, v5, v11
	v_pack_b32_f16 v4, v10, v4
	global_store_dwordx2 v[6:7], v[4:5], off
	s_andn2_b32 exec_lo, exec_lo, s3
	s_cbranch_execnz .LBB70_24
.LBB70_25:
	s_endpgm
	.section	.rodata,"a",@progbits
	.p2align	6, 0x0
	.amdhsa_kernel _ZN2at6native12_GLOBAL__N_125multi_tensor_apply_kernelINS1_28TensorListScalarListMetadataIfLi2EEENS1_25BinaryOpScalarListFunctorIN3c104HalfELi2ELi1ELi1EEEJSt7dividesIfEEEEvT_T0_DpT1_
		.amdhsa_group_segment_fixed_size 0
		.amdhsa_private_segment_fixed_size 0
		.amdhsa_kernarg_size 3656
		.amdhsa_user_sgpr_count 6
		.amdhsa_user_sgpr_private_segment_buffer 1
		.amdhsa_user_sgpr_dispatch_ptr 0
		.amdhsa_user_sgpr_queue_ptr 0
		.amdhsa_user_sgpr_kernarg_segment_ptr 1
		.amdhsa_user_sgpr_dispatch_id 0
		.amdhsa_user_sgpr_flat_scratch_init 0
		.amdhsa_user_sgpr_private_segment_size 0
		.amdhsa_wavefront_size32 1
		.amdhsa_uses_dynamic_stack 0
		.amdhsa_system_sgpr_private_segment_wavefront_offset 0
		.amdhsa_system_sgpr_workgroup_id_x 1
		.amdhsa_system_sgpr_workgroup_id_y 0
		.amdhsa_system_sgpr_workgroup_id_z 0
		.amdhsa_system_sgpr_workgroup_info 0
		.amdhsa_system_vgpr_workitem_id 0
		.amdhsa_next_free_vgpr 32
		.amdhsa_next_free_sgpr 24
		.amdhsa_reserve_vcc 1
		.amdhsa_reserve_flat_scratch 0
		.amdhsa_float_round_mode_32 0
		.amdhsa_float_round_mode_16_64 0
		.amdhsa_float_denorm_mode_32 3
		.amdhsa_float_denorm_mode_16_64 3
		.amdhsa_dx10_clamp 1
		.amdhsa_ieee_mode 1
		.amdhsa_fp16_overflow 0
		.amdhsa_workgroup_processor_mode 1
		.amdhsa_memory_ordered 1
		.amdhsa_forward_progress 1
		.amdhsa_shared_vgpr_count 0
		.amdhsa_exception_fp_ieee_invalid_op 0
		.amdhsa_exception_fp_denorm_src 0
		.amdhsa_exception_fp_ieee_div_zero 0
		.amdhsa_exception_fp_ieee_overflow 0
		.amdhsa_exception_fp_ieee_underflow 0
		.amdhsa_exception_fp_ieee_inexact 0
		.amdhsa_exception_int_div_zero 0
	.end_amdhsa_kernel
	.section	.text._ZN2at6native12_GLOBAL__N_125multi_tensor_apply_kernelINS1_28TensorListScalarListMetadataIfLi2EEENS1_25BinaryOpScalarListFunctorIN3c104HalfELi2ELi1ELi1EEEJSt7dividesIfEEEEvT_T0_DpT1_,"axG",@progbits,_ZN2at6native12_GLOBAL__N_125multi_tensor_apply_kernelINS1_28TensorListScalarListMetadataIfLi2EEENS1_25BinaryOpScalarListFunctorIN3c104HalfELi2ELi1ELi1EEEJSt7dividesIfEEEEvT_T0_DpT1_,comdat
.Lfunc_end70:
	.size	_ZN2at6native12_GLOBAL__N_125multi_tensor_apply_kernelINS1_28TensorListScalarListMetadataIfLi2EEENS1_25BinaryOpScalarListFunctorIN3c104HalfELi2ELi1ELi1EEEJSt7dividesIfEEEEvT_T0_DpT1_, .Lfunc_end70-_ZN2at6native12_GLOBAL__N_125multi_tensor_apply_kernelINS1_28TensorListScalarListMetadataIfLi2EEENS1_25BinaryOpScalarListFunctorIN3c104HalfELi2ELi1ELi1EEEJSt7dividesIfEEEEvT_T0_DpT1_
                                        ; -- End function
	.set _ZN2at6native12_GLOBAL__N_125multi_tensor_apply_kernelINS1_28TensorListScalarListMetadataIfLi2EEENS1_25BinaryOpScalarListFunctorIN3c104HalfELi2ELi1ELi1EEEJSt7dividesIfEEEEvT_T0_DpT1_.num_vgpr, 32
	.set _ZN2at6native12_GLOBAL__N_125multi_tensor_apply_kernelINS1_28TensorListScalarListMetadataIfLi2EEENS1_25BinaryOpScalarListFunctorIN3c104HalfELi2ELi1ELi1EEEJSt7dividesIfEEEEvT_T0_DpT1_.num_agpr, 0
	.set _ZN2at6native12_GLOBAL__N_125multi_tensor_apply_kernelINS1_28TensorListScalarListMetadataIfLi2EEENS1_25BinaryOpScalarListFunctorIN3c104HalfELi2ELi1ELi1EEEJSt7dividesIfEEEEvT_T0_DpT1_.numbered_sgpr, 24
	.set _ZN2at6native12_GLOBAL__N_125multi_tensor_apply_kernelINS1_28TensorListScalarListMetadataIfLi2EEENS1_25BinaryOpScalarListFunctorIN3c104HalfELi2ELi1ELi1EEEJSt7dividesIfEEEEvT_T0_DpT1_.num_named_barrier, 0
	.set _ZN2at6native12_GLOBAL__N_125multi_tensor_apply_kernelINS1_28TensorListScalarListMetadataIfLi2EEENS1_25BinaryOpScalarListFunctorIN3c104HalfELi2ELi1ELi1EEEJSt7dividesIfEEEEvT_T0_DpT1_.private_seg_size, 0
	.set _ZN2at6native12_GLOBAL__N_125multi_tensor_apply_kernelINS1_28TensorListScalarListMetadataIfLi2EEENS1_25BinaryOpScalarListFunctorIN3c104HalfELi2ELi1ELi1EEEJSt7dividesIfEEEEvT_T0_DpT1_.uses_vcc, 1
	.set _ZN2at6native12_GLOBAL__N_125multi_tensor_apply_kernelINS1_28TensorListScalarListMetadataIfLi2EEENS1_25BinaryOpScalarListFunctorIN3c104HalfELi2ELi1ELi1EEEJSt7dividesIfEEEEvT_T0_DpT1_.uses_flat_scratch, 0
	.set _ZN2at6native12_GLOBAL__N_125multi_tensor_apply_kernelINS1_28TensorListScalarListMetadataIfLi2EEENS1_25BinaryOpScalarListFunctorIN3c104HalfELi2ELi1ELi1EEEJSt7dividesIfEEEEvT_T0_DpT1_.has_dyn_sized_stack, 0
	.set _ZN2at6native12_GLOBAL__N_125multi_tensor_apply_kernelINS1_28TensorListScalarListMetadataIfLi2EEENS1_25BinaryOpScalarListFunctorIN3c104HalfELi2ELi1ELi1EEEJSt7dividesIfEEEEvT_T0_DpT1_.has_recursion, 0
	.set _ZN2at6native12_GLOBAL__N_125multi_tensor_apply_kernelINS1_28TensorListScalarListMetadataIfLi2EEENS1_25BinaryOpScalarListFunctorIN3c104HalfELi2ELi1ELi1EEEJSt7dividesIfEEEEvT_T0_DpT1_.has_indirect_call, 0
	.section	.AMDGPU.csdata,"",@progbits
; Kernel info:
; codeLenInByte = 2080
; TotalNumSgprs: 26
; NumVgprs: 32
; ScratchSize: 0
; MemoryBound: 0
; FloatMode: 240
; IeeeMode: 1
; LDSByteSize: 0 bytes/workgroup (compile time only)
; SGPRBlocks: 0
; VGPRBlocks: 3
; NumSGPRsForWavesPerEU: 26
; NumVGPRsForWavesPerEU: 32
; Occupancy: 16
; WaveLimiterHint : 0
; COMPUTE_PGM_RSRC2:SCRATCH_EN: 0
; COMPUTE_PGM_RSRC2:USER_SGPR: 6
; COMPUTE_PGM_RSRC2:TRAP_HANDLER: 0
; COMPUTE_PGM_RSRC2:TGID_X_EN: 1
; COMPUTE_PGM_RSRC2:TGID_Y_EN: 0
; COMPUTE_PGM_RSRC2:TGID_Z_EN: 0
; COMPUTE_PGM_RSRC2:TIDIG_COMP_CNT: 0
	.section	.text._ZN2at6native12_GLOBAL__N_125multi_tensor_apply_kernelINS1_28TensorListScalarListMetadataIfLi2EEENS1_25BinaryOpScalarListFunctorIN3c108BFloat16ELi2ELi1ELi1EEEJSt7dividesIfEEEEvT_T0_DpT1_,"axG",@progbits,_ZN2at6native12_GLOBAL__N_125multi_tensor_apply_kernelINS1_28TensorListScalarListMetadataIfLi2EEENS1_25BinaryOpScalarListFunctorIN3c108BFloat16ELi2ELi1ELi1EEEJSt7dividesIfEEEEvT_T0_DpT1_,comdat
	.globl	_ZN2at6native12_GLOBAL__N_125multi_tensor_apply_kernelINS1_28TensorListScalarListMetadataIfLi2EEENS1_25BinaryOpScalarListFunctorIN3c108BFloat16ELi2ELi1ELi1EEEJSt7dividesIfEEEEvT_T0_DpT1_ ; -- Begin function _ZN2at6native12_GLOBAL__N_125multi_tensor_apply_kernelINS1_28TensorListScalarListMetadataIfLi2EEENS1_25BinaryOpScalarListFunctorIN3c108BFloat16ELi2ELi1ELi1EEEJSt7dividesIfEEEEvT_T0_DpT1_
	.p2align	8
	.type	_ZN2at6native12_GLOBAL__N_125multi_tensor_apply_kernelINS1_28TensorListScalarListMetadataIfLi2EEENS1_25BinaryOpScalarListFunctorIN3c108BFloat16ELi2ELi1ELi1EEEJSt7dividesIfEEEEvT_T0_DpT1_,@function
_ZN2at6native12_GLOBAL__N_125multi_tensor_apply_kernelINS1_28TensorListScalarListMetadataIfLi2EEENS1_25BinaryOpScalarListFunctorIN3c108BFloat16ELi2ELi1ELi1EEEJSt7dividesIfEEEEvT_T0_DpT1_: ; @_ZN2at6native12_GLOBAL__N_125multi_tensor_apply_kernelINS1_28TensorListScalarListMetadataIfLi2EEENS1_25BinaryOpScalarListFunctorIN3c108BFloat16ELi2ELi1ELi1EEEJSt7dividesIfEEEEvT_T0_DpT1_
; %bb.0:
	v_mov_b32_e32 v1, s6
	s_add_u32 s0, s4, s6
	s_mul_hi_u32 s1, s6, 3
	s_mul_i32 s6, s6, 3
	s_addc_u32 s2, s5, 0
	global_load_ubyte v1, v1, s[4:5] offset:1792
	s_add_u32 s0, s0, s6
	s_addc_u32 s1, s2, s1
	s_mov_b32 s15, 0
	s_load_dword s0, s[0:1], 0x840
	s_mov_b32 s17, s15
	s_waitcnt vmcnt(0)
	v_readfirstlane_b32 s1, v1
	v_lshlrev_b32_e32 v1, 2, v1
	s_lshl_b32 s10, s1, 3
	v_sub_co_u32 v1, s1, 0, v1
	v_sub_co_ci_u32_e64 v2, null, 0, 0, s1
	s_waitcnt lgkmcnt(0)
	s_ashr_i32 s1, s0, 31
	s_clause 0x2
	s_load_dwordx2 s[2:3], s[4:5], s10 offset:0x400
	s_load_dwordx2 s[6:7], s[4:5], s10 offset:0x0
	;; [unrolled: 1-line block ×3, first 2 shown]
	s_add_u32 s10, s4, s10
	s_addc_u32 s11, s5, 0
	v_add_co_u32 v1, vcc_lo, s10, v1
	v_add_co_ci_u32_e64 v2, null, s11, v2, vcc_lo
	v_readfirstlane_b32 s10, v1
	v_readfirstlane_b32 s11, v2
	s_load_dword s20, s[10:11], 0x600
	s_lshl_b64 s[10:11], s[0:1], 17
	s_lshl_b64 s[0:1], s[0:1], 16
	s_waitcnt lgkmcnt(0)
	s_add_u32 s12, s6, s10
	s_and_b32 s16, s8, 7
	s_and_b32 s14, s12, 7
	s_sub_u32 s12, s2, s0
	s_subb_u32 s13, s3, s1
	s_and_b32 s0, s2, 3
	s_mov_b32 s1, s15
	s_or_b64 s[0:1], s[16:17], s[0:1]
	s_or_b64 s[0:1], s[0:1], s[14:15]
	s_cmp_eq_u64 s[0:1], 0
	s_mov_b32 s0, -1
	s_cbranch_scc1 .LBB71_21
; %bb.1:
	v_cmp_lt_i64_e64 s0, s[12:13], 1
	s_and_b32 vcc_lo, exec_lo, s0
	s_cbranch_vccnz .LBB71_20
; %bb.2:
	s_load_dword s0, s[4:5], 0xd54
	v_cmp_gt_i64_e64 s1, 0x10000, s[12:13]
	v_lshlrev_b32_e32 v9, 1, v0
	v_cmp_gt_u64_e64 s2, 0x10000, s[12:13]
	v_mov_b32_e32 v10, 0
	v_mov_b32_e32 v23, 0x7fc0
	s_mov_b64 s[18:19], 0
	s_and_b32 s1, s1, exec_lo
	v_add_co_u32 v1, s3, s6, v9
	s_cselect_b32 s15, s13, 0
	s_cselect_b32 s14, s12, 0x10000
	v_add_co_ci_u32_e64 v2, null, s7, 0, s3
	v_add_co_u32 v3, s3, s8, v9
	v_add_co_ci_u32_e64 v4, null, s9, 0, s3
	s_waitcnt lgkmcnt(0)
	s_and_b32 s0, s0, 0xffff
	s_and_b32 s1, s2, exec_lo
	s_cselect_b32 s17, s13, 0
	s_cselect_b32 s16, s12, 0x10000
	s_mul_i32 s2, s0, 3
	s_lshl_b32 s21, s0, 2
	v_mad_u64_u32 v[7:8], null, s0, 6, v[9:10]
	v_add_co_u32 v14, s3, s21, v9
	v_add_co_u32 v9, s2, s2, v0
	v_add_co_ci_u32_e64 v10, null, 0, 0, s2
	v_add_co_u32 v13, s2, v0, s0
	s_lshl_b32 s1, s0, 1
	v_add_co_u32 v5, vcc_lo, s6, v7
	v_lshlrev_b32_e32 v21, 1, v13
	v_add_co_ci_u32_e64 v15, null, 0, 0, s3
	v_add_co_ci_u32_e64 v6, null, s7, v8, vcc_lo
	v_add_co_u32 v7, vcc_lo, s8, v7
	v_add_co_u32 v17, s1, s1, v0
	v_add_co_ci_u32_e64 v8, null, s9, v8, vcc_lo
	v_add_co_u32 v11, vcc_lo, s6, v14
	v_add_co_ci_u32_e64 v18, null, 0, 0, s1
	v_add_co_u32 v19, s1, s6, v21
	v_add_co_ci_u32_e64 v12, null, s7, v15, vcc_lo
	v_add_co_u32 v14, vcc_lo, s8, v14
	v_add_co_ci_u32_e64 v20, null, s7, 0, s1
	v_add_co_u32 v21, s1, s8, v21
	v_add_co_ci_u32_e64 v15, null, s9, v15, vcc_lo
	v_add_co_ci_u32_e64 v16, null, 0, 0, s2
	v_add_co_ci_u32_e64 v22, null, s9, 0, s1
	s_lshl_b32 s22, s0, 3
	s_branch .LBB71_4
.LBB71_3:                               ;   in Loop: Header=BB71_4 Depth=1
	s_or_b32 exec_lo, exec_lo, s1
	v_add_co_u32 v1, vcc_lo, v1, s22
	v_add_co_ci_u32_e64 v2, null, 0, v2, vcc_lo
	v_add_co_u32 v3, vcc_lo, v3, s22
	v_add_co_ci_u32_e64 v4, null, 0, v4, vcc_lo
	v_add_co_u32 v5, vcc_lo, v5, s22
	v_add_co_ci_u32_e64 v6, null, 0, v6, vcc_lo
	v_add_co_u32 v7, vcc_lo, v7, s22
	v_add_co_ci_u32_e64 v8, null, 0, v8, vcc_lo
	v_add_co_u32 v11, vcc_lo, v11, s22
	s_add_u32 s18, s18, s21
	v_add_co_ci_u32_e64 v12, null, 0, v12, vcc_lo
	v_add_co_u32 v14, vcc_lo, v14, s22
	s_addc_u32 s19, s19, 0
	v_add_co_ci_u32_e64 v15, null, 0, v15, vcc_lo
	v_add_co_u32 v19, vcc_lo, v19, s22
	v_cmp_lt_i64_e64 s0, s[18:19], s[14:15]
	v_add_co_ci_u32_e64 v20, null, 0, v20, vcc_lo
	v_add_co_u32 v21, vcc_lo, v21, s22
	v_add_co_ci_u32_e64 v22, null, 0, v22, vcc_lo
	s_and_b32 vcc_lo, exec_lo, s0
	s_cbranch_vccz .LBB71_20
.LBB71_4:                               ; =>This Inner Loop Header: Depth=1
	v_add_co_u32 v24, s0, v0, s18
	v_add_co_ci_u32_e64 v25, null, 0, s19, s0
	v_mov_b32_e32 v27, 0
	v_cmp_gt_u64_e32 vcc_lo, s[16:17], v[24:25]
	s_and_saveexec_b32 s1, vcc_lo
	s_cbranch_execz .LBB71_6
; %bb.5:                                ;   in Loop: Header=BB71_4 Depth=1
	v_add_co_u32 v24, s0, v1, s10
	v_add_co_ci_u32_e64 v25, null, s11, v2, s0
	global_load_ushort v24, v[24:25], off
	s_waitcnt vmcnt(0)
	v_lshlrev_b32_e32 v27, 16, v24
.LBB71_6:                               ;   in Loop: Header=BB71_4 Depth=1
	s_or_b32 exec_lo, exec_lo, s1
	v_add_co_u32 v24, s0, v13, s18
	v_add_co_ci_u32_e64 v25, null, s19, v16, s0
	v_mov_b32_e32 v26, 0
	v_cmp_gt_u64_e64 s2, s[16:17], v[24:25]
	v_mov_b32_e32 v24, 0
	s_and_saveexec_b32 s1, s2
	s_cbranch_execz .LBB71_8
; %bb.7:                                ;   in Loop: Header=BB71_4 Depth=1
	v_add_co_u32 v25, s0, v19, s10
	v_add_co_ci_u32_e64 v26, null, s11, v20, s0
	global_load_ushort v25, v[25:26], off
	s_waitcnt vmcnt(0)
	v_lshlrev_b32_e32 v26, 16, v25
.LBB71_8:                               ;   in Loop: Header=BB71_4 Depth=1
	s_or_b32 exec_lo, exec_lo, s1
	v_add_co_u32 v28, s0, v17, s18
	v_add_co_ci_u32_e64 v29, null, s19, v18, s0
	v_cmp_gt_u64_e64 s1, s[16:17], v[28:29]
	s_and_saveexec_b32 s3, s1
	s_cbranch_execz .LBB71_10
; %bb.9:                                ;   in Loop: Header=BB71_4 Depth=1
	v_add_co_u32 v24, s0, v11, s10
	v_add_co_ci_u32_e64 v25, null, s11, v12, s0
	global_load_ushort v24, v[24:25], off
	s_waitcnt vmcnt(0)
	v_lshlrev_b32_e32 v24, 16, v24
.LBB71_10:                              ;   in Loop: Header=BB71_4 Depth=1
	s_or_b32 exec_lo, exec_lo, s3
	v_add_co_u32 v28, s0, v9, s18
	v_add_co_ci_u32_e64 v29, null, s19, v10, s0
	v_mov_b32_e32 v25, 0
	v_cmp_gt_u64_e64 s0, s[16:17], v[28:29]
	s_and_saveexec_b32 s23, s0
	s_cbranch_execnz .LBB71_15
; %bb.11:                               ;   in Loop: Header=BB71_4 Depth=1
	s_or_b32 exec_lo, exec_lo, s23
	s_and_saveexec_b32 s23, vcc_lo
	s_cbranch_execnz .LBB71_16
.LBB71_12:                              ;   in Loop: Header=BB71_4 Depth=1
	s_or_b32 exec_lo, exec_lo, s23
	s_and_saveexec_b32 s3, s2
	s_cbranch_execnz .LBB71_17
.LBB71_13:                              ;   in Loop: Header=BB71_4 Depth=1
	s_or_b32 exec_lo, exec_lo, s3
	s_and_saveexec_b32 s2, s1
	s_cbranch_execnz .LBB71_18
.LBB71_14:                              ;   in Loop: Header=BB71_4 Depth=1
	s_or_b32 exec_lo, exec_lo, s2
	s_and_saveexec_b32 s1, s0
	s_cbranch_execz .LBB71_3
	s_branch .LBB71_19
.LBB71_15:                              ;   in Loop: Header=BB71_4 Depth=1
	v_add_co_u32 v28, s3, v5, s10
	v_add_co_ci_u32_e64 v29, null, s11, v6, s3
	global_load_ushort v25, v[28:29], off
	s_waitcnt vmcnt(0)
	v_lshlrev_b32_e32 v25, 16, v25
	s_or_b32 exec_lo, exec_lo, s23
	s_and_saveexec_b32 s23, vcc_lo
	s_cbranch_execz .LBB71_12
.LBB71_16:                              ;   in Loop: Header=BB71_4 Depth=1
	v_div_scale_f32 v28, null, s20, s20, v27
	v_div_scale_f32 v31, vcc_lo, v27, s20, v27
	v_rcp_f32_e32 v29, v28
	v_fma_f32 v30, -v28, v29, 1.0
	v_fmac_f32_e32 v29, v30, v29
	v_mul_f32_e32 v30, v31, v29
	v_fma_f32 v32, -v28, v30, v31
	v_fmac_f32_e32 v30, v32, v29
	v_fma_f32 v28, -v28, v30, v31
	v_div_fmas_f32 v28, v28, v29, v30
	v_div_fixup_f32 v27, v28, s20, v27
	v_bfe_u32 v28, v27, 16, 1
	v_cmp_o_f32_e32 vcc_lo, v27, v27
	v_add3_u32 v29, v27, v28, 0x7fff
	v_add_co_u32 v27, s3, v3, s10
	v_add_co_ci_u32_e64 v28, null, s11, v4, s3
	v_cndmask_b32_sdwa v29, v23, v29, vcc_lo dst_sel:DWORD dst_unused:UNUSED_PAD src0_sel:DWORD src1_sel:WORD_1
	global_store_short v[27:28], v29, off
	s_or_b32 exec_lo, exec_lo, s23
	s_and_saveexec_b32 s3, s2
	s_cbranch_execz .LBB71_13
.LBB71_17:                              ;   in Loop: Header=BB71_4 Depth=1
	v_div_scale_f32 v27, null, s20, s20, v26
	v_div_scale_f32 v30, vcc_lo, v26, s20, v26
	v_rcp_f32_e32 v28, v27
	v_fma_f32 v29, -v27, v28, 1.0
	v_fmac_f32_e32 v28, v29, v28
	v_mul_f32_e32 v29, v30, v28
	v_fma_f32 v31, -v27, v29, v30
	v_fmac_f32_e32 v29, v31, v28
	v_fma_f32 v27, -v27, v29, v30
	v_div_fmas_f32 v27, v27, v28, v29
	v_div_fixup_f32 v26, v27, s20, v26
	v_bfe_u32 v27, v26, 16, 1
	v_cmp_o_f32_e32 vcc_lo, v26, v26
	v_add3_u32 v26, v26, v27, 0x7fff
	v_cndmask_b32_sdwa v28, v23, v26, vcc_lo dst_sel:DWORD dst_unused:UNUSED_PAD src0_sel:DWORD src1_sel:WORD_1
	v_add_co_u32 v26, vcc_lo, v21, s10
	v_add_co_ci_u32_e64 v27, null, s11, v22, vcc_lo
	global_store_short v[26:27], v28, off
	s_or_b32 exec_lo, exec_lo, s3
	s_and_saveexec_b32 s2, s1
	s_cbranch_execz .LBB71_14
.LBB71_18:                              ;   in Loop: Header=BB71_4 Depth=1
	v_div_scale_f32 v26, null, s20, s20, v24
	v_div_scale_f32 v29, vcc_lo, v24, s20, v24
	v_rcp_f32_e32 v27, v26
	v_fma_f32 v28, -v26, v27, 1.0
	v_fmac_f32_e32 v27, v28, v27
	v_mul_f32_e32 v28, v29, v27
	v_fma_f32 v30, -v26, v28, v29
	v_fmac_f32_e32 v28, v30, v27
	v_fma_f32 v26, -v26, v28, v29
	v_div_fmas_f32 v26, v26, v27, v28
	v_div_fixup_f32 v24, v26, s20, v24
	v_bfe_u32 v26, v24, 16, 1
	v_cmp_o_f32_e32 vcc_lo, v24, v24
	v_add3_u32 v24, v24, v26, 0x7fff
	v_cndmask_b32_sdwa v24, v23, v24, vcc_lo dst_sel:DWORD dst_unused:UNUSED_PAD src0_sel:DWORD src1_sel:WORD_1
	v_add_co_u32 v26, vcc_lo, v14, s10
	v_add_co_ci_u32_e64 v27, null, s11, v15, vcc_lo
	global_store_short v[26:27], v24, off
	s_or_b32 exec_lo, exec_lo, s2
	s_and_saveexec_b32 s1, s0
	s_cbranch_execz .LBB71_3
.LBB71_19:                              ;   in Loop: Header=BB71_4 Depth=1
	v_div_scale_f32 v24, null, s20, s20, v25
	v_div_scale_f32 v28, vcc_lo, v25, s20, v25
	v_rcp_f32_e32 v26, v24
	v_fma_f32 v27, -v24, v26, 1.0
	v_fmac_f32_e32 v26, v27, v26
	v_mul_f32_e32 v27, v28, v26
	v_fma_f32 v29, -v24, v27, v28
	v_fmac_f32_e32 v27, v29, v26
	v_fma_f32 v24, -v24, v27, v28
	v_div_fmas_f32 v24, v24, v26, v27
	v_div_fixup_f32 v24, v24, s20, v25
	v_bfe_u32 v25, v24, 16, 1
	v_cmp_o_f32_e32 vcc_lo, v24, v24
	v_add3_u32 v24, v24, v25, 0x7fff
	v_cndmask_b32_sdwa v26, v23, v24, vcc_lo dst_sel:DWORD dst_unused:UNUSED_PAD src0_sel:DWORD src1_sel:WORD_1
	v_add_co_u32 v24, vcc_lo, v7, s10
	v_add_co_ci_u32_e64 v25, null, s11, v8, vcc_lo
	global_store_short v[24:25], v26, off
	s_branch .LBB71_3
.LBB71_20:
	s_mov_b32 s0, 0
.LBB71_21:
	s_andn2_b32 vcc_lo, exec_lo, s0
	s_cbranch_vccnz .LBB71_25
; %bb.22:
	v_cmp_gt_i64_e64 s0, 0x10000, s[12:13]
	v_mov_b32_e32 v2, 0
	v_lshlrev_b32_e32 v1, 2, v0
	s_mov_b32 s3, 0
	s_and_b32 s0, s0, exec_lo
	s_cselect_b32 s13, s13, 0
	s_cselect_b32 s12, s12, 0x10000
	s_mov_b32 s0, exec_lo
	v_cmpx_gt_i64_e64 s[12:13], v[1:2]
	s_cbranch_execz .LBB71_25
; %bb.23:
	s_load_dword s0, s[4:5], 0xd54
	v_lshlrev_b32_e32 v3, 3, v0
	v_mov_b32_e32 v1, v2
	v_add_co_u32 v2, s1, s10, v3
	v_add_co_ci_u32_e64 v3, null, s11, 0, s1
	s_waitcnt lgkmcnt(0)
	s_and_b32 s4, s0, 0xffff
	s_lshl_b32 s5, s4, 3
.LBB71_24:                              ; =>This Inner Loop Header: Depth=1
	v_add_co_u32 v4, vcc_lo, s6, v2
	v_add_co_ci_u32_e64 v5, null, s7, v3, vcc_lo
	v_add_co_u32 v0, vcc_lo, v0, s4
	v_add_co_ci_u32_e64 v1, null, 0, v1, vcc_lo
	global_load_dwordx2 v[4:5], v[4:5], off
	v_add_co_u32 v6, vcc_lo, s8, v2
	v_add_co_ci_u32_e64 v7, null, s9, v3, vcc_lo
	v_lshlrev_b64 v[8:9], 2, v[0:1]
	s_waitcnt vmcnt(0)
	v_lshlrev_b32_e32 v10, 16, v4
	v_and_b32_e32 v11, 0xffff0000, v4
	v_alignbit_b32 v4, v5, v4, 16
	v_and_b32_e32 v5, 0xffff0000, v5
	v_div_scale_f32 v12, null, s20, s20, v10
	v_and_b32_e32 v4, 0xffff0000, v4
	v_div_scale_f32 v14, null, s20, s20, v11
	v_rcp_f32_e32 v18, v12
	v_div_scale_f32 v16, null, s20, s20, v5
	v_div_scale_f32 v20, null, s20, s20, v4
	v_rcp_f32_e32 v19, v14
	v_rcp_f32_e32 v21, v16
	v_div_scale_f32 v13, vcc_lo, v10, s20, v10
	v_rcp_f32_e32 v23, v20
	v_fma_f32 v24, -v12, v18, 1.0
	v_div_scale_f32 v15, s0, v11, s20, v11
	v_div_scale_f32 v22, s2, v4, s20, v4
	v_fma_f32 v25, -v14, v19, 1.0
	v_fmac_f32_e32 v18, v24, v18
	v_fma_f32 v26, -v16, v21, 1.0
	v_div_scale_f32 v17, s1, v5, s20, v5
	v_fma_f32 v24, -v20, v23, 1.0
	v_fmac_f32_e32 v19, v25, v19
	v_mul_f32_e32 v25, v13, v18
	v_fmac_f32_e32 v21, v26, v21
	v_fmac_f32_e32 v23, v24, v23
	v_mul_f32_e32 v26, v15, v19
	v_fma_f32 v27, -v12, v25, v13
	v_mul_f32_e32 v24, v17, v21
	v_mul_f32_e32 v29, v22, v23
	v_fma_f32 v28, -v14, v26, v15
	v_fmac_f32_e32 v25, v27, v18
	v_fma_f32 v30, -v16, v24, v17
	v_fma_f32 v27, -v20, v29, v22
	v_fmac_f32_e32 v26, v28, v19
	v_fma_f32 v12, -v12, v25, v13
	v_fmac_f32_e32 v24, v30, v21
	v_fmac_f32_e32 v29, v27, v23
	v_fma_f32 v13, -v14, v26, v15
	v_div_fmas_f32 v12, v12, v18, v25
	s_mov_b32 vcc_lo, s0
	v_fma_f32 v14, -v16, v24, v17
	v_fma_f32 v15, -v20, v29, v22
	v_div_fmas_f32 v13, v13, v19, v26
	s_mov_b32 vcc_lo, s2
	v_div_fixup_f32 v10, v12, s20, v10
	v_div_fmas_f32 v12, v15, v23, v29
	s_mov_b32 vcc_lo, s1
	v_div_fixup_f32 v11, v13, s20, v11
	v_div_fmas_f32 v13, v14, v21, v24
	v_bfe_u32 v14, v10, 16, 1
	v_div_fixup_f32 v4, v12, s20, v4
	v_cmp_o_f32_e32 vcc_lo, v10, v10
	v_bfe_u32 v12, v11, 16, 1
	v_div_fixup_f32 v5, v13, s20, v5
	v_add3_u32 v13, v10, v14, 0x7fff
	v_bfe_u32 v14, v4, 16, 1
	v_cmp_o_f32_e64 s0, v11, v11
	v_add3_u32 v12, v11, v12, 0x7fff
	v_bfe_u32 v15, v5, 16, 1
	v_lshrrev_b32_e32 v13, 16, v13
	v_add3_u32 v14, v4, v14, 0x7fff
	v_cmp_o_f32_e64 s1, v4, v4
	v_and_b32_e32 v10, 0xffff0000, v12
	v_add3_u32 v12, v5, v15, 0x7fff
	v_cndmask_b32_e32 v4, 0x7fc0, v13, vcc_lo
	v_lshrrev_b32_e32 v11, 16, v14
	v_cmp_o_f32_e32 vcc_lo, v5, v5
	v_cndmask_b32_e64 v10, 0x7fc00000, v10, s0
	v_and_b32_e32 v12, 0xffff0000, v12
	v_cmp_le_i64_e64 s0, s[12:13], v[8:9]
	v_cndmask_b32_e64 v5, 0x7fc0, v11, s1
	v_or_b32_e32 v4, v4, v10
	v_cndmask_b32_e32 v11, 0x7fc00000, v12, vcc_lo
	v_add_co_u32 v2, vcc_lo, v2, s5
	v_add_co_ci_u32_e64 v3, null, 0, v3, vcc_lo
	v_or3_b32 v5, 0, v5, v11
	v_or3_b32 v4, v4, 0, 0
	s_or_b32 s3, s0, s3
	global_store_dwordx2 v[6:7], v[4:5], off
	s_andn2_b32 exec_lo, exec_lo, s3
	s_cbranch_execnz .LBB71_24
.LBB71_25:
	s_endpgm
	.section	.rodata,"a",@progbits
	.p2align	6, 0x0
	.amdhsa_kernel _ZN2at6native12_GLOBAL__N_125multi_tensor_apply_kernelINS1_28TensorListScalarListMetadataIfLi2EEENS1_25BinaryOpScalarListFunctorIN3c108BFloat16ELi2ELi1ELi1EEEJSt7dividesIfEEEEvT_T0_DpT1_
		.amdhsa_group_segment_fixed_size 0
		.amdhsa_private_segment_fixed_size 0
		.amdhsa_kernarg_size 3656
		.amdhsa_user_sgpr_count 6
		.amdhsa_user_sgpr_private_segment_buffer 1
		.amdhsa_user_sgpr_dispatch_ptr 0
		.amdhsa_user_sgpr_queue_ptr 0
		.amdhsa_user_sgpr_kernarg_segment_ptr 1
		.amdhsa_user_sgpr_dispatch_id 0
		.amdhsa_user_sgpr_flat_scratch_init 0
		.amdhsa_user_sgpr_private_segment_size 0
		.amdhsa_wavefront_size32 1
		.amdhsa_uses_dynamic_stack 0
		.amdhsa_system_sgpr_private_segment_wavefront_offset 0
		.amdhsa_system_sgpr_workgroup_id_x 1
		.amdhsa_system_sgpr_workgroup_id_y 0
		.amdhsa_system_sgpr_workgroup_id_z 0
		.amdhsa_system_sgpr_workgroup_info 0
		.amdhsa_system_vgpr_workitem_id 0
		.amdhsa_next_free_vgpr 33
		.amdhsa_next_free_sgpr 24
		.amdhsa_reserve_vcc 1
		.amdhsa_reserve_flat_scratch 0
		.amdhsa_float_round_mode_32 0
		.amdhsa_float_round_mode_16_64 0
		.amdhsa_float_denorm_mode_32 3
		.amdhsa_float_denorm_mode_16_64 3
		.amdhsa_dx10_clamp 1
		.amdhsa_ieee_mode 1
		.amdhsa_fp16_overflow 0
		.amdhsa_workgroup_processor_mode 1
		.amdhsa_memory_ordered 1
		.amdhsa_forward_progress 1
		.amdhsa_shared_vgpr_count 0
		.amdhsa_exception_fp_ieee_invalid_op 0
		.amdhsa_exception_fp_denorm_src 0
		.amdhsa_exception_fp_ieee_div_zero 0
		.amdhsa_exception_fp_ieee_overflow 0
		.amdhsa_exception_fp_ieee_underflow 0
		.amdhsa_exception_fp_ieee_inexact 0
		.amdhsa_exception_int_div_zero 0
	.end_amdhsa_kernel
	.section	.text._ZN2at6native12_GLOBAL__N_125multi_tensor_apply_kernelINS1_28TensorListScalarListMetadataIfLi2EEENS1_25BinaryOpScalarListFunctorIN3c108BFloat16ELi2ELi1ELi1EEEJSt7dividesIfEEEEvT_T0_DpT1_,"axG",@progbits,_ZN2at6native12_GLOBAL__N_125multi_tensor_apply_kernelINS1_28TensorListScalarListMetadataIfLi2EEENS1_25BinaryOpScalarListFunctorIN3c108BFloat16ELi2ELi1ELi1EEEJSt7dividesIfEEEEvT_T0_DpT1_,comdat
.Lfunc_end71:
	.size	_ZN2at6native12_GLOBAL__N_125multi_tensor_apply_kernelINS1_28TensorListScalarListMetadataIfLi2EEENS1_25BinaryOpScalarListFunctorIN3c108BFloat16ELi2ELi1ELi1EEEJSt7dividesIfEEEEvT_T0_DpT1_, .Lfunc_end71-_ZN2at6native12_GLOBAL__N_125multi_tensor_apply_kernelINS1_28TensorListScalarListMetadataIfLi2EEENS1_25BinaryOpScalarListFunctorIN3c108BFloat16ELi2ELi1ELi1EEEJSt7dividesIfEEEEvT_T0_DpT1_
                                        ; -- End function
	.set _ZN2at6native12_GLOBAL__N_125multi_tensor_apply_kernelINS1_28TensorListScalarListMetadataIfLi2EEENS1_25BinaryOpScalarListFunctorIN3c108BFloat16ELi2ELi1ELi1EEEJSt7dividesIfEEEEvT_T0_DpT1_.num_vgpr, 33
	.set _ZN2at6native12_GLOBAL__N_125multi_tensor_apply_kernelINS1_28TensorListScalarListMetadataIfLi2EEENS1_25BinaryOpScalarListFunctorIN3c108BFloat16ELi2ELi1ELi1EEEJSt7dividesIfEEEEvT_T0_DpT1_.num_agpr, 0
	.set _ZN2at6native12_GLOBAL__N_125multi_tensor_apply_kernelINS1_28TensorListScalarListMetadataIfLi2EEENS1_25BinaryOpScalarListFunctorIN3c108BFloat16ELi2ELi1ELi1EEEJSt7dividesIfEEEEvT_T0_DpT1_.numbered_sgpr, 24
	.set _ZN2at6native12_GLOBAL__N_125multi_tensor_apply_kernelINS1_28TensorListScalarListMetadataIfLi2EEENS1_25BinaryOpScalarListFunctorIN3c108BFloat16ELi2ELi1ELi1EEEJSt7dividesIfEEEEvT_T0_DpT1_.num_named_barrier, 0
	.set _ZN2at6native12_GLOBAL__N_125multi_tensor_apply_kernelINS1_28TensorListScalarListMetadataIfLi2EEENS1_25BinaryOpScalarListFunctorIN3c108BFloat16ELi2ELi1ELi1EEEJSt7dividesIfEEEEvT_T0_DpT1_.private_seg_size, 0
	.set _ZN2at6native12_GLOBAL__N_125multi_tensor_apply_kernelINS1_28TensorListScalarListMetadataIfLi2EEENS1_25BinaryOpScalarListFunctorIN3c108BFloat16ELi2ELi1ELi1EEEJSt7dividesIfEEEEvT_T0_DpT1_.uses_vcc, 1
	.set _ZN2at6native12_GLOBAL__N_125multi_tensor_apply_kernelINS1_28TensorListScalarListMetadataIfLi2EEENS1_25BinaryOpScalarListFunctorIN3c108BFloat16ELi2ELi1ELi1EEEJSt7dividesIfEEEEvT_T0_DpT1_.uses_flat_scratch, 0
	.set _ZN2at6native12_GLOBAL__N_125multi_tensor_apply_kernelINS1_28TensorListScalarListMetadataIfLi2EEENS1_25BinaryOpScalarListFunctorIN3c108BFloat16ELi2ELi1ELi1EEEJSt7dividesIfEEEEvT_T0_DpT1_.has_dyn_sized_stack, 0
	.set _ZN2at6native12_GLOBAL__N_125multi_tensor_apply_kernelINS1_28TensorListScalarListMetadataIfLi2EEENS1_25BinaryOpScalarListFunctorIN3c108BFloat16ELi2ELi1ELi1EEEJSt7dividesIfEEEEvT_T0_DpT1_.has_recursion, 0
	.set _ZN2at6native12_GLOBAL__N_125multi_tensor_apply_kernelINS1_28TensorListScalarListMetadataIfLi2EEENS1_25BinaryOpScalarListFunctorIN3c108BFloat16ELi2ELi1ELi1EEEJSt7dividesIfEEEEvT_T0_DpT1_.has_indirect_call, 0
	.section	.AMDGPU.csdata,"",@progbits
; Kernel info:
; codeLenInByte = 2364
; TotalNumSgprs: 26
; NumVgprs: 33
; ScratchSize: 0
; MemoryBound: 0
; FloatMode: 240
; IeeeMode: 1
; LDSByteSize: 0 bytes/workgroup (compile time only)
; SGPRBlocks: 0
; VGPRBlocks: 4
; NumSGPRsForWavesPerEU: 26
; NumVGPRsForWavesPerEU: 33
; Occupancy: 16
; WaveLimiterHint : 0
; COMPUTE_PGM_RSRC2:SCRATCH_EN: 0
; COMPUTE_PGM_RSRC2:USER_SGPR: 6
; COMPUTE_PGM_RSRC2:TRAP_HANDLER: 0
; COMPUTE_PGM_RSRC2:TGID_X_EN: 1
; COMPUTE_PGM_RSRC2:TGID_Y_EN: 0
; COMPUTE_PGM_RSRC2:TGID_Z_EN: 0
; COMPUTE_PGM_RSRC2:TIDIG_COMP_CNT: 0
	.section	.text._ZN2at6native12_GLOBAL__N_125multi_tensor_apply_kernelINS1_28TensorListScalarListMetadataIhLi1EEENS1_25BinaryOpScalarListFunctorIhLi1ELi1ELi0EEEJNS1_13power_functorIhEEEEEvT_T0_DpT1_,"axG",@progbits,_ZN2at6native12_GLOBAL__N_125multi_tensor_apply_kernelINS1_28TensorListScalarListMetadataIhLi1EEENS1_25BinaryOpScalarListFunctorIhLi1ELi1ELi0EEEJNS1_13power_functorIhEEEEEvT_T0_DpT1_,comdat
	.globl	_ZN2at6native12_GLOBAL__N_125multi_tensor_apply_kernelINS1_28TensorListScalarListMetadataIhLi1EEENS1_25BinaryOpScalarListFunctorIhLi1ELi1ELi0EEEJNS1_13power_functorIhEEEEEvT_T0_DpT1_ ; -- Begin function _ZN2at6native12_GLOBAL__N_125multi_tensor_apply_kernelINS1_28TensorListScalarListMetadataIhLi1EEENS1_25BinaryOpScalarListFunctorIhLi1ELi1ELi0EEEJNS1_13power_functorIhEEEEEvT_T0_DpT1_
	.p2align	8
	.type	_ZN2at6native12_GLOBAL__N_125multi_tensor_apply_kernelINS1_28TensorListScalarListMetadataIhLi1EEENS1_25BinaryOpScalarListFunctorIhLi1ELi1ELi0EEEJNS1_13power_functorIhEEEEEvT_T0_DpT1_,@function
_ZN2at6native12_GLOBAL__N_125multi_tensor_apply_kernelINS1_28TensorListScalarListMetadataIhLi1EEENS1_25BinaryOpScalarListFunctorIhLi1ELi1ELi0EEEJNS1_13power_functorIhEEEEEvT_T0_DpT1_: ; @_ZN2at6native12_GLOBAL__N_125multi_tensor_apply_kernelINS1_28TensorListScalarListMetadataIhLi1EEENS1_25BinaryOpScalarListFunctorIhLi1ELi1ELi0EEEJNS1_13power_functorIhEEEEEvT_T0_DpT1_
; %bb.0:
	v_mov_b32_e32 v1, s6
	s_mul_i32 s1, s6, 3
	s_mul_hi_u32 s2, s6, 3
	global_load_ubyte v3, v1, s[4:5] offset:1632
	s_waitcnt vmcnt(0)
	v_add_co_u32 v1, s0, s4, v3
	v_add_co_ci_u32_e64 v2, null, s5, 0, s0
	s_add_u32 s0, s4, s6
	s_addc_u32 s3, s5, 0
	s_add_u32 s0, s0, s1
	global_load_ubyte v1, v[1:2], off offset:1536
	v_readfirstlane_b32 s6, v3
	s_addc_u32 s1, s3, s2
	s_load_dword s0, s[0:1], 0x7a0
	s_lshl_b32 s1, s6, 3
	s_clause 0x1
	s_load_dwordx2 s[2:3], s[4:5], s1 offset:0x0
	s_load_dwordx2 s[8:9], s[4:5], s1 offset:0x300
	s_waitcnt lgkmcnt(0)
	s_ashr_i32 s1, s0, 31
	s_lshl_b64 s[0:1], s[0:1], 16
	s_add_u32 s14, s2, s0
	s_addc_u32 s15, s3, s1
	s_sub_u32 s6, s8, s0
	s_subb_u32 s7, s9, s1
	s_or_b32 s0, s8, s14
	s_and_b32 s0, s0, 3
	s_cmp_eq_u32 s0, 0
	s_waitcnt vmcnt(0)
	v_readfirstlane_b32 s16, v1
	s_cbranch_scc1 .LBB72_33
; %bb.1:
	v_cmp_lt_i64_e64 s0, s[6:7], 1
	s_and_b32 vcc_lo, exec_lo, s0
	s_cbranch_vccnz .LBB72_32
; %bb.2:
	s_load_dword s0, s[4:5], 0xcb4
	v_cmp_gt_i64_e64 s1, 0x10000, s[6:7]
	v_cmp_gt_u64_e64 s2, 0x10000, s[6:7]
	s_mov_b64 s[12:13], 0
	s_and_b32 s1, s1, exec_lo
	s_cselect_b32 s9, s7, 0
	s_cselect_b32 s8, s6, 0x10000
	s_waitcnt lgkmcnt(0)
	s_and_b32 s17, s0, 0xffff
	s_and_b32 s0, s2, exec_lo
	s_cselect_b32 s11, s7, 0
	s_cselect_b32 s10, s6, 0x10000
	s_and_b32 s0, s16, 0xff
	s_lshl_b32 s18, s17, 1
	s_cmp_lg_u32 s0, 0
	s_mul_i32 s20, s17, 3
	s_cselect_b32 s19, -1, 0
	s_lshl_b32 s21, s17, 2
	s_branch .LBB72_4
.LBB72_3:                               ;   in Loop: Header=BB72_4 Depth=1
	s_or_b32 exec_lo, exec_lo, s0
	s_add_u32 s12, s12, s21
	s_addc_u32 s13, s13, 0
	v_cmp_ge_i64_e64 s0, s[12:13], s[8:9]
	s_and_b32 vcc_lo, exec_lo, s0
	s_cbranch_vccnz .LBB72_32
.LBB72_4:                               ; =>This Loop Header: Depth=1
                                        ;     Child Loop BB72_14 Depth 2
                                        ;     Child Loop BB72_17 Depth 2
	;; [unrolled: 1-line block ×4, first 2 shown]
	v_add_co_u32 v1, s0, s12, v0
	v_add_co_ci_u32_e64 v2, null, s13, 0, s0
	v_mov_b32_e32 v12, 0
	v_cmp_gt_u64_e64 s0, s[10:11], v[1:2]
	s_and_saveexec_b32 s1, s0
	s_cbranch_execz .LBB72_6
; %bb.5:                                ;   in Loop: Header=BB72_4 Depth=1
	v_add_co_u32 v3, vcc_lo, s14, v1
	v_add_co_ci_u32_e64 v4, null, s15, v2, vcc_lo
	global_load_ubyte v12, v[3:4], off
.LBB72_6:                               ;   in Loop: Header=BB72_4 Depth=1
	s_or_b32 exec_lo, exec_lo, s1
	v_add_co_u32 v3, vcc_lo, v1, s17
	v_add_co_ci_u32_e64 v4, null, 0, v2, vcc_lo
	v_mov_b32_e32 v10, 0
	v_mov_b32_e32 v13, 0
	v_cmp_gt_u64_e64 s1, s[10:11], v[3:4]
	s_and_saveexec_b32 s2, s1
	s_cbranch_execz .LBB72_8
; %bb.7:                                ;   in Loop: Header=BB72_4 Depth=1
	v_add_co_u32 v5, vcc_lo, s14, v3
	v_add_co_ci_u32_e64 v6, null, s15, v4, vcc_lo
	global_load_ubyte v13, v[5:6], off
.LBB72_8:                               ;   in Loop: Header=BB72_4 Depth=1
	s_or_b32 exec_lo, exec_lo, s2
	v_add_co_u32 v5, vcc_lo, v1, s18
	v_add_co_ci_u32_e64 v6, null, 0, v2, vcc_lo
	v_cmp_gt_u64_e64 s2, s[10:11], v[5:6]
	s_and_saveexec_b32 s3, s2
	s_cbranch_execz .LBB72_10
; %bb.9:                                ;   in Loop: Header=BB72_4 Depth=1
	v_add_co_u32 v7, vcc_lo, s14, v5
	v_add_co_ci_u32_e64 v8, null, s15, v6, vcc_lo
	global_load_ubyte v10, v[7:8], off
.LBB72_10:                              ;   in Loop: Header=BB72_4 Depth=1
	s_or_b32 exec_lo, exec_lo, s3
	v_add_co_u32 v7, vcc_lo, v1, s20
	v_add_co_ci_u32_e64 v8, null, 0, v2, vcc_lo
	v_mov_b32_e32 v11, 0
	v_cmp_gt_u64_e64 s3, s[10:11], v[7:8]
	s_and_saveexec_b32 s22, s3
	s_cbranch_execz .LBB72_12
; %bb.11:                               ;   in Loop: Header=BB72_4 Depth=1
	v_add_co_u32 v14, vcc_lo, s14, v7
	v_add_co_ci_u32_e64 v15, null, s15, v8, vcc_lo
	global_load_ubyte v11, v[14:15], off
.LBB72_12:                              ;   in Loop: Header=BB72_4 Depth=1
	s_or_b32 exec_lo, exec_lo, s22
	v_mov_b32_e32 v9, 1
	s_andn2_b32 vcc_lo, exec_lo, s19
	s_cbranch_vccnz .LBB72_15
; %bb.13:                               ;   in Loop: Header=BB72_4 Depth=1
	s_mov_b32 s22, s16
.LBB72_14:                              ;   Parent Loop BB72_4 Depth=1
                                        ; =>  This Inner Loop Header: Depth=2
	s_and_b32 s23, s22, 0xff
	s_bitcmp1_b32 s22, 0
	s_cselect_b32 vcc_lo, -1, 0
	s_bfe_u32 s22, s22, 0x70001
	s_waitcnt vmcnt(0)
	v_cndmask_b32_e32 v14, 1, v12, vcc_lo
	v_mul_lo_u16 v12, v12, v12
	s_cmp_gt_u32 s23, 1
	v_mul_lo_u16 v9, v14, v9
	s_cbranch_scc1 .LBB72_14
.LBB72_15:                              ;   in Loop: Header=BB72_4 Depth=1
	s_andn2_b32 vcc_lo, exec_lo, s19
	s_cbranch_vccnz .LBB72_21
; %bb.16:                               ;   in Loop: Header=BB72_4 Depth=1
	s_waitcnt vmcnt(0)
	v_mov_b32_e32 v12, 1
	s_mov_b32 s22, s16
.LBB72_17:                              ;   Parent Loop BB72_4 Depth=1
                                        ; =>  This Inner Loop Header: Depth=2
	s_and_b32 s23, s22, 0xff
	s_bitcmp1_b32 s22, 0
	s_cselect_b32 vcc_lo, -1, 0
	s_bfe_u32 s22, s22, 0x70001
	v_cndmask_b32_e32 v14, 1, v13, vcc_lo
	v_mul_lo_u16 v13, v13, v13
	s_cmp_gt_u32 s23, 1
	v_mul_lo_u16 v12, v14, v12
	s_cbranch_scc1 .LBB72_17
; %bb.18:                               ;   in Loop: Header=BB72_4 Depth=1
	v_mov_b32_e32 v13, 1
	s_mov_b32 s22, s16
.LBB72_19:                              ;   Parent Loop BB72_4 Depth=1
                                        ; =>  This Inner Loop Header: Depth=2
	s_and_b32 s23, s22, 0xff
	s_bitcmp1_b32 s22, 0
	s_cselect_b32 vcc_lo, -1, 0
	s_bfe_u32 s22, s22, 0x70001
	v_cndmask_b32_e32 v14, 1, v10, vcc_lo
	v_mul_lo_u16 v10, v10, v10
	s_cmp_gt_u32 s23, 1
	v_mul_lo_u16 v13, v14, v13
	s_cbranch_scc1 .LBB72_19
; %bb.20:                               ;   in Loop: Header=BB72_4 Depth=1
	v_mov_b32_e32 v10, 1
	s_andn2_b32 vcc_lo, exec_lo, s19
	s_cbranch_vccz .LBB72_22
	s_branch .LBB72_24
.LBB72_21:                              ;   in Loop: Header=BB72_4 Depth=1
	s_waitcnt vmcnt(0)
	v_mov_b32_e32 v13, 1
	v_mov_b32_e32 v12, 1
	;; [unrolled: 1-line block ×3, first 2 shown]
	s_andn2_b32 vcc_lo, exec_lo, s19
	s_cbranch_vccnz .LBB72_24
.LBB72_22:                              ;   in Loop: Header=BB72_4 Depth=1
	s_mov_b32 s22, s16
.LBB72_23:                              ;   Parent Loop BB72_4 Depth=1
                                        ; =>  This Inner Loop Header: Depth=2
	s_and_b32 s23, s22, 0xff
	s_bitcmp1_b32 s22, 0
	s_cselect_b32 vcc_lo, -1, 0
	s_bfe_u32 s22, s22, 0x70001
	v_cndmask_b32_e32 v14, 1, v11, vcc_lo
	v_mul_lo_u16 v11, v11, v11
	s_cmp_gt_u32 s23, 1
	v_mul_lo_u16 v10, v14, v10
	s_cbranch_scc1 .LBB72_23
.LBB72_24:                              ;   in Loop: Header=BB72_4 Depth=1
	s_and_saveexec_b32 s22, s0
	s_xor_b32 s0, exec_lo, s22
	s_cbranch_execz .LBB72_26
; %bb.25:                               ;   in Loop: Header=BB72_4 Depth=1
	v_add_co_u32 v1, vcc_lo, s14, v1
	v_add_co_ci_u32_e64 v2, null, s15, v2, vcc_lo
	global_store_byte v[1:2], v9, off
.LBB72_26:                              ;   in Loop: Header=BB72_4 Depth=1
	s_or_b32 exec_lo, exec_lo, s0
	s_and_saveexec_b32 s0, s1
	s_cbranch_execnz .LBB72_29
; %bb.27:                               ;   in Loop: Header=BB72_4 Depth=1
	s_or_b32 exec_lo, exec_lo, s0
	s_and_saveexec_b32 s0, s2
	s_cbranch_execnz .LBB72_30
.LBB72_28:                              ;   in Loop: Header=BB72_4 Depth=1
	s_or_b32 exec_lo, exec_lo, s0
	s_and_saveexec_b32 s0, s3
	s_cbranch_execz .LBB72_3
	s_branch .LBB72_31
.LBB72_29:                              ;   in Loop: Header=BB72_4 Depth=1
	v_add_co_u32 v1, vcc_lo, s14, v3
	v_add_co_ci_u32_e64 v2, null, s15, v4, vcc_lo
	global_store_byte v[1:2], v12, off
	s_or_b32 exec_lo, exec_lo, s0
	s_and_saveexec_b32 s0, s2
	s_cbranch_execz .LBB72_28
.LBB72_30:                              ;   in Loop: Header=BB72_4 Depth=1
	v_add_co_u32 v1, vcc_lo, s14, v5
	v_add_co_ci_u32_e64 v2, null, s15, v6, vcc_lo
	global_store_byte v[1:2], v13, off
	s_or_b32 exec_lo, exec_lo, s0
	s_and_saveexec_b32 s0, s3
	s_cbranch_execz .LBB72_3
.LBB72_31:                              ;   in Loop: Header=BB72_4 Depth=1
	v_add_co_u32 v1, vcc_lo, s14, v7
	v_add_co_ci_u32_e64 v2, null, s15, v8, vcc_lo
	global_store_byte v[1:2], v10, off
	s_branch .LBB72_3
.LBB72_32:
	s_cbranch_execz .LBB72_34
	s_branch .LBB72_49
.LBB72_33:
.LBB72_34:
	v_cmp_gt_i64_e64 s0, 0x10000, s[6:7]
	v_mov_b32_e32 v2, 0
	v_lshlrev_b32_e32 v1, 2, v0
	s_mov_b32 s2, 0
	s_mov_b32 s3, exec_lo
	s_and_b32 s0, s0, exec_lo
	s_cselect_b32 s1, s7, 0
	s_cselect_b32 s0, s6, 0x10000
	v_cmpx_gt_i64_e64 s[0:1], v[1:2]
	s_cbranch_execz .LBB72_49
; %bb.35:
	s_load_dword s4, s[4:5], 0xcb4
	s_and_b32 s3, s16, 0xff
	v_mov_b32_e32 v1, v2
	s_cmp_lg_u32 s3, 0
	s_cselect_b32 s3, -1, 0
	s_waitcnt lgkmcnt(0)
	s_and_b32 s4, s4, 0xffff
	s_branch .LBB72_38
.LBB72_36:                              ;   in Loop: Header=BB72_38 Depth=1
	s_waitcnt vmcnt(0)
	v_mov_b32_e32 v6, 1
	v_mov_b32_e32 v7, 1
.LBB72_37:                              ;   in Loop: Header=BB72_38 Depth=1
	v_add_co_u32 v0, vcc_lo, v0, s4
	v_add_co_ci_u32_e64 v1, null, 0, v1, vcc_lo
	v_perm_b32 v4, v4, v5, 0xc0c0004
	v_perm_b32 v5, v7, v6, 0xc0c0004
	v_lshlrev_b64 v[8:9], 2, v[0:1]
	v_lshl_or_b32 v4, v5, 16, v4
	v_cmp_le_i64_e32 vcc_lo, s[0:1], v[8:9]
	global_store_dword v[2:3], v4, off
	s_or_b32 s2, vcc_lo, s2
	s_andn2_b32 exec_lo, exec_lo, s2
	s_cbranch_execz .LBB72_49
.LBB72_38:                              ; =>This Loop Header: Depth=1
                                        ;     Child Loop BB72_40 Depth 2
                                        ;     Child Loop BB72_42 Depth 2
	;; [unrolled: 1-line block ×4, first 2 shown]
	v_lshlrev_b64 v[2:3], 2, v[0:1]
	v_add_co_u32 v2, vcc_lo, s14, v2
	v_add_co_ci_u32_e64 v3, null, s15, v3, vcc_lo
	s_andn2_b32 vcc_lo, exec_lo, s3
	global_load_dword v6, v[2:3], off
	s_cbranch_vccnz .LBB72_44
; %bb.39:                               ;   in Loop: Header=BB72_38 Depth=1
	v_mov_b32_e32 v4, 1
	s_waitcnt vmcnt(0)
	v_mov_b32_e32 v5, v6
	s_mov_b32 s5, s16
.LBB72_40:                              ;   Parent Loop BB72_38 Depth=1
                                        ; =>  This Inner Loop Header: Depth=2
	s_and_b32 s6, s5, 0xff
	s_bitcmp1_b32 s5, 0
	s_cselect_b32 vcc_lo, -1, 0
	s_bfe_u32 s5, s5, 0x70001
	v_cndmask_b32_e32 v7, 1, v5, vcc_lo
	v_mul_lo_u16 v5, v5, v5
	s_cmp_gt_u32 s6, 1
	v_mul_lo_u16 v4, v7, v4
	s_cbranch_scc1 .LBB72_40
; %bb.41:                               ;   in Loop: Header=BB72_38 Depth=1
	v_lshrrev_b32_e32 v7, 8, v6
	v_mov_b32_e32 v5, 1
	s_mov_b32 s5, s16
.LBB72_42:                              ;   Parent Loop BB72_38 Depth=1
                                        ; =>  This Inner Loop Header: Depth=2
	s_and_b32 s6, s5, 0xff
	s_bitcmp1_b32 s5, 0
	s_cselect_b32 vcc_lo, -1, 0
	s_bfe_u32 s5, s5, 0x70001
	v_cndmask_b32_e32 v8, 1, v7, vcc_lo
	v_mul_lo_u16 v7, v7, v7
	s_cmp_gt_u32 s6, 1
	v_mul_lo_u16 v5, v8, v5
	s_cbranch_scc1 .LBB72_42
; %bb.43:                               ;   in Loop: Header=BB72_38 Depth=1
	s_andn2_b32 vcc_lo, exec_lo, s3
	s_cbranch_vccz .LBB72_45
	s_branch .LBB72_36
.LBB72_44:                              ;   in Loop: Header=BB72_38 Depth=1
	v_mov_b32_e32 v5, 1
	v_mov_b32_e32 v4, 1
	s_andn2_b32 vcc_lo, exec_lo, s3
	s_cbranch_vccnz .LBB72_36
.LBB72_45:                              ;   in Loop: Header=BB72_38 Depth=1
	s_waitcnt vmcnt(0)
	v_lshrrev_b32_e32 v8, 16, v6
	v_mov_b32_e32 v7, 1
	s_mov_b32 s5, s16
.LBB72_46:                              ;   Parent Loop BB72_38 Depth=1
                                        ; =>  This Inner Loop Header: Depth=2
	s_and_b32 s6, s5, 0xff
	s_bitcmp1_b32 s5, 0
	s_cselect_b32 vcc_lo, -1, 0
	s_bfe_u32 s5, s5, 0x70001
	v_cndmask_b32_e32 v9, 1, v8, vcc_lo
	v_mul_lo_u16 v8, v8, v8
	s_cmp_gt_u32 s6, 1
	v_mul_lo_u16 v7, v9, v7
	s_cbranch_scc1 .LBB72_46
; %bb.47:                               ;   in Loop: Header=BB72_38 Depth=1
	v_lshrrev_b32_e32 v8, 24, v6
	v_mov_b32_e32 v6, 1
	s_mov_b32 s5, s16
.LBB72_48:                              ;   Parent Loop BB72_38 Depth=1
                                        ; =>  This Inner Loop Header: Depth=2
	s_and_b32 s6, s5, 0xff
	s_bitcmp1_b32 s5, 0
	s_cselect_b32 vcc_lo, -1, 0
	s_bfe_u32 s5, s5, 0x70001
	v_cndmask_b32_e32 v9, 1, v8, vcc_lo
	v_mul_lo_u16 v8, v8, v8
	s_cmp_gt_u32 s6, 1
	v_mul_lo_u16 v6, v9, v6
	s_cbranch_scc1 .LBB72_48
	s_branch .LBB72_37
.LBB72_49:
	s_endpgm
	.section	.rodata,"a",@progbits
	.p2align	6, 0x0
	.amdhsa_kernel _ZN2at6native12_GLOBAL__N_125multi_tensor_apply_kernelINS1_28TensorListScalarListMetadataIhLi1EEENS1_25BinaryOpScalarListFunctorIhLi1ELi1ELi0EEEJNS1_13power_functorIhEEEEEvT_T0_DpT1_
		.amdhsa_group_segment_fixed_size 0
		.amdhsa_private_segment_fixed_size 0
		.amdhsa_kernarg_size 3496
		.amdhsa_user_sgpr_count 6
		.amdhsa_user_sgpr_private_segment_buffer 1
		.amdhsa_user_sgpr_dispatch_ptr 0
		.amdhsa_user_sgpr_queue_ptr 0
		.amdhsa_user_sgpr_kernarg_segment_ptr 1
		.amdhsa_user_sgpr_dispatch_id 0
		.amdhsa_user_sgpr_flat_scratch_init 0
		.amdhsa_user_sgpr_private_segment_size 0
		.amdhsa_wavefront_size32 1
		.amdhsa_uses_dynamic_stack 0
		.amdhsa_system_sgpr_private_segment_wavefront_offset 0
		.amdhsa_system_sgpr_workgroup_id_x 1
		.amdhsa_system_sgpr_workgroup_id_y 0
		.amdhsa_system_sgpr_workgroup_id_z 0
		.amdhsa_system_sgpr_workgroup_info 0
		.amdhsa_system_vgpr_workitem_id 0
		.amdhsa_next_free_vgpr 16
		.amdhsa_next_free_sgpr 24
		.amdhsa_reserve_vcc 1
		.amdhsa_reserve_flat_scratch 0
		.amdhsa_float_round_mode_32 0
		.amdhsa_float_round_mode_16_64 0
		.amdhsa_float_denorm_mode_32 3
		.amdhsa_float_denorm_mode_16_64 3
		.amdhsa_dx10_clamp 1
		.amdhsa_ieee_mode 1
		.amdhsa_fp16_overflow 0
		.amdhsa_workgroup_processor_mode 1
		.amdhsa_memory_ordered 1
		.amdhsa_forward_progress 1
		.amdhsa_shared_vgpr_count 0
		.amdhsa_exception_fp_ieee_invalid_op 0
		.amdhsa_exception_fp_denorm_src 0
		.amdhsa_exception_fp_ieee_div_zero 0
		.amdhsa_exception_fp_ieee_overflow 0
		.amdhsa_exception_fp_ieee_underflow 0
		.amdhsa_exception_fp_ieee_inexact 0
		.amdhsa_exception_int_div_zero 0
	.end_amdhsa_kernel
	.section	.text._ZN2at6native12_GLOBAL__N_125multi_tensor_apply_kernelINS1_28TensorListScalarListMetadataIhLi1EEENS1_25BinaryOpScalarListFunctorIhLi1ELi1ELi0EEEJNS1_13power_functorIhEEEEEvT_T0_DpT1_,"axG",@progbits,_ZN2at6native12_GLOBAL__N_125multi_tensor_apply_kernelINS1_28TensorListScalarListMetadataIhLi1EEENS1_25BinaryOpScalarListFunctorIhLi1ELi1ELi0EEEJNS1_13power_functorIhEEEEEvT_T0_DpT1_,comdat
.Lfunc_end72:
	.size	_ZN2at6native12_GLOBAL__N_125multi_tensor_apply_kernelINS1_28TensorListScalarListMetadataIhLi1EEENS1_25BinaryOpScalarListFunctorIhLi1ELi1ELi0EEEJNS1_13power_functorIhEEEEEvT_T0_DpT1_, .Lfunc_end72-_ZN2at6native12_GLOBAL__N_125multi_tensor_apply_kernelINS1_28TensorListScalarListMetadataIhLi1EEENS1_25BinaryOpScalarListFunctorIhLi1ELi1ELi0EEEJNS1_13power_functorIhEEEEEvT_T0_DpT1_
                                        ; -- End function
	.set _ZN2at6native12_GLOBAL__N_125multi_tensor_apply_kernelINS1_28TensorListScalarListMetadataIhLi1EEENS1_25BinaryOpScalarListFunctorIhLi1ELi1ELi0EEEJNS1_13power_functorIhEEEEEvT_T0_DpT1_.num_vgpr, 16
	.set _ZN2at6native12_GLOBAL__N_125multi_tensor_apply_kernelINS1_28TensorListScalarListMetadataIhLi1EEENS1_25BinaryOpScalarListFunctorIhLi1ELi1ELi0EEEJNS1_13power_functorIhEEEEEvT_T0_DpT1_.num_agpr, 0
	.set _ZN2at6native12_GLOBAL__N_125multi_tensor_apply_kernelINS1_28TensorListScalarListMetadataIhLi1EEENS1_25BinaryOpScalarListFunctorIhLi1ELi1ELi0EEEJNS1_13power_functorIhEEEEEvT_T0_DpT1_.numbered_sgpr, 24
	.set _ZN2at6native12_GLOBAL__N_125multi_tensor_apply_kernelINS1_28TensorListScalarListMetadataIhLi1EEENS1_25BinaryOpScalarListFunctorIhLi1ELi1ELi0EEEJNS1_13power_functorIhEEEEEvT_T0_DpT1_.num_named_barrier, 0
	.set _ZN2at6native12_GLOBAL__N_125multi_tensor_apply_kernelINS1_28TensorListScalarListMetadataIhLi1EEENS1_25BinaryOpScalarListFunctorIhLi1ELi1ELi0EEEJNS1_13power_functorIhEEEEEvT_T0_DpT1_.private_seg_size, 0
	.set _ZN2at6native12_GLOBAL__N_125multi_tensor_apply_kernelINS1_28TensorListScalarListMetadataIhLi1EEENS1_25BinaryOpScalarListFunctorIhLi1ELi1ELi0EEEJNS1_13power_functorIhEEEEEvT_T0_DpT1_.uses_vcc, 1
	.set _ZN2at6native12_GLOBAL__N_125multi_tensor_apply_kernelINS1_28TensorListScalarListMetadataIhLi1EEENS1_25BinaryOpScalarListFunctorIhLi1ELi1ELi0EEEJNS1_13power_functorIhEEEEEvT_T0_DpT1_.uses_flat_scratch, 0
	.set _ZN2at6native12_GLOBAL__N_125multi_tensor_apply_kernelINS1_28TensorListScalarListMetadataIhLi1EEENS1_25BinaryOpScalarListFunctorIhLi1ELi1ELi0EEEJNS1_13power_functorIhEEEEEvT_T0_DpT1_.has_dyn_sized_stack, 0
	.set _ZN2at6native12_GLOBAL__N_125multi_tensor_apply_kernelINS1_28TensorListScalarListMetadataIhLi1EEENS1_25BinaryOpScalarListFunctorIhLi1ELi1ELi0EEEJNS1_13power_functorIhEEEEEvT_T0_DpT1_.has_recursion, 0
	.set _ZN2at6native12_GLOBAL__N_125multi_tensor_apply_kernelINS1_28TensorListScalarListMetadataIhLi1EEENS1_25BinaryOpScalarListFunctorIhLi1ELi1ELi0EEEJNS1_13power_functorIhEEEEEvT_T0_DpT1_.has_indirect_call, 0
	.section	.AMDGPU.csdata,"",@progbits
; Kernel info:
; codeLenInByte = 1580
; TotalNumSgprs: 26
; NumVgprs: 16
; ScratchSize: 0
; MemoryBound: 0
; FloatMode: 240
; IeeeMode: 1
; LDSByteSize: 0 bytes/workgroup (compile time only)
; SGPRBlocks: 0
; VGPRBlocks: 1
; NumSGPRsForWavesPerEU: 26
; NumVGPRsForWavesPerEU: 16
; Occupancy: 16
; WaveLimiterHint : 0
; COMPUTE_PGM_RSRC2:SCRATCH_EN: 0
; COMPUTE_PGM_RSRC2:USER_SGPR: 6
; COMPUTE_PGM_RSRC2:TRAP_HANDLER: 0
; COMPUTE_PGM_RSRC2:TGID_X_EN: 1
; COMPUTE_PGM_RSRC2:TGID_Y_EN: 0
; COMPUTE_PGM_RSRC2:TGID_Z_EN: 0
; COMPUTE_PGM_RSRC2:TIDIG_COMP_CNT: 0
	.section	.text._ZN2at6native12_GLOBAL__N_125multi_tensor_apply_kernelINS1_28TensorListScalarListMetadataIaLi1EEENS1_25BinaryOpScalarListFunctorIaLi1ELi1ELi0EEEJNS1_13power_functorIaEEEEEvT_T0_DpT1_,"axG",@progbits,_ZN2at6native12_GLOBAL__N_125multi_tensor_apply_kernelINS1_28TensorListScalarListMetadataIaLi1EEENS1_25BinaryOpScalarListFunctorIaLi1ELi1ELi0EEEJNS1_13power_functorIaEEEEEvT_T0_DpT1_,comdat
	.globl	_ZN2at6native12_GLOBAL__N_125multi_tensor_apply_kernelINS1_28TensorListScalarListMetadataIaLi1EEENS1_25BinaryOpScalarListFunctorIaLi1ELi1ELi0EEEJNS1_13power_functorIaEEEEEvT_T0_DpT1_ ; -- Begin function _ZN2at6native12_GLOBAL__N_125multi_tensor_apply_kernelINS1_28TensorListScalarListMetadataIaLi1EEENS1_25BinaryOpScalarListFunctorIaLi1ELi1ELi0EEEJNS1_13power_functorIaEEEEEvT_T0_DpT1_
	.p2align	8
	.type	_ZN2at6native12_GLOBAL__N_125multi_tensor_apply_kernelINS1_28TensorListScalarListMetadataIaLi1EEENS1_25BinaryOpScalarListFunctorIaLi1ELi1ELi0EEEJNS1_13power_functorIaEEEEEvT_T0_DpT1_,@function
_ZN2at6native12_GLOBAL__N_125multi_tensor_apply_kernelINS1_28TensorListScalarListMetadataIaLi1EEENS1_25BinaryOpScalarListFunctorIaLi1ELi1ELi0EEEJNS1_13power_functorIaEEEEEvT_T0_DpT1_: ; @_ZN2at6native12_GLOBAL__N_125multi_tensor_apply_kernelINS1_28TensorListScalarListMetadataIaLi1EEENS1_25BinaryOpScalarListFunctorIaLi1ELi1ELi0EEEJNS1_13power_functorIaEEEEEvT_T0_DpT1_
; %bb.0:
	v_mov_b32_e32 v1, s6
	s_mul_i32 s1, s6, 3
	s_mul_hi_u32 s2, s6, 3
	global_load_ubyte v3, v1, s[4:5] offset:1632
	s_waitcnt vmcnt(0)
	v_add_co_u32 v1, s0, s4, v3
	v_add_co_ci_u32_e64 v2, null, s5, 0, s0
	s_add_u32 s0, s4, s6
	s_addc_u32 s3, s5, 0
	s_add_u32 s0, s0, s1
	global_load_sbyte v1, v[1:2], off offset:1536
	v_readfirstlane_b32 s6, v3
	s_addc_u32 s1, s3, s2
	s_load_dword s0, s[0:1], 0x7a0
	s_lshl_b32 s1, s6, 3
	s_clause 0x1
	s_load_dwordx2 s[2:3], s[4:5], s1 offset:0x0
	s_load_dwordx2 s[10:11], s[4:5], s1 offset:0x300
	s_waitcnt lgkmcnt(0)
	s_ashr_i32 s1, s0, 31
	s_lshl_b64 s[0:1], s[0:1], 16
	s_add_u32 s7, s2, s0
	s_addc_u32 s16, s3, s1
	s_sub_u32 s8, s10, s0
	s_subb_u32 s9, s11, s1
	s_or_b32 s0, s10, s7
	s_and_b32 s0, s0, 3
	s_cmp_eq_u32 s0, 0
	s_waitcnt vmcnt(0)
	v_readfirstlane_b32 s17, v1
	s_cbranch_scc1 .LBB73_73
; %bb.1:
	v_cmp_lt_i64_e64 s0, s[8:9], 1
	s_and_b32 vcc_lo, exec_lo, s0
	s_cbranch_vccnz .LBB73_72
; %bb.2:
	s_load_dword s0, s[4:5], 0xcb4
	v_cmp_gt_i64_e64 s1, 0x10000, s[8:9]
	v_cmp_gt_u64_e64 s2, 0x10000, s[8:9]
	s_sext_i32_i16 s3, s17
	v_mov_b32_e32 v9, 0xfe
	v_mov_b32_e32 v10, 1
	s_mov_b64 s[14:15], 0
	s_and_b32 s1, s1, exec_lo
	s_cselect_b32 s11, s9, 0
	s_cselect_b32 s10, s8, 0x10000
	s_waitcnt lgkmcnt(0)
	s_and_b32 s18, s0, 0xffff
	s_and_b32 s0, s2, exec_lo
	s_cselect_b32 s13, s9, 0
	s_cselect_b32 s12, s8, 0x10000
	s_lshl_b32 s19, s18, 1
	s_cmp_gt_i32 s3, -1
	s_mul_i32 s21, s18, 3
	s_cselect_b32 s20, -1, 0
	s_and_b32 s0, 0xffff, s17
	s_cmp_lg_u32 s0, 0
	s_cselect_b32 s22, -1, 0
	s_bitcmp0_b32 s17, 0
	v_cndmask_b32_e64 v11, 0, 1, s22
	s_cselect_b32 s23, 1, 0xffff
	s_lshl_b32 s24, s18, 2
	s_branch .LBB73_4
.LBB73_3:                               ;   in Loop: Header=BB73_4 Depth=1
	s_or_b32 exec_lo, exec_lo, s0
	s_add_u32 s14, s14, s24
	s_addc_u32 s15, s15, 0
	v_cmp_ge_i64_e64 s0, s[14:15], s[10:11]
	s_and_b32 vcc_lo, exec_lo, s0
	s_cbranch_vccnz .LBB73_72
.LBB73_4:                               ; =>This Loop Header: Depth=1
                                        ;     Child Loop BB73_15 Depth 2
                                        ;     Child Loop BB73_20 Depth 2
	;; [unrolled: 1-line block ×4, first 2 shown]
	v_add_co_u32 v1, s0, s14, v0
	v_add_co_ci_u32_e64 v2, null, s15, 0, s0
	s_waitcnt vmcnt(0)
	v_mov_b32_e32 v15, 0
	v_cmp_gt_u64_e64 s0, s[12:13], v[1:2]
	s_and_saveexec_b32 s1, s0
	s_cbranch_execz .LBB73_6
; %bb.5:                                ;   in Loop: Header=BB73_4 Depth=1
	v_add_co_u32 v3, vcc_lo, s7, v1
	v_add_co_ci_u32_e64 v4, null, s16, v2, vcc_lo
	global_load_ubyte v15, v[3:4], off
.LBB73_6:                               ;   in Loop: Header=BB73_4 Depth=1
	s_or_b32 exec_lo, exec_lo, s1
	v_add_co_u32 v3, vcc_lo, v1, s18
	v_add_co_ci_u32_e64 v4, null, 0, v2, vcc_lo
	v_mov_b32_e32 v14, 0
	v_mov_b32_e32 v16, 0
	v_cmp_gt_u64_e64 s1, s[12:13], v[3:4]
	s_and_saveexec_b32 s2, s1
	s_cbranch_execz .LBB73_8
; %bb.7:                                ;   in Loop: Header=BB73_4 Depth=1
	v_add_co_u32 v5, vcc_lo, s7, v3
	v_add_co_ci_u32_e64 v6, null, s16, v4, vcc_lo
	global_load_ubyte v16, v[5:6], off
.LBB73_8:                               ;   in Loop: Header=BB73_4 Depth=1
	s_or_b32 exec_lo, exec_lo, s2
	v_add_co_u32 v5, vcc_lo, v1, s19
	v_add_co_ci_u32_e64 v6, null, 0, v2, vcc_lo
	v_cmp_gt_u64_e64 s2, s[12:13], v[5:6]
	s_and_saveexec_b32 s3, s2
	s_cbranch_execz .LBB73_10
; %bb.9:                                ;   in Loop: Header=BB73_4 Depth=1
	v_add_co_u32 v7, vcc_lo, s7, v5
	v_add_co_ci_u32_e64 v8, null, s16, v6, vcc_lo
	global_load_ubyte v14, v[7:8], off
.LBB73_10:                              ;   in Loop: Header=BB73_4 Depth=1
	s_or_b32 exec_lo, exec_lo, s3
	v_add_co_u32 v7, vcc_lo, v1, s21
	v_add_co_ci_u32_e64 v8, null, 0, v2, vcc_lo
	v_mov_b32_e32 v12, 0
	v_cmp_gt_u64_e64 s3, s[12:13], v[7:8]
	s_and_saveexec_b32 s6, s3
	s_cbranch_execz .LBB73_12
; %bb.11:                               ;   in Loop: Header=BB73_4 Depth=1
	v_add_co_u32 v12, vcc_lo, s7, v7
	v_add_co_ci_u32_e64 v13, null, s16, v8, vcc_lo
	global_load_ubyte v12, v[12:13], off
.LBB73_12:                              ;   in Loop: Header=BB73_4 Depth=1
	s_or_b32 exec_lo, exec_lo, s6
	v_cmp_ne_u32_e64 s6, 1, v11
	s_and_b32 vcc_lo, exec_lo, s20
	s_mov_b32 s25, -1
                                        ; implicit-def: $vgpr13
	s_cbranch_vccz .LBB73_36
; %bb.13:                               ;   in Loop: Header=BB73_4 Depth=1
	v_mov_b32_e32 v13, 1
	s_and_b32 vcc_lo, exec_lo, s6
	s_cbranch_vccnz .LBB73_16
; %bb.14:                               ;   in Loop: Header=BB73_4 Depth=1
	s_waitcnt vmcnt(0)
	v_mov_b32_e32 v17, v15
	s_mov_b32 s6, s17
.LBB73_15:                              ;   Parent Loop BB73_4 Depth=1
                                        ; =>  This Inner Loop Header: Depth=2
	s_bfe_i32 s25, s6, 0x80000
	s_bitcmp1_b32 s6, 0
	s_sext_i32_i16 s25, s25
	s_cselect_b32 vcc_lo, -1, 0
	s_bfe_u32 s6, s6, 0x70001
	v_cndmask_b32_e32 v18, 1, v17, vcc_lo
	v_mul_lo_u16 v17, v17, v17
	s_cmp_gt_i32 s25, 1
	v_mul_lo_u16 v13, v18, v13
	s_cbranch_scc1 .LBB73_15
.LBB73_16:                              ;   in Loop: Header=BB73_4 Depth=1
	s_cbranch_execz .LBB73_37
.LBB73_17:                              ;   in Loop: Header=BB73_4 Depth=1
	s_andn2_b32 vcc_lo, exec_lo, s20
	s_mov_b32 s6, -1
                                        ; implicit-def: $vgpr15
	s_cbranch_vccnz .LBB73_44
.LBB73_18:                              ;   in Loop: Header=BB73_4 Depth=1
	s_waitcnt vmcnt(0)
	v_mov_b32_e32 v15, 1
	s_andn2_b32 vcc_lo, exec_lo, s22
	s_cbranch_vccnz .LBB73_21
; %bb.19:                               ;   in Loop: Header=BB73_4 Depth=1
	v_mov_b32_e32 v17, v16
	s_mov_b32 s6, s17
.LBB73_20:                              ;   Parent Loop BB73_4 Depth=1
                                        ; =>  This Inner Loop Header: Depth=2
	s_bfe_i32 s25, s6, 0x80000
	s_bitcmp1_b32 s6, 0
	s_sext_i32_i16 s25, s25
	s_cselect_b32 vcc_lo, -1, 0
	s_bfe_u32 s6, s6, 0x70001
	v_cndmask_b32_e32 v18, 1, v17, vcc_lo
	v_mul_lo_u16 v17, v17, v17
	s_cmp_lt_i32 s25, 2
	v_mul_lo_u16 v15, v18, v15
	s_cbranch_scc0 .LBB73_20
.LBB73_21:                              ;   in Loop: Header=BB73_4 Depth=1
	s_cbranch_execz .LBB73_45
.LBB73_22:                              ;   in Loop: Header=BB73_4 Depth=1
	s_andn2_b32 vcc_lo, exec_lo, s20
	s_mov_b32 s6, -1
                                        ; implicit-def: $vgpr16
	s_cbranch_vccnz .LBB73_52
.LBB73_23:                              ;   in Loop: Header=BB73_4 Depth=1
	s_waitcnt vmcnt(0)
	v_mov_b32_e32 v16, 1
	s_andn2_b32 vcc_lo, exec_lo, s22
	s_cbranch_vccnz .LBB73_26
; %bb.24:                               ;   in Loop: Header=BB73_4 Depth=1
	v_mov_b32_e32 v17, v14
	s_mov_b32 s6, s17
.LBB73_25:                              ;   Parent Loop BB73_4 Depth=1
                                        ; =>  This Inner Loop Header: Depth=2
	s_bfe_i32 s25, s6, 0x80000
	s_bitcmp1_b32 s6, 0
	s_sext_i32_i16 s25, s25
	s_cselect_b32 vcc_lo, -1, 0
	s_bfe_u32 s6, s6, 0x70001
	v_cndmask_b32_e32 v18, 1, v17, vcc_lo
	v_mul_lo_u16 v17, v17, v17
	s_cmp_lt_i32 s25, 2
	v_mul_lo_u16 v16, v18, v16
	s_cbranch_scc0 .LBB73_25
.LBB73_26:                              ;   in Loop: Header=BB73_4 Depth=1
	s_cbranch_execz .LBB73_53
.LBB73_27:                              ;   in Loop: Header=BB73_4 Depth=1
	s_andn2_b32 vcc_lo, exec_lo, s20
	s_mov_b32 s6, -1
                                        ; implicit-def: $vgpr14
	s_cbranch_vccnz .LBB73_60
.LBB73_28:                              ;   in Loop: Header=BB73_4 Depth=1
	s_waitcnt vmcnt(0)
	v_mov_b32_e32 v14, 1
	s_andn2_b32 vcc_lo, exec_lo, s22
	s_cbranch_vccnz .LBB73_31
; %bb.29:                               ;   in Loop: Header=BB73_4 Depth=1
	v_mov_b32_e32 v17, v12
	s_mov_b32 s6, s17
.LBB73_30:                              ;   Parent Loop BB73_4 Depth=1
                                        ; =>  This Inner Loop Header: Depth=2
	s_bfe_i32 s25, s6, 0x80000
	s_bitcmp1_b32 s6, 0
	s_sext_i32_i16 s25, s25
	s_cselect_b32 vcc_lo, -1, 0
	s_bfe_u32 s6, s6, 0x70001
	v_cndmask_b32_e32 v18, 1, v17, vcc_lo
	v_mul_lo_u16 v17, v17, v17
	s_cmp_lt_i32 s25, 2
	v_mul_lo_u16 v14, v18, v14
	s_cbranch_scc0 .LBB73_30
.LBB73_31:                              ;   in Loop: Header=BB73_4 Depth=1
	s_cbranch_execz .LBB73_61
.LBB73_32:                              ;   in Loop: Header=BB73_4 Depth=1
	s_and_saveexec_b32 s6, s0
	s_xor_b32 s0, exec_lo, s6
	s_cbranch_execz .LBB73_68
.LBB73_33:                              ;   in Loop: Header=BB73_4 Depth=1
	v_add_co_u32 v1, vcc_lo, s7, v1
	v_add_co_ci_u32_e64 v2, null, s16, v2, vcc_lo
	global_store_byte v[1:2], v13, off
	s_or_b32 exec_lo, exec_lo, s0
	s_and_saveexec_b32 s0, s1
	s_cbranch_execnz .LBB73_69
.LBB73_34:                              ;   in Loop: Header=BB73_4 Depth=1
	s_or_b32 exec_lo, exec_lo, s0
	s_and_saveexec_b32 s0, s2
	s_cbranch_execz .LBB73_70
.LBB73_35:                              ;   in Loop: Header=BB73_4 Depth=1
	v_add_co_u32 v1, vcc_lo, s7, v5
	v_add_co_ci_u32_e64 v2, null, s16, v6, vcc_lo
	s_waitcnt vmcnt(0)
	global_store_byte v[1:2], v16, off
	s_or_b32 exec_lo, exec_lo, s0
	s_and_saveexec_b32 s0, s3
	s_cbranch_execz .LBB73_3
	s_branch .LBB73_71
.LBB73_36:                              ;   in Loop: Header=BB73_4 Depth=1
	s_andn2_b32 vcc_lo, exec_lo, s25
	s_cbranch_vccnz .LBB73_17
.LBB73_37:                              ;   in Loop: Header=BB73_4 Depth=1
	s_waitcnt vmcnt(0)
	v_cmp_gt_i16_sdwa s6, v15, v9 src0_sel:BYTE_0 src1_sel:DWORD
	s_and_saveexec_b32 s25, s6
	s_xor_b32 s6, exec_lo, s25
; %bb.38:                               ;   in Loop: Header=BB73_4 Depth=1
                                        ; implicit-def: $vgpr15
; %bb.39:                               ;   in Loop: Header=BB73_4 Depth=1
	s_or_saveexec_b32 s6, s6
	v_mov_b32_e32 v13, s23
	s_xor_b32 exec_lo, exec_lo, s6
	s_cbranch_execz .LBB73_43
; %bb.40:                               ;   in Loop: Header=BB73_4 Depth=1
	v_mov_b32_e32 v13, 1
	v_cmp_ne_u16_sdwa s26, v15, v10 src0_sel:BYTE_0 src1_sel:DWORD
	s_and_saveexec_b32 s25, s26
; %bb.41:                               ;   in Loop: Header=BB73_4 Depth=1
	v_mov_b32_e32 v13, 0
; %bb.42:                               ;   in Loop: Header=BB73_4 Depth=1
	s_or_b32 exec_lo, exec_lo, s25
.LBB73_43:                              ;   in Loop: Header=BB73_4 Depth=1
	s_or_b32 exec_lo, exec_lo, s6
	s_andn2_b32 vcc_lo, exec_lo, s20
	s_mov_b32 s6, -1
                                        ; implicit-def: $vgpr15
	s_cbranch_vccz .LBB73_18
.LBB73_44:                              ;   in Loop: Header=BB73_4 Depth=1
	s_andn2_b32 vcc_lo, exec_lo, s6
	s_cbranch_vccnz .LBB73_22
.LBB73_45:                              ;   in Loop: Header=BB73_4 Depth=1
	s_waitcnt vmcnt(0)
	v_cmp_gt_i16_sdwa s6, v16, v9 src0_sel:BYTE_0 src1_sel:DWORD
	s_and_saveexec_b32 s25, s6
	s_xor_b32 s6, exec_lo, s25
; %bb.46:                               ;   in Loop: Header=BB73_4 Depth=1
                                        ; implicit-def: $vgpr16
; %bb.47:                               ;   in Loop: Header=BB73_4 Depth=1
	s_or_saveexec_b32 s6, s6
	v_mov_b32_e32 v15, s23
	s_xor_b32 exec_lo, exec_lo, s6
	s_cbranch_execz .LBB73_51
; %bb.48:                               ;   in Loop: Header=BB73_4 Depth=1
	v_mov_b32_e32 v15, 1
	v_cmp_ne_u16_sdwa s26, v16, v10 src0_sel:BYTE_0 src1_sel:DWORD
	s_and_saveexec_b32 s25, s26
; %bb.49:                               ;   in Loop: Header=BB73_4 Depth=1
	v_mov_b32_e32 v15, 0
; %bb.50:                               ;   in Loop: Header=BB73_4 Depth=1
	s_or_b32 exec_lo, exec_lo, s25
.LBB73_51:                              ;   in Loop: Header=BB73_4 Depth=1
	s_or_b32 exec_lo, exec_lo, s6
	s_andn2_b32 vcc_lo, exec_lo, s20
	s_mov_b32 s6, -1
                                        ; implicit-def: $vgpr16
	s_cbranch_vccz .LBB73_23
.LBB73_52:                              ;   in Loop: Header=BB73_4 Depth=1
	s_andn2_b32 vcc_lo, exec_lo, s6
	s_cbranch_vccnz .LBB73_27
.LBB73_53:                              ;   in Loop: Header=BB73_4 Depth=1
	s_waitcnt vmcnt(0)
	v_cmp_gt_i16_sdwa s6, v14, v9 src0_sel:BYTE_0 src1_sel:DWORD
	s_and_saveexec_b32 s25, s6
	s_xor_b32 s6, exec_lo, s25
; %bb.54:                               ;   in Loop: Header=BB73_4 Depth=1
                                        ; implicit-def: $vgpr14
; %bb.55:                               ;   in Loop: Header=BB73_4 Depth=1
	s_or_saveexec_b32 s6, s6
	v_mov_b32_e32 v16, s23
	s_xor_b32 exec_lo, exec_lo, s6
	s_cbranch_execz .LBB73_59
; %bb.56:                               ;   in Loop: Header=BB73_4 Depth=1
	v_mov_b32_e32 v16, 1
	v_cmp_ne_u16_sdwa s26, v14, v10 src0_sel:BYTE_0 src1_sel:DWORD
	s_and_saveexec_b32 s25, s26
; %bb.57:                               ;   in Loop: Header=BB73_4 Depth=1
	v_mov_b32_e32 v16, 0
; %bb.58:                               ;   in Loop: Header=BB73_4 Depth=1
	s_or_b32 exec_lo, exec_lo, s25
.LBB73_59:                              ;   in Loop: Header=BB73_4 Depth=1
	s_or_b32 exec_lo, exec_lo, s6
	s_andn2_b32 vcc_lo, exec_lo, s20
	s_mov_b32 s6, -1
                                        ; implicit-def: $vgpr14
	s_cbranch_vccz .LBB73_28
.LBB73_60:                              ;   in Loop: Header=BB73_4 Depth=1
	s_andn2_b32 vcc_lo, exec_lo, s6
	s_cbranch_vccnz .LBB73_32
.LBB73_61:                              ;   in Loop: Header=BB73_4 Depth=1
	s_waitcnt vmcnt(0)
	v_cmp_gt_i16_sdwa s6, v12, v9 src0_sel:BYTE_0 src1_sel:DWORD
	s_and_saveexec_b32 s25, s6
	s_xor_b32 s6, exec_lo, s25
; %bb.62:                               ;   in Loop: Header=BB73_4 Depth=1
                                        ; implicit-def: $vgpr12
; %bb.63:                               ;   in Loop: Header=BB73_4 Depth=1
	s_or_saveexec_b32 s6, s6
	v_mov_b32_e32 v14, s23
	s_xor_b32 exec_lo, exec_lo, s6
	s_cbranch_execz .LBB73_67
; %bb.64:                               ;   in Loop: Header=BB73_4 Depth=1
	v_mov_b32_e32 v14, 1
	v_cmp_ne_u16_sdwa s26, v12, v10 src0_sel:BYTE_0 src1_sel:DWORD
	s_and_saveexec_b32 s25, s26
; %bb.65:                               ;   in Loop: Header=BB73_4 Depth=1
	v_mov_b32_e32 v14, 0
; %bb.66:                               ;   in Loop: Header=BB73_4 Depth=1
	s_or_b32 exec_lo, exec_lo, s25
.LBB73_67:                              ;   in Loop: Header=BB73_4 Depth=1
	s_or_b32 exec_lo, exec_lo, s6
	s_and_saveexec_b32 s6, s0
	s_xor_b32 s0, exec_lo, s6
	s_cbranch_execnz .LBB73_33
.LBB73_68:                              ;   in Loop: Header=BB73_4 Depth=1
	s_or_b32 exec_lo, exec_lo, s0
	s_and_saveexec_b32 s0, s1
	s_cbranch_execz .LBB73_34
.LBB73_69:                              ;   in Loop: Header=BB73_4 Depth=1
	v_add_co_u32 v1, vcc_lo, s7, v3
	v_add_co_ci_u32_e64 v2, null, s16, v4, vcc_lo
	s_waitcnt vmcnt(0)
	global_store_byte v[1:2], v15, off
	s_or_b32 exec_lo, exec_lo, s0
	s_and_saveexec_b32 s0, s2
	s_cbranch_execnz .LBB73_35
.LBB73_70:                              ;   in Loop: Header=BB73_4 Depth=1
	s_or_b32 exec_lo, exec_lo, s0
	s_and_saveexec_b32 s0, s3
	s_cbranch_execz .LBB73_3
.LBB73_71:                              ;   in Loop: Header=BB73_4 Depth=1
	v_add_co_u32 v1, vcc_lo, s7, v7
	v_add_co_ci_u32_e64 v2, null, s16, v8, vcc_lo
	s_waitcnt vmcnt(0)
	global_store_byte v[1:2], v14, off
	s_branch .LBB73_3
.LBB73_72:
	s_cbranch_execz .LBB73_74
	s_branch .LBB73_127
.LBB73_73:
.LBB73_74:
	v_cmp_gt_i64_e64 s0, 0x10000, s[8:9]
	v_mov_b32_e32 v2, 0
	v_lshlrev_b32_e32 v1, 2, v0
	s_mov_b32 s1, 0
	s_and_b32 s0, s0, exec_lo
	s_cselect_b32 s3, s9, 0
	s_cselect_b32 s2, s8, 0x10000
	s_mov_b32 s0, exec_lo
	v_cmpx_gt_i64_e64 s[2:3], v[1:2]
	s_cbranch_execz .LBB73_127
; %bb.75:
	s_load_dword s0, s[4:5], 0xcb4
	s_sext_i32_i16 s4, s17
	v_mov_b32_e32 v1, v2
	s_cmp_gt_i32 s4, -1
	v_mov_b32_e32 v5, 0xfe
	s_cselect_b32 s4, -1, 0
	s_and_b32 s5, 0xffff, s17
	v_mov_b32_e32 v6, 1
	s_cmp_lg_u32 s5, 0
	s_cselect_b32 s5, -1, 0
	s_bitcmp0_b32 s17, 0
	v_cndmask_b32_e64 v4, 0, 1, s5
	s_cselect_b32 s6, 1, 0xffff
	s_waitcnt lgkmcnt(0)
	s_and_b32 s8, s0, 0xffff
	s_branch .LBB73_79
.LBB73_76:                              ;   in Loop: Header=BB73_79 Depth=1
	s_or_b32 exec_lo, exec_lo, s9
.LBB73_77:                              ;   in Loop: Header=BB73_79 Depth=1
	s_or_b32 exec_lo, exec_lo, s0
.LBB73_78:                              ;   in Loop: Header=BB73_79 Depth=1
	v_add_co_u32 v0, vcc_lo, v0, s8
	v_add_co_ci_u32_e64 v1, null, 0, v1, vcc_lo
	v_perm_b32 v7, v7, v9, 0xc0c0004
	v_perm_b32 v8, v10, v8, 0xc0c0004
	v_lshlrev_b64 v[11:12], 2, v[0:1]
	v_lshl_or_b32 v7, v8, 16, v7
	v_cmp_le_i64_e32 vcc_lo, s[2:3], v[11:12]
	global_store_dword v[2:3], v7, off
	s_or_b32 s1, vcc_lo, s1
	s_andn2_b32 exec_lo, exec_lo, s1
	s_cbranch_execz .LBB73_127
.LBB73_79:                              ; =>This Loop Header: Depth=1
                                        ;     Child Loop BB73_82 Depth 2
                                        ;     Child Loop BB73_87 Depth 2
	;; [unrolled: 1-line block ×4, first 2 shown]
	v_lshlrev_b64 v[2:3], 2, v[0:1]
	v_cmp_ne_u32_e64 s0, 1, v4
	s_mov_b32 s9, -1
                                        ; implicit-def: $vgpr7
	v_add_co_u32 v2, vcc_lo, s7, v2
	v_add_co_ci_u32_e64 v3, null, s16, v3, vcc_lo
	s_and_b32 vcc_lo, exec_lo, s4
	global_load_dword v8, v[2:3], off
	s_cbranch_vccz .LBB73_99
; %bb.80:                               ;   in Loop: Header=BB73_79 Depth=1
	v_mov_b32_e32 v7, 1
	s_and_b32 vcc_lo, exec_lo, s0
	s_cbranch_vccnz .LBB73_83
; %bb.81:                               ;   in Loop: Header=BB73_79 Depth=1
	s_waitcnt vmcnt(0)
	v_mov_b32_e32 v9, v8
	s_mov_b32 s0, s17
.LBB73_82:                              ;   Parent Loop BB73_79 Depth=1
                                        ; =>  This Inner Loop Header: Depth=2
	s_bfe_i32 s9, s0, 0x80000
	s_bitcmp1_b32 s0, 0
	s_sext_i32_i16 s9, s9
	s_cselect_b32 vcc_lo, -1, 0
	s_bfe_u32 s0, s0, 0x70001
	v_cndmask_b32_e32 v10, 1, v9, vcc_lo
	v_mul_lo_u16 v9, v9, v9
	s_cmp_gt_i32 s9, 1
	v_mul_lo_u16 v7, v10, v7
	s_cbranch_scc1 .LBB73_82
.LBB73_83:                              ;   in Loop: Header=BB73_79 Depth=1
	s_cbranch_execz .LBB73_100
.LBB73_84:                              ;   in Loop: Header=BB73_79 Depth=1
	s_waitcnt vmcnt(0)
	v_lshrrev_b32_e32 v10, 8, v8
	s_andn2_b32 vcc_lo, exec_lo, s4
	s_mov_b32 s0, -1
                                        ; implicit-def: $vgpr9
	s_cbranch_vccnz .LBB73_105
.LBB73_85:                              ;   in Loop: Header=BB73_79 Depth=1
	v_mov_b32_e32 v9, 1
	s_andn2_b32 vcc_lo, exec_lo, s5
	s_cbranch_vccnz .LBB73_88
; %bb.86:                               ;   in Loop: Header=BB73_79 Depth=1
	v_mov_b32_e32 v11, v10
	s_mov_b32 s0, s17
.LBB73_87:                              ;   Parent Loop BB73_79 Depth=1
                                        ; =>  This Inner Loop Header: Depth=2
	s_bfe_i32 s9, s0, 0x80000
	s_bitcmp1_b32 s0, 0
	s_sext_i32_i16 s9, s9
	s_cselect_b32 vcc_lo, -1, 0
	s_bfe_u32 s0, s0, 0x70001
	v_cndmask_b32_e32 v12, 1, v11, vcc_lo
	v_mul_lo_u16 v11, v11, v11
	s_cmp_lt_i32 s9, 2
	v_mul_lo_u16 v9, v12, v9
	s_cbranch_scc0 .LBB73_87
.LBB73_88:                              ;   in Loop: Header=BB73_79 Depth=1
	s_cbranch_execz .LBB73_106
.LBB73_89:                              ;   in Loop: Header=BB73_79 Depth=1
	v_lshrrev_b32_e32 v11, 16, v8
	s_andn2_b32 vcc_lo, exec_lo, s4
	s_mov_b32 s0, -1
                                        ; implicit-def: $vgpr10
	s_cbranch_vccnz .LBB73_113
.LBB73_90:                              ;   in Loop: Header=BB73_79 Depth=1
	v_mov_b32_e32 v10, 1
	s_andn2_b32 vcc_lo, exec_lo, s5
	s_cbranch_vccnz .LBB73_93
; %bb.91:                               ;   in Loop: Header=BB73_79 Depth=1
	v_mov_b32_e32 v12, v11
	s_mov_b32 s0, s17
.LBB73_92:                              ;   Parent Loop BB73_79 Depth=1
                                        ; =>  This Inner Loop Header: Depth=2
	s_bfe_i32 s9, s0, 0x80000
	s_bitcmp1_b32 s0, 0
	s_sext_i32_i16 s9, s9
	s_cselect_b32 vcc_lo, -1, 0
	s_bfe_u32 s0, s0, 0x70001
	v_cndmask_b32_e32 v13, 1, v12, vcc_lo
	v_mul_lo_u16 v12, v12, v12
	s_cmp_lt_i32 s9, 2
	v_mul_lo_u16 v10, v13, v10
	s_cbranch_scc0 .LBB73_92
.LBB73_93:                              ;   in Loop: Header=BB73_79 Depth=1
	s_cbranch_execz .LBB73_114
.LBB73_94:                              ;   in Loop: Header=BB73_79 Depth=1
	v_lshrrev_b32_e32 v11, 24, v8
	s_andn2_b32 vcc_lo, exec_lo, s4
	s_mov_b32 s0, -1
                                        ; implicit-def: $vgpr8
	s_cbranch_vccnz .LBB73_121
.LBB73_95:                              ;   in Loop: Header=BB73_79 Depth=1
	v_mov_b32_e32 v8, 1
	s_andn2_b32 vcc_lo, exec_lo, s5
	s_cbranch_vccnz .LBB73_98
; %bb.96:                               ;   in Loop: Header=BB73_79 Depth=1
	v_mov_b32_e32 v12, v11
	s_mov_b32 s0, s17
.LBB73_97:                              ;   Parent Loop BB73_79 Depth=1
                                        ; =>  This Inner Loop Header: Depth=2
	s_bfe_i32 s9, s0, 0x80000
	s_bitcmp1_b32 s0, 0
	s_sext_i32_i16 s9, s9
	s_cselect_b32 vcc_lo, -1, 0
	s_bfe_u32 s0, s0, 0x70001
	v_cndmask_b32_e32 v13, 1, v12, vcc_lo
	v_mul_lo_u16 v12, v12, v12
	s_cmp_lt_i32 s9, 2
	v_mul_lo_u16 v8, v13, v8
	s_cbranch_scc0 .LBB73_97
.LBB73_98:                              ;   in Loop: Header=BB73_79 Depth=1
	s_cbranch_execnz .LBB73_78
	s_branch .LBB73_122
.LBB73_99:                              ;   in Loop: Header=BB73_79 Depth=1
	s_andn2_b32 vcc_lo, exec_lo, s9
	s_cbranch_vccnz .LBB73_84
.LBB73_100:                             ;   in Loop: Header=BB73_79 Depth=1
	s_waitcnt vmcnt(0)
	v_cmp_gt_i16_sdwa s0, v8, v5 src0_sel:BYTE_0 src1_sel:DWORD
	s_and_saveexec_b32 s9, s0
	s_xor_b32 s0, exec_lo, s9
	s_or_saveexec_b32 s0, s0
	v_mov_b32_e32 v7, s6
	s_xor_b32 exec_lo, exec_lo, s0
	s_cbranch_execz .LBB73_104
; %bb.101:                              ;   in Loop: Header=BB73_79 Depth=1
	v_mov_b32_e32 v7, 1
	v_cmp_ne_u16_sdwa s10, v8, v6 src0_sel:BYTE_0 src1_sel:DWORD
	s_and_saveexec_b32 s9, s10
; %bb.102:                              ;   in Loop: Header=BB73_79 Depth=1
	v_mov_b32_e32 v7, 0
; %bb.103:                              ;   in Loop: Header=BB73_79 Depth=1
	s_or_b32 exec_lo, exec_lo, s9
.LBB73_104:                             ;   in Loop: Header=BB73_79 Depth=1
	s_or_b32 exec_lo, exec_lo, s0
	v_lshrrev_b32_e32 v10, 8, v8
	s_andn2_b32 vcc_lo, exec_lo, s4
	s_mov_b32 s0, -1
                                        ; implicit-def: $vgpr9
	s_cbranch_vccz .LBB73_85
.LBB73_105:                             ;   in Loop: Header=BB73_79 Depth=1
	s_andn2_b32 vcc_lo, exec_lo, s0
	s_cbranch_vccnz .LBB73_89
.LBB73_106:                             ;   in Loop: Header=BB73_79 Depth=1
	v_cmp_gt_i16_sdwa s0, v10, v5 src0_sel:BYTE_0 src1_sel:DWORD
	s_and_saveexec_b32 s9, s0
	s_xor_b32 s0, exec_lo, s9
; %bb.107:                              ;   in Loop: Header=BB73_79 Depth=1
                                        ; implicit-def: $vgpr10
; %bb.108:                              ;   in Loop: Header=BB73_79 Depth=1
	s_or_saveexec_b32 s0, s0
	v_mov_b32_e32 v9, s6
	s_xor_b32 exec_lo, exec_lo, s0
	s_cbranch_execz .LBB73_112
; %bb.109:                              ;   in Loop: Header=BB73_79 Depth=1
	v_mov_b32_e32 v9, 1
	v_cmp_ne_u16_sdwa s10, v10, v6 src0_sel:BYTE_0 src1_sel:DWORD
	s_and_saveexec_b32 s9, s10
; %bb.110:                              ;   in Loop: Header=BB73_79 Depth=1
	v_mov_b32_e32 v9, 0
; %bb.111:                              ;   in Loop: Header=BB73_79 Depth=1
	s_or_b32 exec_lo, exec_lo, s9
.LBB73_112:                             ;   in Loop: Header=BB73_79 Depth=1
	s_or_b32 exec_lo, exec_lo, s0
	v_lshrrev_b32_e32 v11, 16, v8
	s_andn2_b32 vcc_lo, exec_lo, s4
	s_mov_b32 s0, -1
                                        ; implicit-def: $vgpr10
	s_cbranch_vccz .LBB73_90
.LBB73_113:                             ;   in Loop: Header=BB73_79 Depth=1
	s_andn2_b32 vcc_lo, exec_lo, s0
	s_cbranch_vccnz .LBB73_94
.LBB73_114:                             ;   in Loop: Header=BB73_79 Depth=1
	v_cmp_gt_i16_sdwa s0, v11, v5 src0_sel:BYTE_0 src1_sel:DWORD
	s_and_saveexec_b32 s9, s0
	s_xor_b32 s0, exec_lo, s9
; %bb.115:                              ;   in Loop: Header=BB73_79 Depth=1
                                        ; implicit-def: $vgpr11
; %bb.116:                              ;   in Loop: Header=BB73_79 Depth=1
	s_or_saveexec_b32 s0, s0
	v_mov_b32_e32 v10, s6
	s_xor_b32 exec_lo, exec_lo, s0
	s_cbranch_execz .LBB73_120
; %bb.117:                              ;   in Loop: Header=BB73_79 Depth=1
	v_mov_b32_e32 v10, 1
	v_cmp_ne_u16_sdwa s10, v11, v6 src0_sel:BYTE_0 src1_sel:DWORD
	s_and_saveexec_b32 s9, s10
; %bb.118:                              ;   in Loop: Header=BB73_79 Depth=1
	v_mov_b32_e32 v10, 0
; %bb.119:                              ;   in Loop: Header=BB73_79 Depth=1
	s_or_b32 exec_lo, exec_lo, s9
.LBB73_120:                             ;   in Loop: Header=BB73_79 Depth=1
	s_or_b32 exec_lo, exec_lo, s0
	v_lshrrev_b32_e32 v11, 24, v8
	s_andn2_b32 vcc_lo, exec_lo, s4
	s_mov_b32 s0, -1
                                        ; implicit-def: $vgpr8
	s_cbranch_vccz .LBB73_95
.LBB73_121:                             ;   in Loop: Header=BB73_79 Depth=1
	s_andn2_b32 vcc_lo, exec_lo, s0
	s_cbranch_vccnz .LBB73_78
.LBB73_122:                             ;   in Loop: Header=BB73_79 Depth=1
	s_mov_b32 s0, exec_lo
	v_cmpx_lt_i16_e32 0xfe, v11
	s_xor_b32 s0, exec_lo, s0
; %bb.123:                              ;   in Loop: Header=BB73_79 Depth=1
                                        ; implicit-def: $vgpr11
; %bb.124:                              ;   in Loop: Header=BB73_79 Depth=1
	s_or_saveexec_b32 s0, s0
	v_mov_b32_e32 v8, s6
	s_xor_b32 exec_lo, exec_lo, s0
	s_cbranch_execz .LBB73_77
; %bb.125:                              ;   in Loop: Header=BB73_79 Depth=1
	v_mov_b32_e32 v8, 1
	s_mov_b32 s9, exec_lo
	v_cmpx_ne_u16_e32 1, v11
	s_cbranch_execz .LBB73_76
; %bb.126:                              ;   in Loop: Header=BB73_79 Depth=1
	v_mov_b32_e32 v8, 0
	s_branch .LBB73_76
.LBB73_127:
	s_endpgm
	.section	.rodata,"a",@progbits
	.p2align	6, 0x0
	.amdhsa_kernel _ZN2at6native12_GLOBAL__N_125multi_tensor_apply_kernelINS1_28TensorListScalarListMetadataIaLi1EEENS1_25BinaryOpScalarListFunctorIaLi1ELi1ELi0EEEJNS1_13power_functorIaEEEEEvT_T0_DpT1_
		.amdhsa_group_segment_fixed_size 0
		.amdhsa_private_segment_fixed_size 0
		.amdhsa_kernarg_size 3496
		.amdhsa_user_sgpr_count 6
		.amdhsa_user_sgpr_private_segment_buffer 1
		.amdhsa_user_sgpr_dispatch_ptr 0
		.amdhsa_user_sgpr_queue_ptr 0
		.amdhsa_user_sgpr_kernarg_segment_ptr 1
		.amdhsa_user_sgpr_dispatch_id 0
		.amdhsa_user_sgpr_flat_scratch_init 0
		.amdhsa_user_sgpr_private_segment_size 0
		.amdhsa_wavefront_size32 1
		.amdhsa_uses_dynamic_stack 0
		.amdhsa_system_sgpr_private_segment_wavefront_offset 0
		.amdhsa_system_sgpr_workgroup_id_x 1
		.amdhsa_system_sgpr_workgroup_id_y 0
		.amdhsa_system_sgpr_workgroup_id_z 0
		.amdhsa_system_sgpr_workgroup_info 0
		.amdhsa_system_vgpr_workitem_id 0
		.amdhsa_next_free_vgpr 19
		.amdhsa_next_free_sgpr 27
		.amdhsa_reserve_vcc 1
		.amdhsa_reserve_flat_scratch 0
		.amdhsa_float_round_mode_32 0
		.amdhsa_float_round_mode_16_64 0
		.amdhsa_float_denorm_mode_32 3
		.amdhsa_float_denorm_mode_16_64 3
		.amdhsa_dx10_clamp 1
		.amdhsa_ieee_mode 1
		.amdhsa_fp16_overflow 0
		.amdhsa_workgroup_processor_mode 1
		.amdhsa_memory_ordered 1
		.amdhsa_forward_progress 1
		.amdhsa_shared_vgpr_count 0
		.amdhsa_exception_fp_ieee_invalid_op 0
		.amdhsa_exception_fp_denorm_src 0
		.amdhsa_exception_fp_ieee_div_zero 0
		.amdhsa_exception_fp_ieee_overflow 0
		.amdhsa_exception_fp_ieee_underflow 0
		.amdhsa_exception_fp_ieee_inexact 0
		.amdhsa_exception_int_div_zero 0
	.end_amdhsa_kernel
	.section	.text._ZN2at6native12_GLOBAL__N_125multi_tensor_apply_kernelINS1_28TensorListScalarListMetadataIaLi1EEENS1_25BinaryOpScalarListFunctorIaLi1ELi1ELi0EEEJNS1_13power_functorIaEEEEEvT_T0_DpT1_,"axG",@progbits,_ZN2at6native12_GLOBAL__N_125multi_tensor_apply_kernelINS1_28TensorListScalarListMetadataIaLi1EEENS1_25BinaryOpScalarListFunctorIaLi1ELi1ELi0EEEJNS1_13power_functorIaEEEEEvT_T0_DpT1_,comdat
.Lfunc_end73:
	.size	_ZN2at6native12_GLOBAL__N_125multi_tensor_apply_kernelINS1_28TensorListScalarListMetadataIaLi1EEENS1_25BinaryOpScalarListFunctorIaLi1ELi1ELi0EEEJNS1_13power_functorIaEEEEEvT_T0_DpT1_, .Lfunc_end73-_ZN2at6native12_GLOBAL__N_125multi_tensor_apply_kernelINS1_28TensorListScalarListMetadataIaLi1EEENS1_25BinaryOpScalarListFunctorIaLi1ELi1ELi0EEEJNS1_13power_functorIaEEEEEvT_T0_DpT1_
                                        ; -- End function
	.set _ZN2at6native12_GLOBAL__N_125multi_tensor_apply_kernelINS1_28TensorListScalarListMetadataIaLi1EEENS1_25BinaryOpScalarListFunctorIaLi1ELi1ELi0EEEJNS1_13power_functorIaEEEEEvT_T0_DpT1_.num_vgpr, 19
	.set _ZN2at6native12_GLOBAL__N_125multi_tensor_apply_kernelINS1_28TensorListScalarListMetadataIaLi1EEENS1_25BinaryOpScalarListFunctorIaLi1ELi1ELi0EEEJNS1_13power_functorIaEEEEEvT_T0_DpT1_.num_agpr, 0
	.set _ZN2at6native12_GLOBAL__N_125multi_tensor_apply_kernelINS1_28TensorListScalarListMetadataIaLi1EEENS1_25BinaryOpScalarListFunctorIaLi1ELi1ELi0EEEJNS1_13power_functorIaEEEEEvT_T0_DpT1_.numbered_sgpr, 27
	.set _ZN2at6native12_GLOBAL__N_125multi_tensor_apply_kernelINS1_28TensorListScalarListMetadataIaLi1EEENS1_25BinaryOpScalarListFunctorIaLi1ELi1ELi0EEEJNS1_13power_functorIaEEEEEvT_T0_DpT1_.num_named_barrier, 0
	.set _ZN2at6native12_GLOBAL__N_125multi_tensor_apply_kernelINS1_28TensorListScalarListMetadataIaLi1EEENS1_25BinaryOpScalarListFunctorIaLi1ELi1ELi0EEEJNS1_13power_functorIaEEEEEvT_T0_DpT1_.private_seg_size, 0
	.set _ZN2at6native12_GLOBAL__N_125multi_tensor_apply_kernelINS1_28TensorListScalarListMetadataIaLi1EEENS1_25BinaryOpScalarListFunctorIaLi1ELi1ELi0EEEJNS1_13power_functorIaEEEEEvT_T0_DpT1_.uses_vcc, 1
	.set _ZN2at6native12_GLOBAL__N_125multi_tensor_apply_kernelINS1_28TensorListScalarListMetadataIaLi1EEENS1_25BinaryOpScalarListFunctorIaLi1ELi1ELi0EEEJNS1_13power_functorIaEEEEEvT_T0_DpT1_.uses_flat_scratch, 0
	.set _ZN2at6native12_GLOBAL__N_125multi_tensor_apply_kernelINS1_28TensorListScalarListMetadataIaLi1EEENS1_25BinaryOpScalarListFunctorIaLi1ELi1ELi0EEEJNS1_13power_functorIaEEEEEvT_T0_DpT1_.has_dyn_sized_stack, 0
	.set _ZN2at6native12_GLOBAL__N_125multi_tensor_apply_kernelINS1_28TensorListScalarListMetadataIaLi1EEENS1_25BinaryOpScalarListFunctorIaLi1ELi1ELi0EEEJNS1_13power_functorIaEEEEEvT_T0_DpT1_.has_recursion, 0
	.set _ZN2at6native12_GLOBAL__N_125multi_tensor_apply_kernelINS1_28TensorListScalarListMetadataIaLi1EEENS1_25BinaryOpScalarListFunctorIaLi1ELi1ELi0EEEJNS1_13power_functorIaEEEEEvT_T0_DpT1_.has_indirect_call, 0
	.section	.AMDGPU.csdata,"",@progbits
; Kernel info:
; codeLenInByte = 2536
; TotalNumSgprs: 29
; NumVgprs: 19
; ScratchSize: 0
; MemoryBound: 0
; FloatMode: 240
; IeeeMode: 1
; LDSByteSize: 0 bytes/workgroup (compile time only)
; SGPRBlocks: 0
; VGPRBlocks: 2
; NumSGPRsForWavesPerEU: 29
; NumVGPRsForWavesPerEU: 19
; Occupancy: 16
; WaveLimiterHint : 0
; COMPUTE_PGM_RSRC2:SCRATCH_EN: 0
; COMPUTE_PGM_RSRC2:USER_SGPR: 6
; COMPUTE_PGM_RSRC2:TRAP_HANDLER: 0
; COMPUTE_PGM_RSRC2:TGID_X_EN: 1
; COMPUTE_PGM_RSRC2:TGID_Y_EN: 0
; COMPUTE_PGM_RSRC2:TGID_Z_EN: 0
; COMPUTE_PGM_RSRC2:TIDIG_COMP_CNT: 0
	.section	.text._ZN2at6native12_GLOBAL__N_125multi_tensor_apply_kernelINS1_28TensorListScalarListMetadataIiLi1EEENS1_25BinaryOpScalarListFunctorIiLi1ELi1ELi0EEEJNS1_13power_functorIiEEEEEvT_T0_DpT1_,"axG",@progbits,_ZN2at6native12_GLOBAL__N_125multi_tensor_apply_kernelINS1_28TensorListScalarListMetadataIiLi1EEENS1_25BinaryOpScalarListFunctorIiLi1ELi1ELi0EEEJNS1_13power_functorIiEEEEEvT_T0_DpT1_,comdat
	.globl	_ZN2at6native12_GLOBAL__N_125multi_tensor_apply_kernelINS1_28TensorListScalarListMetadataIiLi1EEENS1_25BinaryOpScalarListFunctorIiLi1ELi1ELi0EEEJNS1_13power_functorIiEEEEEvT_T0_DpT1_ ; -- Begin function _ZN2at6native12_GLOBAL__N_125multi_tensor_apply_kernelINS1_28TensorListScalarListMetadataIiLi1EEENS1_25BinaryOpScalarListFunctorIiLi1ELi1ELi0EEEJNS1_13power_functorIiEEEEEvT_T0_DpT1_
	.p2align	8
	.type	_ZN2at6native12_GLOBAL__N_125multi_tensor_apply_kernelINS1_28TensorListScalarListMetadataIiLi1EEENS1_25BinaryOpScalarListFunctorIiLi1ELi1ELi0EEEJNS1_13power_functorIiEEEEEvT_T0_DpT1_,@function
_ZN2at6native12_GLOBAL__N_125multi_tensor_apply_kernelINS1_28TensorListScalarListMetadataIiLi1EEENS1_25BinaryOpScalarListFunctorIiLi1ELi1ELi0EEEJNS1_13power_functorIiEEEEEvT_T0_DpT1_: ; @_ZN2at6native12_GLOBAL__N_125multi_tensor_apply_kernelINS1_28TensorListScalarListMetadataIiLi1EEENS1_25BinaryOpScalarListFunctorIiLi1ELi1ELi0EEEJNS1_13power_functorIiEEEEEvT_T0_DpT1_
; %bb.0:
	v_mov_b32_e32 v1, s6
	s_add_u32 s0, s4, s6
	s_mul_i32 s1, s6, 3
	s_mul_hi_u32 s2, s6, 3
	s_addc_u32 s3, s5, 0
	global_load_ubyte v1, v1, s[4:5] offset:1920
	s_add_u32 s0, s0, s1
	s_addc_u32 s1, s3, s2
	s_load_dword s0, s[0:1], 0x8c0
	s_waitcnt lgkmcnt(0)
	s_ashr_i32 s1, s0, 31
	s_waitcnt vmcnt(0)
	v_readfirstlane_b32 s6, v1
	s_lshl_b32 s7, s6, 3
	s_clause 0x1
	s_load_dwordx2 s[2:3], s[4:5], s7 offset:0x0
	s_load_dwordx2 s[10:11], s[4:5], s7 offset:0x300
	s_add_u32 s12, s4, s7
	s_addc_u32 s13, s5, 0
	s_lshl_b64 s[8:9], s[0:1], 18
	s_waitcnt lgkmcnt(0)
	s_add_u32 s7, s2, s8
	s_addc_u32 s16, s3, s9
	s_lshl_b32 s3, s6, 2
	s_and_b32 s2, s7, 15
	s_sub_u32 s3, 0, s3
	s_subb_u32 s6, 0, 0
	s_add_u32 s8, s12, s3
	s_addc_u32 s9, s13, s6
	s_lshl_b64 s[0:1], s[0:1], 16
	s_load_dword s17, s[8:9], 0x600
	s_mov_b32 s3, 0
	s_sub_u32 s8, s10, s0
	s_subb_u32 s9, s11, s1
	s_and_b32 s0, s10, 3
	s_mov_b32 s1, s3
	s_or_b64 s[0:1], s[2:3], s[0:1]
	s_cmp_eq_u64 s[0:1], 0
	s_cbranch_scc1 .LBB74_81
; %bb.1:
	v_cmp_lt_i64_e64 s0, s[8:9], 1
	s_and_b32 vcc_lo, exec_lo, s0
	s_cbranch_vccnz .LBB74_80
; %bb.2:
	s_load_dword s0, s[4:5], 0xdd4
	v_cmp_gt_i64_e64 s1, 0x10000, s[8:9]
	v_cmp_gt_u64_e64 s2, 0x10000, s[8:9]
	s_mov_b64 s[14:15], 0
	s_and_b32 s1, s1, exec_lo
	s_cselect_b32 s11, s9, 0
	s_cselect_b32 s10, s8, 0x10000
	s_waitcnt lgkmcnt(0)
	s_and_b32 s18, s0, 0xffff
	s_and_b32 s0, s2, exec_lo
	s_cselect_b32 s13, s9, 0
	s_cselect_b32 s12, s8, 0x10000
	s_lshl_b32 s19, s18, 1
	s_cmp_gt_i32 s17, -1
	s_mul_i32 s20, s18, 3
	s_cselect_b32 s21, -1, 0
	s_cmp_lg_u32 s17, 0
	s_cselect_b32 s22, -1, 0
	s_bitcmp0_b32 s17, 0
	v_cndmask_b32_e64 v9, 0, 1, s22
	s_cselect_b32 s23, 1, -1
	s_lshl_b32 s24, s18, 2
	s_branch .LBB74_4
.LBB74_3:                               ;   in Loop: Header=BB74_4 Depth=1
	s_or_b32 exec_lo, exec_lo, s0
	s_add_u32 s14, s14, s24
	s_addc_u32 s15, s15, 0
	v_cmp_ge_i64_e64 s0, s[14:15], s[10:11]
	s_and_b32 vcc_lo, exec_lo, s0
	s_cbranch_vccnz .LBB74_80
.LBB74_4:                               ; =>This Loop Header: Depth=1
                                        ;     Child Loop BB74_26 Depth 2
                                        ;     Child Loop BB74_36 Depth 2
	;; [unrolled: 1-line block ×4, first 2 shown]
	v_add_co_u32 v7, s0, s14, v0
	v_add_co_ci_u32_e64 v8, null, s15, 0, s0
	s_waitcnt vmcnt(0)
	v_mov_b32_e32 v13, 0
	v_cmp_gt_u64_e64 s0, s[12:13], v[7:8]
	v_lshlrev_b64 v[1:2], 2, v[7:8]
	s_and_saveexec_b32 s1, s0
	s_cbranch_execz .LBB74_6
; %bb.5:                                ;   in Loop: Header=BB74_4 Depth=1
	v_add_co_u32 v3, vcc_lo, s7, v1
	v_add_co_ci_u32_e64 v4, null, s16, v2, vcc_lo
	global_load_dword v13, v[3:4], off
.LBB74_6:                               ;   in Loop: Header=BB74_4 Depth=1
	s_or_b32 exec_lo, exec_lo, s1
	v_add_co_u32 v3, vcc_lo, v7, s18
	v_add_co_ci_u32_e64 v4, null, 0, v8, vcc_lo
	v_mov_b32_e32 v12, 0
	v_mov_b32_e32 v14, 0
	v_cmp_gt_u64_e64 s1, s[12:13], v[3:4]
	v_lshlrev_b64 v[3:4], 2, v[3:4]
	s_and_saveexec_b32 s2, s1
	s_cbranch_execz .LBB74_8
; %bb.7:                                ;   in Loop: Header=BB74_4 Depth=1
	v_add_co_u32 v5, vcc_lo, s7, v3
	v_add_co_ci_u32_e64 v6, null, s16, v4, vcc_lo
	global_load_dword v14, v[5:6], off
.LBB74_8:                               ;   in Loop: Header=BB74_4 Depth=1
	s_or_b32 exec_lo, exec_lo, s2
	v_add_co_u32 v5, vcc_lo, v7, s19
	v_add_co_ci_u32_e64 v6, null, 0, v8, vcc_lo
	v_cmp_gt_u64_e64 s2, s[12:13], v[5:6]
	v_lshlrev_b64 v[5:6], 2, v[5:6]
	s_and_saveexec_b32 s3, s2
	s_cbranch_execz .LBB74_10
; %bb.9:                                ;   in Loop: Header=BB74_4 Depth=1
	v_add_co_u32 v10, vcc_lo, s7, v5
	v_add_co_ci_u32_e64 v11, null, s16, v6, vcc_lo
	global_load_dword v12, v[10:11], off
.LBB74_10:                              ;   in Loop: Header=BB74_4 Depth=1
	s_or_b32 exec_lo, exec_lo, s3
	v_add_co_u32 v7, vcc_lo, v7, s20
	v_add_co_ci_u32_e64 v8, null, 0, v8, vcc_lo
	v_mov_b32_e32 v10, 0
	v_cmp_gt_u64_e64 s3, s[12:13], v[7:8]
	v_lshlrev_b64 v[7:8], 2, v[7:8]
	s_and_saveexec_b32 s6, s3
	s_cbranch_execz .LBB74_12
; %bb.11:                               ;   in Loop: Header=BB74_4 Depth=1
	v_add_co_u32 v10, vcc_lo, s7, v7
	v_add_co_ci_u32_e64 v11, null, s16, v8, vcc_lo
	global_load_dword v10, v[10:11], off
.LBB74_12:                              ;   in Loop: Header=BB74_4 Depth=1
	s_or_b32 exec_lo, exec_lo, s6
	v_cmp_ne_u32_e64 s6, 1, v9
	s_and_b32 vcc_lo, exec_lo, s21
	s_mov_b32 s25, -1
                                        ; implicit-def: $vgpr11
	s_cbranch_vccnz .LBB74_24
; %bb.13:                               ;   in Loop: Header=BB74_4 Depth=1
	s_andn2_b32 vcc_lo, exec_lo, s25
	s_cbranch_vccz .LBB74_28
.LBB74_14:                              ;   in Loop: Header=BB74_4 Depth=1
	s_andn2_b32 vcc_lo, exec_lo, s21
	s_mov_b32 s6, -1
                                        ; implicit-def: $vgpr13
	s_cbranch_vccz .LBB74_34
.LBB74_15:                              ;   in Loop: Header=BB74_4 Depth=1
	s_andn2_b32 vcc_lo, exec_lo, s6
	s_cbranch_vccz .LBB74_38
.LBB74_16:                              ;   in Loop: Header=BB74_4 Depth=1
	s_andn2_b32 vcc_lo, exec_lo, s21
	s_mov_b32 s6, -1
                                        ; implicit-def: $vgpr14
	s_cbranch_vccz .LBB74_44
.LBB74_17:                              ;   in Loop: Header=BB74_4 Depth=1
	s_andn2_b32 vcc_lo, exec_lo, s6
	s_cbranch_vccz .LBB74_48
.LBB74_18:                              ;   in Loop: Header=BB74_4 Depth=1
	s_andn2_b32 vcc_lo, exec_lo, s21
	s_mov_b32 s6, -1
                                        ; implicit-def: $vgpr12
	s_cbranch_vccz .LBB74_54
.LBB74_19:                              ;   in Loop: Header=BB74_4 Depth=1
	s_andn2_b32 vcc_lo, exec_lo, s6
	s_cbranch_vccz .LBB74_58
.LBB74_20:                              ;   in Loop: Header=BB74_4 Depth=1
	s_and_saveexec_b32 s6, s0
	s_xor_b32 s0, exec_lo, s6
	s_cbranch_execnz .LBB74_64
.LBB74_21:                              ;   in Loop: Header=BB74_4 Depth=1
	s_or_b32 exec_lo, exec_lo, s0
	s_and_saveexec_b32 s0, s1
	s_cbranch_execnz .LBB74_65
.LBB74_22:                              ;   in Loop: Header=BB74_4 Depth=1
	s_or_b32 exec_lo, exec_lo, s0
	s_and_saveexec_b32 s0, s2
	s_cbranch_execnz .LBB74_66
.LBB74_23:                              ;   in Loop: Header=BB74_4 Depth=1
	s_or_b32 exec_lo, exec_lo, s0
	s_and_saveexec_b32 s0, s3
	s_cbranch_execz .LBB74_3
	s_branch .LBB74_67
.LBB74_24:                              ;   in Loop: Header=BB74_4 Depth=1
	v_mov_b32_e32 v11, 1
	s_and_b32 vcc_lo, exec_lo, s6
	s_cbranch_vccnz .LBB74_27
; %bb.25:                               ;   in Loop: Header=BB74_4 Depth=1
	s_waitcnt vmcnt(0)
	v_mov_b32_e32 v15, v13
	s_mov_b32 s6, s17
.LBB74_26:                              ;   Parent Loop BB74_4 Depth=1
                                        ; =>  This Inner Loop Header: Depth=2
	s_bitcmp1_b32 s6, 0
	s_cselect_b32 vcc_lo, -1, 0
	s_lshr_b32 s25, s6, 1
	v_cndmask_b32_e32 v16, 1, v15, vcc_lo
	v_mul_lo_u32 v15, v15, v15
	s_cmp_gt_u32 s6, 1
	s_mov_b32 s6, s25
	v_mul_lo_u32 v11, v16, v11
	s_cbranch_scc1 .LBB74_26
.LBB74_27:                              ;   in Loop: Header=BB74_4 Depth=1
	s_cbranch_execnz .LBB74_14
.LBB74_28:                              ;   in Loop: Header=BB74_4 Depth=1
	s_mov_b32 s6, 0
	s_mov_b32 s25, 0
	s_mov_b32 s26, exec_lo
	s_waitcnt vmcnt(0)
	v_cmpx_lt_i32_e32 0, v13
	s_xor_b32 s26, exec_lo, s26
	s_cbranch_execnz .LBB74_68
; %bb.29:                               ;   in Loop: Header=BB74_4 Depth=1
	s_andn2_saveexec_b32 s26, s26
	s_cbranch_execnz .LBB74_69
.LBB74_30:                              ;   in Loop: Header=BB74_4 Depth=1
	s_or_b32 exec_lo, exec_lo, s26
	s_and_saveexec_b32 s26, s25
	s_xor_b32 s25, exec_lo, s26
	s_cbranch_execnz .LBB74_70
.LBB74_31:                              ;   in Loop: Header=BB74_4 Depth=1
	s_or_b32 exec_lo, exec_lo, s25
	s_and_saveexec_b32 s25, s6
.LBB74_32:                              ;   in Loop: Header=BB74_4 Depth=1
	v_mov_b32_e32 v13, s23
.LBB74_33:                              ;   in Loop: Header=BB74_4 Depth=1
	s_or_b32 exec_lo, exec_lo, s25
	v_mov_b32_e32 v11, v13
	s_andn2_b32 vcc_lo, exec_lo, s21
	s_mov_b32 s6, -1
                                        ; implicit-def: $vgpr13
	s_cbranch_vccnz .LBB74_15
.LBB74_34:                              ;   in Loop: Header=BB74_4 Depth=1
	s_waitcnt vmcnt(0)
	v_mov_b32_e32 v13, 1
	s_andn2_b32 vcc_lo, exec_lo, s22
	s_cbranch_vccnz .LBB74_37
; %bb.35:                               ;   in Loop: Header=BB74_4 Depth=1
	v_mov_b32_e32 v15, v14
	s_mov_b32 s6, s17
.LBB74_36:                              ;   Parent Loop BB74_4 Depth=1
                                        ; =>  This Inner Loop Header: Depth=2
	s_bitcmp1_b32 s6, 0
	s_cselect_b32 vcc_lo, -1, 0
	s_lshr_b32 s25, s6, 1
	v_cndmask_b32_e32 v16, 1, v15, vcc_lo
	v_mul_lo_u32 v15, v15, v15
	s_cmp_lt_u32 s6, 2
	s_mov_b32 s6, s25
	v_mul_lo_u32 v13, v16, v13
	s_cbranch_scc0 .LBB74_36
.LBB74_37:                              ;   in Loop: Header=BB74_4 Depth=1
	s_cbranch_execnz .LBB74_16
.LBB74_38:                              ;   in Loop: Header=BB74_4 Depth=1
	s_mov_b32 s6, 0
	s_mov_b32 s25, 0
	s_mov_b32 s26, exec_lo
	s_waitcnt vmcnt(0)
	v_cmpx_lt_i32_e32 0, v14
	s_xor_b32 s26, exec_lo, s26
	s_cbranch_execnz .LBB74_71
; %bb.39:                               ;   in Loop: Header=BB74_4 Depth=1
	s_andn2_saveexec_b32 s26, s26
	s_cbranch_execnz .LBB74_72
.LBB74_40:                              ;   in Loop: Header=BB74_4 Depth=1
	s_or_b32 exec_lo, exec_lo, s26
	s_and_saveexec_b32 s26, s25
	s_xor_b32 s25, exec_lo, s26
	s_cbranch_execnz .LBB74_73
.LBB74_41:                              ;   in Loop: Header=BB74_4 Depth=1
	s_or_b32 exec_lo, exec_lo, s25
	s_and_saveexec_b32 s25, s6
.LBB74_42:                              ;   in Loop: Header=BB74_4 Depth=1
	v_mov_b32_e32 v14, s23
.LBB74_43:                              ;   in Loop: Header=BB74_4 Depth=1
	s_or_b32 exec_lo, exec_lo, s25
	v_mov_b32_e32 v13, v14
	s_andn2_b32 vcc_lo, exec_lo, s21
	s_mov_b32 s6, -1
                                        ; implicit-def: $vgpr14
	s_cbranch_vccnz .LBB74_17
.LBB74_44:                              ;   in Loop: Header=BB74_4 Depth=1
	s_waitcnt vmcnt(0)
	v_mov_b32_e32 v14, 1
	s_andn2_b32 vcc_lo, exec_lo, s22
	s_cbranch_vccnz .LBB74_47
; %bb.45:                               ;   in Loop: Header=BB74_4 Depth=1
	v_mov_b32_e32 v15, v12
	s_mov_b32 s6, s17
.LBB74_46:                              ;   Parent Loop BB74_4 Depth=1
                                        ; =>  This Inner Loop Header: Depth=2
	s_bitcmp1_b32 s6, 0
	s_cselect_b32 vcc_lo, -1, 0
	s_lshr_b32 s25, s6, 1
	v_cndmask_b32_e32 v16, 1, v15, vcc_lo
	v_mul_lo_u32 v15, v15, v15
	s_cmp_lt_u32 s6, 2
	s_mov_b32 s6, s25
	v_mul_lo_u32 v14, v16, v14
	s_cbranch_scc0 .LBB74_46
.LBB74_47:                              ;   in Loop: Header=BB74_4 Depth=1
	s_cbranch_execnz .LBB74_18
.LBB74_48:                              ;   in Loop: Header=BB74_4 Depth=1
	s_mov_b32 s6, 0
	s_mov_b32 s25, 0
	s_mov_b32 s26, exec_lo
	s_waitcnt vmcnt(0)
	v_cmpx_lt_i32_e32 0, v12
	s_xor_b32 s26, exec_lo, s26
	s_cbranch_execnz .LBB74_74
; %bb.49:                               ;   in Loop: Header=BB74_4 Depth=1
	s_andn2_saveexec_b32 s26, s26
	s_cbranch_execnz .LBB74_75
.LBB74_50:                              ;   in Loop: Header=BB74_4 Depth=1
	s_or_b32 exec_lo, exec_lo, s26
	s_and_saveexec_b32 s26, s25
	s_xor_b32 s25, exec_lo, s26
	s_cbranch_execnz .LBB74_76
.LBB74_51:                              ;   in Loop: Header=BB74_4 Depth=1
	s_or_b32 exec_lo, exec_lo, s25
	s_and_saveexec_b32 s25, s6
.LBB74_52:                              ;   in Loop: Header=BB74_4 Depth=1
	v_mov_b32_e32 v12, s23
.LBB74_53:                              ;   in Loop: Header=BB74_4 Depth=1
	s_or_b32 exec_lo, exec_lo, s25
	v_mov_b32_e32 v14, v12
	s_andn2_b32 vcc_lo, exec_lo, s21
	s_mov_b32 s6, -1
                                        ; implicit-def: $vgpr12
	s_cbranch_vccnz .LBB74_19
.LBB74_54:                              ;   in Loop: Header=BB74_4 Depth=1
	s_waitcnt vmcnt(0)
	v_mov_b32_e32 v12, 1
	s_andn2_b32 vcc_lo, exec_lo, s22
	s_cbranch_vccnz .LBB74_57
; %bb.55:                               ;   in Loop: Header=BB74_4 Depth=1
	v_mov_b32_e32 v15, v10
	s_mov_b32 s6, s17
.LBB74_56:                              ;   Parent Loop BB74_4 Depth=1
                                        ; =>  This Inner Loop Header: Depth=2
	s_bitcmp1_b32 s6, 0
	s_cselect_b32 vcc_lo, -1, 0
	s_lshr_b32 s25, s6, 1
	v_cndmask_b32_e32 v16, 1, v15, vcc_lo
	v_mul_lo_u32 v15, v15, v15
	s_cmp_lt_u32 s6, 2
	s_mov_b32 s6, s25
	v_mul_lo_u32 v12, v16, v12
	s_cbranch_scc0 .LBB74_56
.LBB74_57:                              ;   in Loop: Header=BB74_4 Depth=1
	s_cbranch_execnz .LBB74_20
.LBB74_58:                              ;   in Loop: Header=BB74_4 Depth=1
	s_mov_b32 s6, 0
	s_mov_b32 s25, 0
	s_mov_b32 s26, exec_lo
	s_waitcnt vmcnt(0)
	v_cmpx_lt_i32_e32 0, v10
	s_xor_b32 s26, exec_lo, s26
	s_cbranch_execnz .LBB74_77
; %bb.59:                               ;   in Loop: Header=BB74_4 Depth=1
	s_andn2_saveexec_b32 s26, s26
	s_cbranch_execnz .LBB74_78
.LBB74_60:                              ;   in Loop: Header=BB74_4 Depth=1
	s_or_b32 exec_lo, exec_lo, s26
	s_and_saveexec_b32 s26, s25
	s_xor_b32 s25, exec_lo, s26
	s_cbranch_execnz .LBB74_79
.LBB74_61:                              ;   in Loop: Header=BB74_4 Depth=1
	s_or_b32 exec_lo, exec_lo, s25
	s_and_saveexec_b32 s25, s6
.LBB74_62:                              ;   in Loop: Header=BB74_4 Depth=1
	v_mov_b32_e32 v10, s23
.LBB74_63:                              ;   in Loop: Header=BB74_4 Depth=1
	s_or_b32 exec_lo, exec_lo, s25
	v_mov_b32_e32 v12, v10
	s_and_saveexec_b32 s6, s0
	s_xor_b32 s0, exec_lo, s6
	s_cbranch_execz .LBB74_21
.LBB74_64:                              ;   in Loop: Header=BB74_4 Depth=1
	v_add_co_u32 v1, vcc_lo, s7, v1
	v_add_co_ci_u32_e64 v2, null, s16, v2, vcc_lo
	global_store_dword v[1:2], v11, off
	s_or_b32 exec_lo, exec_lo, s0
	s_and_saveexec_b32 s0, s1
	s_cbranch_execz .LBB74_22
.LBB74_65:                              ;   in Loop: Header=BB74_4 Depth=1
	v_add_co_u32 v1, vcc_lo, s7, v3
	v_add_co_ci_u32_e64 v2, null, s16, v4, vcc_lo
	s_waitcnt vmcnt(0)
	global_store_dword v[1:2], v13, off
	s_or_b32 exec_lo, exec_lo, s0
	s_and_saveexec_b32 s0, s2
	s_cbranch_execz .LBB74_23
.LBB74_66:                              ;   in Loop: Header=BB74_4 Depth=1
	v_add_co_u32 v1, vcc_lo, s7, v5
	v_add_co_ci_u32_e64 v2, null, s16, v6, vcc_lo
	s_waitcnt vmcnt(0)
	global_store_dword v[1:2], v14, off
	s_or_b32 exec_lo, exec_lo, s0
	s_and_saveexec_b32 s0, s3
	s_cbranch_execz .LBB74_3
.LBB74_67:                              ;   in Loop: Header=BB74_4 Depth=1
	v_add_co_u32 v1, vcc_lo, s7, v7
	v_add_co_ci_u32_e64 v2, null, s16, v8, vcc_lo
	s_waitcnt vmcnt(0)
	global_store_dword v[1:2], v12, off
	s_branch .LBB74_3
.LBB74_68:                              ;   in Loop: Header=BB74_4 Depth=1
	v_cmp_ne_u32_e32 vcc_lo, 1, v13
	s_and_b32 s25, vcc_lo, exec_lo
	s_andn2_saveexec_b32 s26, s26
	s_cbranch_execz .LBB74_30
.LBB74_69:                              ;   in Loop: Header=BB74_4 Depth=1
	v_cmp_ne_u32_e32 vcc_lo, -1, v13
	s_andn2_b32 s25, s25, exec_lo
	s_mov_b32 s6, exec_lo
	s_and_b32 s27, vcc_lo, exec_lo
	s_or_b32 s25, s25, s27
	s_or_b32 exec_lo, exec_lo, s26
	s_and_saveexec_b32 s26, s25
	s_xor_b32 s25, exec_lo, s26
	s_cbranch_execz .LBB74_31
.LBB74_70:                              ;   in Loop: Header=BB74_4 Depth=1
	v_mov_b32_e32 v13, 0
	s_andn2_b32 s6, s6, exec_lo
	s_or_b32 exec_lo, exec_lo, s25
	s_and_saveexec_b32 s25, s6
	s_cbranch_execnz .LBB74_32
	s_branch .LBB74_33
.LBB74_71:                              ;   in Loop: Header=BB74_4 Depth=1
	v_cmp_ne_u32_e32 vcc_lo, 1, v14
	s_and_b32 s25, vcc_lo, exec_lo
	s_andn2_saveexec_b32 s26, s26
	s_cbranch_execz .LBB74_40
.LBB74_72:                              ;   in Loop: Header=BB74_4 Depth=1
	v_cmp_ne_u32_e32 vcc_lo, -1, v14
	s_andn2_b32 s25, s25, exec_lo
	s_mov_b32 s6, exec_lo
	s_and_b32 s27, vcc_lo, exec_lo
	s_or_b32 s25, s25, s27
	s_or_b32 exec_lo, exec_lo, s26
	s_and_saveexec_b32 s26, s25
	s_xor_b32 s25, exec_lo, s26
	s_cbranch_execz .LBB74_41
.LBB74_73:                              ;   in Loop: Header=BB74_4 Depth=1
	v_mov_b32_e32 v14, 0
	s_andn2_b32 s6, s6, exec_lo
	s_or_b32 exec_lo, exec_lo, s25
	s_and_saveexec_b32 s25, s6
	s_cbranch_execnz .LBB74_42
	s_branch .LBB74_43
.LBB74_74:                              ;   in Loop: Header=BB74_4 Depth=1
	v_cmp_ne_u32_e32 vcc_lo, 1, v12
	s_and_b32 s25, vcc_lo, exec_lo
	s_andn2_saveexec_b32 s26, s26
	s_cbranch_execz .LBB74_50
.LBB74_75:                              ;   in Loop: Header=BB74_4 Depth=1
	v_cmp_ne_u32_e32 vcc_lo, -1, v12
	s_andn2_b32 s25, s25, exec_lo
	s_mov_b32 s6, exec_lo
	s_and_b32 s27, vcc_lo, exec_lo
	s_or_b32 s25, s25, s27
	s_or_b32 exec_lo, exec_lo, s26
	s_and_saveexec_b32 s26, s25
	s_xor_b32 s25, exec_lo, s26
	s_cbranch_execz .LBB74_51
.LBB74_76:                              ;   in Loop: Header=BB74_4 Depth=1
	v_mov_b32_e32 v12, 0
	s_andn2_b32 s6, s6, exec_lo
	s_or_b32 exec_lo, exec_lo, s25
	s_and_saveexec_b32 s25, s6
	s_cbranch_execnz .LBB74_52
	s_branch .LBB74_53
.LBB74_77:                              ;   in Loop: Header=BB74_4 Depth=1
	v_cmp_ne_u32_e32 vcc_lo, 1, v10
	s_and_b32 s25, vcc_lo, exec_lo
	s_andn2_saveexec_b32 s26, s26
	s_cbranch_execz .LBB74_60
.LBB74_78:                              ;   in Loop: Header=BB74_4 Depth=1
	v_cmp_ne_u32_e32 vcc_lo, -1, v10
	s_andn2_b32 s25, s25, exec_lo
	s_mov_b32 s6, exec_lo
	s_and_b32 s27, vcc_lo, exec_lo
	s_or_b32 s25, s25, s27
	s_or_b32 exec_lo, exec_lo, s26
	s_and_saveexec_b32 s26, s25
	s_xor_b32 s25, exec_lo, s26
	s_cbranch_execz .LBB74_61
.LBB74_79:                              ;   in Loop: Header=BB74_4 Depth=1
	v_mov_b32_e32 v10, 0
	s_andn2_b32 s6, s6, exec_lo
	s_or_b32 exec_lo, exec_lo, s25
	s_and_saveexec_b32 s25, s6
	s_cbranch_execnz .LBB74_62
	s_branch .LBB74_63
.LBB74_80:
	s_cbranch_execz .LBB74_82
	s_branch .LBB74_145
.LBB74_81:
.LBB74_82:
	v_cmp_gt_i64_e64 s0, 0x10000, s[8:9]
	v_mov_b32_e32 v2, 0
	v_lshlrev_b32_e32 v1, 2, v0
	s_mov_b32 s1, 0
	s_and_b32 s0, s0, exec_lo
	s_cselect_b32 s3, s9, 0
	s_cselect_b32 s2, s8, 0x10000
	s_mov_b32 s0, exec_lo
	v_cmpx_gt_i64_e64 s[2:3], v[1:2]
	s_cbranch_execz .LBB74_145
; %bb.83:
	s_load_dword s0, s[4:5], 0xdd4
	s_waitcnt lgkmcnt(0)
	s_cmp_gt_i32 s17, -1
	v_mov_b32_e32 v1, v2
	s_cselect_b32 s4, -1, 0
	s_cmp_lg_u32 s17, 0
	s_cselect_b32 s5, -1, 0
	s_bitcmp0_b32 s17, 0
	s_waitcnt vmcnt(0)
	v_cndmask_b32_e64 v12, 0, 1, s5
	s_cselect_b32 s6, 1, -1
	s_and_b32 s8, s0, 0xffff
	s_branch .LBB74_86
.LBB74_84:                              ;   in Loop: Header=BB74_86 Depth=1
	s_or_b32 exec_lo, exec_lo, s9
	v_mov_b32_e32 v9, v5
.LBB74_85:                              ;   in Loop: Header=BB74_86 Depth=1
	v_add_co_u32 v0, vcc_lo, v0, s8
	v_add_co_ci_u32_e64 v1, null, 0, v1, vcc_lo
	global_store_dwordx4 v[10:11], v[6:9], off
	s_waitcnt vmcnt(0)
	v_lshlrev_b64 v[2:3], 2, v[0:1]
	v_cmp_le_i64_e32 vcc_lo, s[2:3], v[2:3]
	s_or_b32 s1, vcc_lo, s1
	s_andn2_b32 exec_lo, exec_lo, s1
	s_cbranch_execz .LBB74_145
.LBB74_86:                              ; =>This Loop Header: Depth=1
                                        ;     Child Loop BB74_96 Depth 2
                                        ;     Child Loop BB74_109 Depth 2
	;; [unrolled: 1-line block ×4, first 2 shown]
	v_lshlrev_b64 v[2:3], 4, v[0:1]
	v_cmp_ne_u32_e64 s0, 1, v12
	s_mov_b32 s9, -1
                                        ; implicit-def: $vgpr6
	v_add_co_u32 v10, vcc_lo, s7, v2
	v_add_co_ci_u32_e64 v11, null, s16, v3, vcc_lo
	s_and_b32 vcc_lo, exec_lo, s4
	global_load_dwordx4 v[2:5], v[10:11], off
	s_cbranch_vccnz .LBB74_94
; %bb.87:                               ;   in Loop: Header=BB74_86 Depth=1
	s_andn2_b32 vcc_lo, exec_lo, s9
	s_cbranch_vccz .LBB74_98
.LBB74_88:                              ;   in Loop: Header=BB74_86 Depth=1
	s_andn2_b32 vcc_lo, exec_lo, s4
	s_mov_b32 s0, -1
	s_cbranch_vccz .LBB74_107
.LBB74_89:                              ;   in Loop: Header=BB74_86 Depth=1
	s_andn2_b32 vcc_lo, exec_lo, s0
	s_cbranch_vccz .LBB74_111
.LBB74_90:                              ;   in Loop: Header=BB74_86 Depth=1
	s_andn2_b32 vcc_lo, exec_lo, s4
	s_mov_b32 s0, -1
	s_cbranch_vccz .LBB74_117
.LBB74_91:                              ;   in Loop: Header=BB74_86 Depth=1
	s_andn2_b32 vcc_lo, exec_lo, s0
	s_cbranch_vccz .LBB74_121
.LBB74_92:                              ;   in Loop: Header=BB74_86 Depth=1
	s_andn2_b32 vcc_lo, exec_lo, s4
	s_mov_b32 s0, -1
	s_cbranch_vccz .LBB74_127
.LBB74_93:                              ;   in Loop: Header=BB74_86 Depth=1
	s_andn2_b32 vcc_lo, exec_lo, s0
	s_cbranch_vccnz .LBB74_85
	s_branch .LBB74_131
.LBB74_94:                              ;   in Loop: Header=BB74_86 Depth=1
	v_mov_b32_e32 v6, 1
	s_and_b32 vcc_lo, exec_lo, s0
	s_cbranch_vccnz .LBB74_97
; %bb.95:                               ;   in Loop: Header=BB74_86 Depth=1
	s_waitcnt vmcnt(0)
	v_mov_b32_e32 v7, v2
	s_mov_b32 s0, s17
.LBB74_96:                              ;   Parent Loop BB74_86 Depth=1
                                        ; =>  This Inner Loop Header: Depth=2
	s_bitcmp1_b32 s0, 0
	s_cselect_b32 vcc_lo, -1, 0
	s_lshr_b32 s9, s0, 1
	v_cndmask_b32_e32 v8, 1, v7, vcc_lo
	v_mul_lo_u32 v7, v7, v7
	s_cmp_gt_u32 s0, 1
	s_mov_b32 s0, s9
	v_mul_lo_u32 v6, v8, v6
	s_cbranch_scc1 .LBB74_96
.LBB74_97:                              ;   in Loop: Header=BB74_86 Depth=1
	s_cbranch_execnz .LBB74_88
.LBB74_98:                              ;   in Loop: Header=BB74_86 Depth=1
	s_mov_b32 s0, 0
	s_mov_b32 s9, 0
	s_mov_b32 s10, exec_lo
	s_waitcnt vmcnt(0)
	v_cmpx_lt_i32_e32 0, v2
	s_xor_b32 s10, exec_lo, s10
; %bb.99:                               ;   in Loop: Header=BB74_86 Depth=1
	v_cmp_ne_u32_e32 vcc_lo, 1, v2
	s_and_b32 s9, vcc_lo, exec_lo
; %bb.100:                              ;   in Loop: Header=BB74_86 Depth=1
	s_andn2_saveexec_b32 s10, s10
; %bb.101:                              ;   in Loop: Header=BB74_86 Depth=1
	v_cmp_ne_u32_e32 vcc_lo, -1, v2
	s_andn2_b32 s9, s9, exec_lo
	s_mov_b32 s0, exec_lo
	s_and_b32 s11, vcc_lo, exec_lo
	s_or_b32 s9, s9, s11
; %bb.102:                              ;   in Loop: Header=BB74_86 Depth=1
	s_or_b32 exec_lo, exec_lo, s10
	v_mov_b32_e32 v6, v2
	s_and_saveexec_b32 s10, s9
	s_xor_b32 s9, exec_lo, s10
; %bb.103:                              ;   in Loop: Header=BB74_86 Depth=1
	v_mov_b32_e32 v6, 0
	s_andn2_b32 s0, s0, exec_lo
; %bb.104:                              ;   in Loop: Header=BB74_86 Depth=1
	s_or_b32 exec_lo, exec_lo, s9
	s_and_saveexec_b32 s9, s0
; %bb.105:                              ;   in Loop: Header=BB74_86 Depth=1
	v_mov_b32_e32 v6, s6
; %bb.106:                              ;   in Loop: Header=BB74_86 Depth=1
	s_or_b32 exec_lo, exec_lo, s9
	s_andn2_b32 vcc_lo, exec_lo, s4
	s_mov_b32 s0, -1
	s_cbranch_vccnz .LBB74_89
.LBB74_107:                             ;   in Loop: Header=BB74_86 Depth=1
	v_mov_b32_e32 v7, 1
	s_andn2_b32 vcc_lo, exec_lo, s5
	s_cbranch_vccnz .LBB74_110
; %bb.108:                              ;   in Loop: Header=BB74_86 Depth=1
	s_waitcnt vmcnt(0)
	v_mov_b32_e32 v2, v3
	s_mov_b32 s0, s17
.LBB74_109:                             ;   Parent Loop BB74_86 Depth=1
                                        ; =>  This Inner Loop Header: Depth=2
	s_bitcmp1_b32 s0, 0
	s_cselect_b32 vcc_lo, -1, 0
	s_lshr_b32 s9, s0, 1
	v_cndmask_b32_e32 v8, 1, v2, vcc_lo
	v_mul_lo_u32 v2, v2, v2
	s_cmp_lt_u32 s0, 2
	s_mov_b32 s0, s9
	v_mul_lo_u32 v7, v8, v7
	s_cbranch_scc0 .LBB74_109
.LBB74_110:                             ;   in Loop: Header=BB74_86 Depth=1
	s_cbranch_execnz .LBB74_90
.LBB74_111:                             ;   in Loop: Header=BB74_86 Depth=1
	s_mov_b32 s0, 0
	s_mov_b32 s9, 0
	s_mov_b32 s10, exec_lo
	s_waitcnt vmcnt(0)
	v_cmpx_lt_i32_e32 0, v3
	s_xor_b32 s10, exec_lo, s10
	s_cbranch_execnz .LBB74_135
; %bb.112:                              ;   in Loop: Header=BB74_86 Depth=1
	s_andn2_saveexec_b32 s10, s10
	s_cbranch_execnz .LBB74_136
.LBB74_113:                             ;   in Loop: Header=BB74_86 Depth=1
	s_or_b32 exec_lo, exec_lo, s10
	s_and_saveexec_b32 s10, s9
	s_xor_b32 s9, exec_lo, s10
	s_cbranch_execnz .LBB74_137
.LBB74_114:                             ;   in Loop: Header=BB74_86 Depth=1
	s_or_b32 exec_lo, exec_lo, s9
	s_and_saveexec_b32 s9, s0
.LBB74_115:                             ;   in Loop: Header=BB74_86 Depth=1
	v_mov_b32_e32 v3, s6
.LBB74_116:                             ;   in Loop: Header=BB74_86 Depth=1
	s_or_b32 exec_lo, exec_lo, s9
	v_mov_b32_e32 v7, v3
	s_andn2_b32 vcc_lo, exec_lo, s4
	s_mov_b32 s0, -1
	s_cbranch_vccnz .LBB74_91
.LBB74_117:                             ;   in Loop: Header=BB74_86 Depth=1
	v_mov_b32_e32 v8, 1
	s_andn2_b32 vcc_lo, exec_lo, s5
	s_cbranch_vccnz .LBB74_120
; %bb.118:                              ;   in Loop: Header=BB74_86 Depth=1
	s_waitcnt vmcnt(0)
	v_mov_b32_e32 v2, v4
	s_mov_b32 s0, s17
.LBB74_119:                             ;   Parent Loop BB74_86 Depth=1
                                        ; =>  This Inner Loop Header: Depth=2
	s_bitcmp1_b32 s0, 0
	s_cselect_b32 vcc_lo, -1, 0
	s_lshr_b32 s9, s0, 1
	v_cndmask_b32_e32 v3, 1, v2, vcc_lo
	v_mul_lo_u32 v2, v2, v2
	s_cmp_lt_u32 s0, 2
	s_mov_b32 s0, s9
	v_mul_lo_u32 v8, v3, v8
	s_cbranch_scc0 .LBB74_119
.LBB74_120:                             ;   in Loop: Header=BB74_86 Depth=1
	s_cbranch_execnz .LBB74_92
.LBB74_121:                             ;   in Loop: Header=BB74_86 Depth=1
	s_mov_b32 s0, 0
	s_mov_b32 s9, 0
	s_mov_b32 s10, exec_lo
	s_waitcnt vmcnt(0)
	v_cmpx_lt_i32_e32 0, v4
	s_xor_b32 s10, exec_lo, s10
	s_cbranch_execnz .LBB74_138
; %bb.122:                              ;   in Loop: Header=BB74_86 Depth=1
	s_andn2_saveexec_b32 s10, s10
	s_cbranch_execnz .LBB74_139
.LBB74_123:                             ;   in Loop: Header=BB74_86 Depth=1
	s_or_b32 exec_lo, exec_lo, s10
	s_and_saveexec_b32 s10, s9
	s_xor_b32 s9, exec_lo, s10
	s_cbranch_execnz .LBB74_140
.LBB74_124:                             ;   in Loop: Header=BB74_86 Depth=1
	s_or_b32 exec_lo, exec_lo, s9
	s_and_saveexec_b32 s9, s0
.LBB74_125:                             ;   in Loop: Header=BB74_86 Depth=1
	v_mov_b32_e32 v4, s6
.LBB74_126:                             ;   in Loop: Header=BB74_86 Depth=1
	s_or_b32 exec_lo, exec_lo, s9
	v_mov_b32_e32 v8, v4
	s_andn2_b32 vcc_lo, exec_lo, s4
	s_mov_b32 s0, -1
	s_cbranch_vccnz .LBB74_93
.LBB74_127:                             ;   in Loop: Header=BB74_86 Depth=1
	v_mov_b32_e32 v9, 1
	s_andn2_b32 vcc_lo, exec_lo, s5
	s_cbranch_vccnz .LBB74_130
; %bb.128:                              ;   in Loop: Header=BB74_86 Depth=1
	s_waitcnt vmcnt(0)
	v_mov_b32_e32 v2, v5
	s_mov_b32 s0, s17
.LBB74_129:                             ;   Parent Loop BB74_86 Depth=1
                                        ; =>  This Inner Loop Header: Depth=2
	s_bitcmp1_b32 s0, 0
	s_cselect_b32 vcc_lo, -1, 0
	s_lshr_b32 s9, s0, 1
	v_cndmask_b32_e32 v3, 1, v2, vcc_lo
	v_mul_lo_u32 v2, v2, v2
	s_cmp_lt_u32 s0, 2
	s_mov_b32 s0, s9
	v_mul_lo_u32 v9, v3, v9
	s_cbranch_scc0 .LBB74_129
.LBB74_130:                             ;   in Loop: Header=BB74_86 Depth=1
	s_cbranch_execnz .LBB74_85
.LBB74_131:                             ;   in Loop: Header=BB74_86 Depth=1
	s_mov_b32 s0, 0
	s_mov_b32 s9, 0
	s_mov_b32 s10, exec_lo
	s_waitcnt vmcnt(0)
	v_cmpx_lt_i32_e32 0, v5
	s_xor_b32 s10, exec_lo, s10
	s_cbranch_execnz .LBB74_141
; %bb.132:                              ;   in Loop: Header=BB74_86 Depth=1
	s_andn2_saveexec_b32 s10, s10
	s_cbranch_execnz .LBB74_142
.LBB74_133:                             ;   in Loop: Header=BB74_86 Depth=1
	s_or_b32 exec_lo, exec_lo, s10
	s_and_saveexec_b32 s10, s9
	s_xor_b32 s9, exec_lo, s10
	s_cbranch_execnz .LBB74_143
.LBB74_134:                             ;   in Loop: Header=BB74_86 Depth=1
	s_or_b32 exec_lo, exec_lo, s9
	s_and_saveexec_b32 s9, s0
	s_cbranch_execz .LBB74_84
	s_branch .LBB74_144
.LBB74_135:                             ;   in Loop: Header=BB74_86 Depth=1
	v_cmp_ne_u32_e32 vcc_lo, 1, v3
	s_and_b32 s9, vcc_lo, exec_lo
	s_andn2_saveexec_b32 s10, s10
	s_cbranch_execz .LBB74_113
.LBB74_136:                             ;   in Loop: Header=BB74_86 Depth=1
	v_cmp_ne_u32_e32 vcc_lo, -1, v3
	s_andn2_b32 s9, s9, exec_lo
	s_mov_b32 s0, exec_lo
	s_and_b32 s11, vcc_lo, exec_lo
	s_or_b32 s9, s9, s11
	s_or_b32 exec_lo, exec_lo, s10
	s_and_saveexec_b32 s10, s9
	s_xor_b32 s9, exec_lo, s10
	s_cbranch_execz .LBB74_114
.LBB74_137:                             ;   in Loop: Header=BB74_86 Depth=1
	v_mov_b32_e32 v3, 0
	s_andn2_b32 s0, s0, exec_lo
	s_or_b32 exec_lo, exec_lo, s9
	s_and_saveexec_b32 s9, s0
	s_cbranch_execnz .LBB74_115
	s_branch .LBB74_116
.LBB74_138:                             ;   in Loop: Header=BB74_86 Depth=1
	v_cmp_ne_u32_e32 vcc_lo, 1, v4
	s_and_b32 s9, vcc_lo, exec_lo
	s_andn2_saveexec_b32 s10, s10
	s_cbranch_execz .LBB74_123
.LBB74_139:                             ;   in Loop: Header=BB74_86 Depth=1
	v_cmp_ne_u32_e32 vcc_lo, -1, v4
	s_andn2_b32 s9, s9, exec_lo
	s_mov_b32 s0, exec_lo
	s_and_b32 s11, vcc_lo, exec_lo
	s_or_b32 s9, s9, s11
	s_or_b32 exec_lo, exec_lo, s10
	s_and_saveexec_b32 s10, s9
	s_xor_b32 s9, exec_lo, s10
	s_cbranch_execz .LBB74_124
.LBB74_140:                             ;   in Loop: Header=BB74_86 Depth=1
	v_mov_b32_e32 v4, 0
	s_andn2_b32 s0, s0, exec_lo
	s_or_b32 exec_lo, exec_lo, s9
	s_and_saveexec_b32 s9, s0
	s_cbranch_execnz .LBB74_125
	s_branch .LBB74_126
.LBB74_141:                             ;   in Loop: Header=BB74_86 Depth=1
	v_cmp_ne_u32_e32 vcc_lo, 1, v5
	s_and_b32 s9, vcc_lo, exec_lo
	s_andn2_saveexec_b32 s10, s10
	s_cbranch_execz .LBB74_133
.LBB74_142:                             ;   in Loop: Header=BB74_86 Depth=1
	v_cmp_ne_u32_e32 vcc_lo, -1, v5
	s_andn2_b32 s9, s9, exec_lo
	s_mov_b32 s0, exec_lo
	s_and_b32 s11, vcc_lo, exec_lo
	s_or_b32 s9, s9, s11
	s_or_b32 exec_lo, exec_lo, s10
	s_and_saveexec_b32 s10, s9
	s_xor_b32 s9, exec_lo, s10
	s_cbranch_execz .LBB74_134
.LBB74_143:                             ;   in Loop: Header=BB74_86 Depth=1
	v_mov_b32_e32 v5, 0
	s_andn2_b32 s0, s0, exec_lo
	s_or_b32 exec_lo, exec_lo, s9
	s_and_saveexec_b32 s9, s0
	s_cbranch_execz .LBB74_84
.LBB74_144:                             ;   in Loop: Header=BB74_86 Depth=1
	v_mov_b32_e32 v5, s6
	s_branch .LBB74_84
.LBB74_145:
	s_endpgm
	.section	.rodata,"a",@progbits
	.p2align	6, 0x0
	.amdhsa_kernel _ZN2at6native12_GLOBAL__N_125multi_tensor_apply_kernelINS1_28TensorListScalarListMetadataIiLi1EEENS1_25BinaryOpScalarListFunctorIiLi1ELi1ELi0EEEJNS1_13power_functorIiEEEEEvT_T0_DpT1_
		.amdhsa_group_segment_fixed_size 0
		.amdhsa_private_segment_fixed_size 0
		.amdhsa_kernarg_size 3784
		.amdhsa_user_sgpr_count 6
		.amdhsa_user_sgpr_private_segment_buffer 1
		.amdhsa_user_sgpr_dispatch_ptr 0
		.amdhsa_user_sgpr_queue_ptr 0
		.amdhsa_user_sgpr_kernarg_segment_ptr 1
		.amdhsa_user_sgpr_dispatch_id 0
		.amdhsa_user_sgpr_flat_scratch_init 0
		.amdhsa_user_sgpr_private_segment_size 0
		.amdhsa_wavefront_size32 1
		.amdhsa_uses_dynamic_stack 0
		.amdhsa_system_sgpr_private_segment_wavefront_offset 0
		.amdhsa_system_sgpr_workgroup_id_x 1
		.amdhsa_system_sgpr_workgroup_id_y 0
		.amdhsa_system_sgpr_workgroup_id_z 0
		.amdhsa_system_sgpr_workgroup_info 0
		.amdhsa_system_vgpr_workitem_id 0
		.amdhsa_next_free_vgpr 17
		.amdhsa_next_free_sgpr 28
		.amdhsa_reserve_vcc 1
		.amdhsa_reserve_flat_scratch 0
		.amdhsa_float_round_mode_32 0
		.amdhsa_float_round_mode_16_64 0
		.amdhsa_float_denorm_mode_32 3
		.amdhsa_float_denorm_mode_16_64 3
		.amdhsa_dx10_clamp 1
		.amdhsa_ieee_mode 1
		.amdhsa_fp16_overflow 0
		.amdhsa_workgroup_processor_mode 1
		.amdhsa_memory_ordered 1
		.amdhsa_forward_progress 1
		.amdhsa_shared_vgpr_count 0
		.amdhsa_exception_fp_ieee_invalid_op 0
		.amdhsa_exception_fp_denorm_src 0
		.amdhsa_exception_fp_ieee_div_zero 0
		.amdhsa_exception_fp_ieee_overflow 0
		.amdhsa_exception_fp_ieee_underflow 0
		.amdhsa_exception_fp_ieee_inexact 0
		.amdhsa_exception_int_div_zero 0
	.end_amdhsa_kernel
	.section	.text._ZN2at6native12_GLOBAL__N_125multi_tensor_apply_kernelINS1_28TensorListScalarListMetadataIiLi1EEENS1_25BinaryOpScalarListFunctorIiLi1ELi1ELi0EEEJNS1_13power_functorIiEEEEEvT_T0_DpT1_,"axG",@progbits,_ZN2at6native12_GLOBAL__N_125multi_tensor_apply_kernelINS1_28TensorListScalarListMetadataIiLi1EEENS1_25BinaryOpScalarListFunctorIiLi1ELi1ELi0EEEJNS1_13power_functorIiEEEEEvT_T0_DpT1_,comdat
.Lfunc_end74:
	.size	_ZN2at6native12_GLOBAL__N_125multi_tensor_apply_kernelINS1_28TensorListScalarListMetadataIiLi1EEENS1_25BinaryOpScalarListFunctorIiLi1ELi1ELi0EEEJNS1_13power_functorIiEEEEEvT_T0_DpT1_, .Lfunc_end74-_ZN2at6native12_GLOBAL__N_125multi_tensor_apply_kernelINS1_28TensorListScalarListMetadataIiLi1EEENS1_25BinaryOpScalarListFunctorIiLi1ELi1ELi0EEEJNS1_13power_functorIiEEEEEvT_T0_DpT1_
                                        ; -- End function
	.set _ZN2at6native12_GLOBAL__N_125multi_tensor_apply_kernelINS1_28TensorListScalarListMetadataIiLi1EEENS1_25BinaryOpScalarListFunctorIiLi1ELi1ELi0EEEJNS1_13power_functorIiEEEEEvT_T0_DpT1_.num_vgpr, 17
	.set _ZN2at6native12_GLOBAL__N_125multi_tensor_apply_kernelINS1_28TensorListScalarListMetadataIiLi1EEENS1_25BinaryOpScalarListFunctorIiLi1ELi1ELi0EEEJNS1_13power_functorIiEEEEEvT_T0_DpT1_.num_agpr, 0
	.set _ZN2at6native12_GLOBAL__N_125multi_tensor_apply_kernelINS1_28TensorListScalarListMetadataIiLi1EEENS1_25BinaryOpScalarListFunctorIiLi1ELi1ELi0EEEJNS1_13power_functorIiEEEEEvT_T0_DpT1_.numbered_sgpr, 28
	.set _ZN2at6native12_GLOBAL__N_125multi_tensor_apply_kernelINS1_28TensorListScalarListMetadataIiLi1EEENS1_25BinaryOpScalarListFunctorIiLi1ELi1ELi0EEEJNS1_13power_functorIiEEEEEvT_T0_DpT1_.num_named_barrier, 0
	.set _ZN2at6native12_GLOBAL__N_125multi_tensor_apply_kernelINS1_28TensorListScalarListMetadataIiLi1EEENS1_25BinaryOpScalarListFunctorIiLi1ELi1ELi0EEEJNS1_13power_functorIiEEEEEvT_T0_DpT1_.private_seg_size, 0
	.set _ZN2at6native12_GLOBAL__N_125multi_tensor_apply_kernelINS1_28TensorListScalarListMetadataIiLi1EEENS1_25BinaryOpScalarListFunctorIiLi1ELi1ELi0EEEJNS1_13power_functorIiEEEEEvT_T0_DpT1_.uses_vcc, 1
	.set _ZN2at6native12_GLOBAL__N_125multi_tensor_apply_kernelINS1_28TensorListScalarListMetadataIiLi1EEENS1_25BinaryOpScalarListFunctorIiLi1ELi1ELi0EEEJNS1_13power_functorIiEEEEEvT_T0_DpT1_.uses_flat_scratch, 0
	.set _ZN2at6native12_GLOBAL__N_125multi_tensor_apply_kernelINS1_28TensorListScalarListMetadataIiLi1EEENS1_25BinaryOpScalarListFunctorIiLi1ELi1ELi0EEEJNS1_13power_functorIiEEEEEvT_T0_DpT1_.has_dyn_sized_stack, 0
	.set _ZN2at6native12_GLOBAL__N_125multi_tensor_apply_kernelINS1_28TensorListScalarListMetadataIiLi1EEENS1_25BinaryOpScalarListFunctorIiLi1ELi1ELi0EEEJNS1_13power_functorIiEEEEEvT_T0_DpT1_.has_recursion, 0
	.set _ZN2at6native12_GLOBAL__N_125multi_tensor_apply_kernelINS1_28TensorListScalarListMetadataIiLi1EEENS1_25BinaryOpScalarListFunctorIiLi1ELi1ELi0EEEJNS1_13power_functorIiEEEEEvT_T0_DpT1_.has_indirect_call, 0
	.section	.AMDGPU.csdata,"",@progbits
; Kernel info:
; codeLenInByte = 3036
; TotalNumSgprs: 30
; NumVgprs: 17
; ScratchSize: 0
; MemoryBound: 1
; FloatMode: 240
; IeeeMode: 1
; LDSByteSize: 0 bytes/workgroup (compile time only)
; SGPRBlocks: 0
; VGPRBlocks: 2
; NumSGPRsForWavesPerEU: 30
; NumVGPRsForWavesPerEU: 17
; Occupancy: 16
; WaveLimiterHint : 0
; COMPUTE_PGM_RSRC2:SCRATCH_EN: 0
; COMPUTE_PGM_RSRC2:USER_SGPR: 6
; COMPUTE_PGM_RSRC2:TRAP_HANDLER: 0
; COMPUTE_PGM_RSRC2:TGID_X_EN: 1
; COMPUTE_PGM_RSRC2:TGID_Y_EN: 0
; COMPUTE_PGM_RSRC2:TGID_Z_EN: 0
; COMPUTE_PGM_RSRC2:TIDIG_COMP_CNT: 0
	.section	.text._ZN2at6native12_GLOBAL__N_125multi_tensor_apply_kernelINS1_28TensorListScalarListMetadataIlLi1EEENS1_25BinaryOpScalarListFunctorIlLi1ELi1ELi0EEEJNS1_13power_functorIlEEEEEvT_T0_DpT1_,"axG",@progbits,_ZN2at6native12_GLOBAL__N_125multi_tensor_apply_kernelINS1_28TensorListScalarListMetadataIlLi1EEENS1_25BinaryOpScalarListFunctorIlLi1ELi1ELi0EEEJNS1_13power_functorIlEEEEEvT_T0_DpT1_,comdat
	.globl	_ZN2at6native12_GLOBAL__N_125multi_tensor_apply_kernelINS1_28TensorListScalarListMetadataIlLi1EEENS1_25BinaryOpScalarListFunctorIlLi1ELi1ELi0EEEJNS1_13power_functorIlEEEEEvT_T0_DpT1_ ; -- Begin function _ZN2at6native12_GLOBAL__N_125multi_tensor_apply_kernelINS1_28TensorListScalarListMetadataIlLi1EEENS1_25BinaryOpScalarListFunctorIlLi1ELi1ELi0EEEJNS1_13power_functorIlEEEEEvT_T0_DpT1_
	.p2align	8
	.type	_ZN2at6native12_GLOBAL__N_125multi_tensor_apply_kernelINS1_28TensorListScalarListMetadataIlLi1EEENS1_25BinaryOpScalarListFunctorIlLi1ELi1ELi0EEEJNS1_13power_functorIlEEEEEvT_T0_DpT1_,@function
_ZN2at6native12_GLOBAL__N_125multi_tensor_apply_kernelINS1_28TensorListScalarListMetadataIlLi1EEENS1_25BinaryOpScalarListFunctorIlLi1ELi1ELi0EEEJNS1_13power_functorIlEEEEEvT_T0_DpT1_: ; @_ZN2at6native12_GLOBAL__N_125multi_tensor_apply_kernelINS1_28TensorListScalarListMetadataIlLi1EEENS1_25BinaryOpScalarListFunctorIlLi1ELi1ELi0EEEJNS1_13power_functorIlEEEEEvT_T0_DpT1_
; %bb.0:
	v_mov_b32_e32 v1, 0x800
	s_add_u32 s0, s4, s6
	s_addc_u32 s1, s5, 0
	s_mov_b32 s7, 0
	global_load_ubyte v1, v1, s[0:1] offset:256
	s_lshl_b64 s[0:1], s[6:7], 2
	s_add_u32 s0, s4, s0
	s_addc_u32 s1, s5, s1
	s_load_dword s0, s[0:1], 0xa40
	s_waitcnt vmcnt(0)
	v_readfirstlane_b32 s2, v1
	s_lshl_b32 s1, s2, 3
	s_clause 0x2
	s_load_dwordx2 s[8:9], s[4:5], s1 offset:0x600
	s_load_dwordx2 s[2:3], s[4:5], s1 offset:0x0
	s_load_dwordx2 s[12:13], s[4:5], s1 offset:0x300
	s_waitcnt lgkmcnt(0)
	s_ashr_i32 s1, s0, 31
	s_lshl_b64 s[10:11], s[0:1], 19
	s_add_u32 s20, s2, s10
	s_addc_u32 s21, s3, s11
	s_lshl_b64 s[0:1], s[0:1], 16
	s_and_b32 s6, s20, 31
	s_sub_u32 s10, s12, s0
	s_subb_u32 s11, s13, s1
	s_and_b32 s0, s12, 3
	s_mov_b32 s1, s7
	s_or_b64 s[0:1], s[6:7], s[0:1]
	s_cmp_eq_u64 s[0:1], 0
	s_cbranch_scc1 .LBB75_81
; %bb.1:
	v_cmp_lt_i64_e64 s0, s[10:11], 1
	s_and_b32 vcc_lo, exec_lo, s0
	s_cbranch_vccnz .LBB75_80
; %bb.2:
	s_load_dword s0, s[4:5], 0xf54
	v_cmp_gt_i64_e64 s2, 0x10000, s[10:11]
	v_cmp_gt_u64_e64 s3, 0x10000, s[10:11]
	s_mov_b32 s1, 0
	v_cmp_gt_i64_e64 s22, s[8:9], -1
	s_mov_b64 s[16:17], 0
	s_and_b32 s2, s2, exec_lo
	s_cselect_b32 s13, s11, 0
	s_cselect_b32 s12, s10, 0x10000
	s_waitcnt lgkmcnt(0)
	s_and_b32 s23, s0, 0xffff
	s_and_b32 s0, s3, exec_lo
	s_cselect_b32 s15, s11, 0
	s_cselect_b32 s14, s10, 0x10000
	s_lshl_b32 s24, s23, 1
	s_cmp_lg_u64 s[8:9], 0
	s_mul_i32 s26, s23, 3
	s_cselect_b32 s25, -1, 0
	s_and_b32 s0, s8, 1
	v_cndmask_b32_e64 v21, 0, 1, s25
	s_cmp_eq_u64 s[0:1], 0
	s_cselect_b32 s19, 0, -1
	s_cselect_b32 s18, 1, -1
	s_lshl_b32 s27, s23, 2
	s_branch .LBB75_4
.LBB75_3:                               ;   in Loop: Header=BB75_4 Depth=1
	s_or_b32 exec_lo, exec_lo, s0
	s_add_u32 s16, s16, s27
	s_addc_u32 s17, s17, 0
	v_cmp_ge_i64_e64 s0, s[16:17], s[12:13]
	s_and_b32 vcc_lo, exec_lo, s0
	s_cbranch_vccnz .LBB75_80
.LBB75_4:                               ; =>This Loop Header: Depth=1
                                        ;     Child Loop BB75_26 Depth 2
                                        ;     Child Loop BB75_36 Depth 2
	;; [unrolled: 1-line block ×4, first 2 shown]
	v_add_co_u32 v7, s0, s16, v0
	v_add_co_ci_u32_e64 v8, null, s17, 0, s0
	s_waitcnt vmcnt(0)
	v_mov_b32_e32 v17, 0
	v_mov_b32_e32 v15, 0
	;; [unrolled: 1-line block ×3, first 2 shown]
	v_cmp_gt_u64_e64 s0, s[14:15], v[7:8]
	v_lshlrev_b64 v[1:2], 3, v[7:8]
	v_mov_b32_e32 v16, 0
	s_and_saveexec_b32 s1, s0
	s_cbranch_execz .LBB75_6
; %bb.5:                                ;   in Loop: Header=BB75_4 Depth=1
	v_add_co_u32 v3, vcc_lo, s20, v1
	v_add_co_ci_u32_e64 v4, null, s21, v2, vcc_lo
	global_load_dwordx2 v[15:16], v[3:4], off
.LBB75_6:                               ;   in Loop: Header=BB75_4 Depth=1
	s_or_b32 exec_lo, exec_lo, s1
	v_add_co_u32 v3, vcc_lo, v7, s23
	v_add_co_ci_u32_e64 v4, null, 0, v8, vcc_lo
	v_cmp_gt_u64_e64 s1, s[14:15], v[3:4]
	v_lshlrev_b64 v[3:4], 3, v[3:4]
	s_and_saveexec_b32 s2, s1
	s_cbranch_execz .LBB75_8
; %bb.7:                                ;   in Loop: Header=BB75_4 Depth=1
	v_add_co_u32 v5, vcc_lo, s20, v3
	v_add_co_ci_u32_e64 v6, null, s21, v4, vcc_lo
	global_load_dwordx2 v[17:18], v[5:6], off
.LBB75_8:                               ;   in Loop: Header=BB75_4 Depth=1
	s_or_b32 exec_lo, exec_lo, s2
	v_add_co_u32 v5, vcc_lo, v7, s24
	v_add_co_ci_u32_e64 v6, null, 0, v8, vcc_lo
	v_mov_b32_e32 v9, 0
	v_mov_b32_e32 v13, 0
	;; [unrolled: 1-line block ×3, first 2 shown]
	v_cmp_gt_u64_e64 s2, s[14:15], v[5:6]
	v_lshlrev_b64 v[5:6], 3, v[5:6]
	v_mov_b32_e32 v14, 0
	s_and_saveexec_b32 s3, s2
	s_cbranch_execz .LBB75_10
; %bb.9:                                ;   in Loop: Header=BB75_4 Depth=1
	v_add_co_u32 v11, vcc_lo, s20, v5
	v_add_co_ci_u32_e64 v12, null, s21, v6, vcc_lo
	global_load_dwordx2 v[13:14], v[11:12], off
.LBB75_10:                              ;   in Loop: Header=BB75_4 Depth=1
	s_or_b32 exec_lo, exec_lo, s3
	v_add_co_u32 v7, vcc_lo, v7, s26
	v_add_co_ci_u32_e64 v8, null, 0, v8, vcc_lo
	v_cmp_gt_u64_e64 s3, s[14:15], v[7:8]
	v_lshlrev_b64 v[7:8], 3, v[7:8]
	s_and_saveexec_b32 s6, s3
	s_cbranch_execz .LBB75_12
; %bb.11:                               ;   in Loop: Header=BB75_4 Depth=1
	v_add_co_u32 v9, vcc_lo, s20, v7
	v_add_co_ci_u32_e64 v10, null, s21, v8, vcc_lo
	global_load_dwordx2 v[9:10], v[9:10], off
.LBB75_12:                              ;   in Loop: Header=BB75_4 Depth=1
	s_or_b32 exec_lo, exec_lo, s6
	v_cmp_ne_u32_e64 s6, 1, v21
	s_and_b32 vcc_lo, exec_lo, s22
	s_mov_b32 s7, -1
                                        ; implicit-def: $vgpr11_vgpr12
	s_cbranch_vccnz .LBB75_24
; %bb.13:                               ;   in Loop: Header=BB75_4 Depth=1
	s_andn2_b32 vcc_lo, exec_lo, s7
	s_cbranch_vccz .LBB75_28
.LBB75_14:                              ;   in Loop: Header=BB75_4 Depth=1
	s_andn2_b32 vcc_lo, exec_lo, s22
	s_mov_b32 s6, -1
                                        ; implicit-def: $vgpr15_vgpr16
	s_cbranch_vccz .LBB75_34
.LBB75_15:                              ;   in Loop: Header=BB75_4 Depth=1
	s_andn2_b32 vcc_lo, exec_lo, s6
	s_cbranch_vccz .LBB75_38
.LBB75_16:                              ;   in Loop: Header=BB75_4 Depth=1
	s_andn2_b32 vcc_lo, exec_lo, s22
	s_mov_b32 s6, -1
                                        ; implicit-def: $vgpr17_vgpr18
	s_cbranch_vccz .LBB75_44
.LBB75_17:                              ;   in Loop: Header=BB75_4 Depth=1
	s_andn2_b32 vcc_lo, exec_lo, s6
	s_cbranch_vccz .LBB75_48
.LBB75_18:                              ;   in Loop: Header=BB75_4 Depth=1
	s_andn2_b32 vcc_lo, exec_lo, s22
	s_mov_b32 s6, -1
                                        ; implicit-def: $vgpr13_vgpr14
	s_cbranch_vccz .LBB75_54
.LBB75_19:                              ;   in Loop: Header=BB75_4 Depth=1
	s_andn2_b32 vcc_lo, exec_lo, s6
	s_cbranch_vccz .LBB75_58
.LBB75_20:                              ;   in Loop: Header=BB75_4 Depth=1
	s_and_saveexec_b32 s6, s0
	s_xor_b32 s0, exec_lo, s6
	s_cbranch_execnz .LBB75_64
.LBB75_21:                              ;   in Loop: Header=BB75_4 Depth=1
	s_or_b32 exec_lo, exec_lo, s0
	s_and_saveexec_b32 s0, s1
	s_cbranch_execnz .LBB75_65
.LBB75_22:                              ;   in Loop: Header=BB75_4 Depth=1
	s_or_b32 exec_lo, exec_lo, s0
	s_and_saveexec_b32 s0, s2
	s_cbranch_execnz .LBB75_66
.LBB75_23:                              ;   in Loop: Header=BB75_4 Depth=1
	s_or_b32 exec_lo, exec_lo, s0
	s_and_saveexec_b32 s0, s3
	s_cbranch_execz .LBB75_3
	s_branch .LBB75_67
.LBB75_24:                              ;   in Loop: Header=BB75_4 Depth=1
	v_mov_b32_e32 v11, 1
	v_mov_b32_e32 v12, 0
	s_and_b32 vcc_lo, exec_lo, s6
	s_cbranch_vccnz .LBB75_27
; %bb.25:                               ;   in Loop: Header=BB75_4 Depth=1
	s_waitcnt vmcnt(0)
	v_mov_b32_e32 v20, v16
	v_mov_b32_e32 v19, v15
	s_mov_b64 s[6:7], s[8:9]
	.p2align	6
.LBB75_26:                              ;   Parent Loop BB75_4 Depth=1
                                        ; =>  This Inner Loop Header: Depth=2
	s_bitcmp1_b32 s6, 0
	v_mul_lo_u32 v22, v19, v20
	s_cselect_b32 vcc_lo, -1, 0
	v_cmp_gt_u64_e64 s28, s[6:7], 1
	v_cndmask_b32_e32 v23, 1, v19, vcc_lo
	v_cndmask_b32_e32 v24, 0, v20, vcc_lo
	v_mad_u64_u32 v[19:20], null, v19, v19, 0
	s_lshr_b64 s[6:7], s[6:7], 1
	v_mul_lo_u32 v25, v23, v12
	v_mul_lo_u32 v24, v24, v11
	v_mad_u64_u32 v[11:12], null, v23, v11, 0
	s_and_b32 vcc_lo, exec_lo, s28
	v_add3_u32 v20, v20, v22, v22
	v_add3_u32 v12, v12, v25, v24
	s_cbranch_vccnz .LBB75_26
.LBB75_27:                              ;   in Loop: Header=BB75_4 Depth=1
	s_cbranch_execnz .LBB75_14
.LBB75_28:                              ;   in Loop: Header=BB75_4 Depth=1
	s_mov_b32 s6, 0
	s_mov_b32 s7, 0
	s_mov_b32 s28, exec_lo
	s_waitcnt vmcnt(0)
	v_cmpx_lt_i64_e32 0, v[15:16]
	s_xor_b32 s28, exec_lo, s28
	s_cbranch_execnz .LBB75_68
; %bb.29:                               ;   in Loop: Header=BB75_4 Depth=1
	s_andn2_saveexec_b32 s28, s28
	s_cbranch_execnz .LBB75_69
.LBB75_30:                              ;   in Loop: Header=BB75_4 Depth=1
	s_or_b32 exec_lo, exec_lo, s28
	s_and_saveexec_b32 s28, s7
	s_xor_b32 s7, exec_lo, s28
	s_cbranch_execnz .LBB75_70
.LBB75_31:                              ;   in Loop: Header=BB75_4 Depth=1
	s_or_b32 exec_lo, exec_lo, s7
	s_and_saveexec_b32 s7, s6
.LBB75_32:                              ;   in Loop: Header=BB75_4 Depth=1
	v_mov_b32_e32 v15, s18
	v_mov_b32_e32 v16, s19
.LBB75_33:                              ;   in Loop: Header=BB75_4 Depth=1
	s_or_b32 exec_lo, exec_lo, s7
	v_mov_b32_e32 v11, v15
	v_mov_b32_e32 v12, v16
	s_andn2_b32 vcc_lo, exec_lo, s22
	s_mov_b32 s6, -1
                                        ; implicit-def: $vgpr15_vgpr16
	s_cbranch_vccnz .LBB75_15
.LBB75_34:                              ;   in Loop: Header=BB75_4 Depth=1
	s_waitcnt vmcnt(0)
	v_mov_b32_e32 v15, 1
	v_mov_b32_e32 v16, 0
	s_andn2_b32 vcc_lo, exec_lo, s25
	s_cbranch_vccnz .LBB75_37
; %bb.35:                               ;   in Loop: Header=BB75_4 Depth=1
	v_mov_b32_e32 v20, v18
	v_mov_b32_e32 v19, v17
	s_mov_b64 s[6:7], s[8:9]
	.p2align	6
.LBB75_36:                              ;   Parent Loop BB75_4 Depth=1
                                        ; =>  This Inner Loop Header: Depth=2
	s_bitcmp1_b32 s6, 0
	v_mul_lo_u32 v22, v19, v20
	s_cselect_b32 vcc_lo, -1, 0
	v_cmp_lt_u64_e64 s28, s[6:7], 2
	v_cndmask_b32_e32 v23, 1, v19, vcc_lo
	v_cndmask_b32_e32 v24, 0, v20, vcc_lo
	v_mad_u64_u32 v[19:20], null, v19, v19, 0
	s_lshr_b64 s[6:7], s[6:7], 1
	v_mul_lo_u32 v25, v23, v16
	v_mul_lo_u32 v24, v24, v15
	v_mad_u64_u32 v[15:16], null, v23, v15, 0
	s_and_b32 vcc_lo, exec_lo, s28
	v_add3_u32 v20, v20, v22, v22
	v_add3_u32 v16, v16, v25, v24
	s_cbranch_vccz .LBB75_36
.LBB75_37:                              ;   in Loop: Header=BB75_4 Depth=1
	s_cbranch_execnz .LBB75_16
.LBB75_38:                              ;   in Loop: Header=BB75_4 Depth=1
	s_mov_b32 s6, 0
	s_mov_b32 s7, 0
	s_mov_b32 s28, exec_lo
	s_waitcnt vmcnt(0)
	v_cmpx_lt_i64_e32 0, v[17:18]
	s_xor_b32 s28, exec_lo, s28
	s_cbranch_execnz .LBB75_71
; %bb.39:                               ;   in Loop: Header=BB75_4 Depth=1
	s_andn2_saveexec_b32 s28, s28
	s_cbranch_execnz .LBB75_72
.LBB75_40:                              ;   in Loop: Header=BB75_4 Depth=1
	s_or_b32 exec_lo, exec_lo, s28
	s_and_saveexec_b32 s28, s7
	s_xor_b32 s7, exec_lo, s28
	s_cbranch_execnz .LBB75_73
.LBB75_41:                              ;   in Loop: Header=BB75_4 Depth=1
	s_or_b32 exec_lo, exec_lo, s7
	s_and_saveexec_b32 s7, s6
.LBB75_42:                              ;   in Loop: Header=BB75_4 Depth=1
	v_mov_b32_e32 v17, s18
	v_mov_b32_e32 v18, s19
.LBB75_43:                              ;   in Loop: Header=BB75_4 Depth=1
	s_or_b32 exec_lo, exec_lo, s7
	v_mov_b32_e32 v15, v17
	v_mov_b32_e32 v16, v18
	s_andn2_b32 vcc_lo, exec_lo, s22
	s_mov_b32 s6, -1
                                        ; implicit-def: $vgpr17_vgpr18
	s_cbranch_vccnz .LBB75_17
.LBB75_44:                              ;   in Loop: Header=BB75_4 Depth=1
	s_waitcnt vmcnt(0)
	v_mov_b32_e32 v17, 1
	v_mov_b32_e32 v18, 0
	s_andn2_b32 vcc_lo, exec_lo, s25
	s_cbranch_vccnz .LBB75_47
; %bb.45:                               ;   in Loop: Header=BB75_4 Depth=1
	v_mov_b32_e32 v20, v14
	v_mov_b32_e32 v19, v13
	s_mov_b64 s[6:7], s[8:9]
	.p2align	6
.LBB75_46:                              ;   Parent Loop BB75_4 Depth=1
                                        ; =>  This Inner Loop Header: Depth=2
	s_bitcmp1_b32 s6, 0
	v_mul_lo_u32 v22, v19, v20
	s_cselect_b32 vcc_lo, -1, 0
	v_cmp_lt_u64_e64 s28, s[6:7], 2
	v_cndmask_b32_e32 v23, 1, v19, vcc_lo
	v_cndmask_b32_e32 v24, 0, v20, vcc_lo
	v_mad_u64_u32 v[19:20], null, v19, v19, 0
	s_lshr_b64 s[6:7], s[6:7], 1
	v_mul_lo_u32 v25, v23, v18
	v_mul_lo_u32 v24, v24, v17
	v_mad_u64_u32 v[17:18], null, v23, v17, 0
	s_and_b32 vcc_lo, exec_lo, s28
	v_add3_u32 v20, v20, v22, v22
	v_add3_u32 v18, v18, v25, v24
	s_cbranch_vccz .LBB75_46
.LBB75_47:                              ;   in Loop: Header=BB75_4 Depth=1
	s_cbranch_execnz .LBB75_18
.LBB75_48:                              ;   in Loop: Header=BB75_4 Depth=1
	s_mov_b32 s6, 0
	s_mov_b32 s7, 0
	s_mov_b32 s28, exec_lo
	s_waitcnt vmcnt(0)
	v_cmpx_lt_i64_e32 0, v[13:14]
	s_xor_b32 s28, exec_lo, s28
	s_cbranch_execnz .LBB75_74
; %bb.49:                               ;   in Loop: Header=BB75_4 Depth=1
	s_andn2_saveexec_b32 s28, s28
	s_cbranch_execnz .LBB75_75
.LBB75_50:                              ;   in Loop: Header=BB75_4 Depth=1
	s_or_b32 exec_lo, exec_lo, s28
	s_and_saveexec_b32 s28, s7
	s_xor_b32 s7, exec_lo, s28
	s_cbranch_execnz .LBB75_76
.LBB75_51:                              ;   in Loop: Header=BB75_4 Depth=1
	s_or_b32 exec_lo, exec_lo, s7
	s_and_saveexec_b32 s7, s6
.LBB75_52:                              ;   in Loop: Header=BB75_4 Depth=1
	v_mov_b32_e32 v13, s18
	v_mov_b32_e32 v14, s19
.LBB75_53:                              ;   in Loop: Header=BB75_4 Depth=1
	s_or_b32 exec_lo, exec_lo, s7
	v_mov_b32_e32 v18, v14
	v_mov_b32_e32 v17, v13
	s_andn2_b32 vcc_lo, exec_lo, s22
	s_mov_b32 s6, -1
                                        ; implicit-def: $vgpr13_vgpr14
	s_cbranch_vccnz .LBB75_19
.LBB75_54:                              ;   in Loop: Header=BB75_4 Depth=1
	s_waitcnt vmcnt(0)
	v_mov_b32_e32 v13, 1
	v_mov_b32_e32 v14, 0
	s_andn2_b32 vcc_lo, exec_lo, s25
	s_cbranch_vccnz .LBB75_57
; %bb.55:                               ;   in Loop: Header=BB75_4 Depth=1
	v_mov_b32_e32 v20, v10
	v_mov_b32_e32 v19, v9
	s_mov_b64 s[6:7], s[8:9]
	.p2align	6
.LBB75_56:                              ;   Parent Loop BB75_4 Depth=1
                                        ; =>  This Inner Loop Header: Depth=2
	s_bitcmp1_b32 s6, 0
	v_mul_lo_u32 v22, v19, v20
	s_cselect_b32 vcc_lo, -1, 0
	v_cmp_lt_u64_e64 s28, s[6:7], 2
	v_cndmask_b32_e32 v23, 1, v19, vcc_lo
	v_cndmask_b32_e32 v24, 0, v20, vcc_lo
	v_mad_u64_u32 v[19:20], null, v19, v19, 0
	s_lshr_b64 s[6:7], s[6:7], 1
	v_mul_lo_u32 v25, v23, v14
	v_mul_lo_u32 v24, v24, v13
	v_mad_u64_u32 v[13:14], null, v23, v13, 0
	s_and_b32 vcc_lo, exec_lo, s28
	v_add3_u32 v20, v20, v22, v22
	v_add3_u32 v14, v14, v25, v24
	s_cbranch_vccz .LBB75_56
.LBB75_57:                              ;   in Loop: Header=BB75_4 Depth=1
	s_cbranch_execnz .LBB75_20
.LBB75_58:                              ;   in Loop: Header=BB75_4 Depth=1
	s_mov_b32 s6, 0
	s_mov_b32 s7, 0
	s_mov_b32 s28, exec_lo
	s_waitcnt vmcnt(0)
	v_cmpx_lt_i64_e32 0, v[9:10]
	s_xor_b32 s28, exec_lo, s28
	s_cbranch_execnz .LBB75_77
; %bb.59:                               ;   in Loop: Header=BB75_4 Depth=1
	s_andn2_saveexec_b32 s28, s28
	s_cbranch_execnz .LBB75_78
.LBB75_60:                              ;   in Loop: Header=BB75_4 Depth=1
	s_or_b32 exec_lo, exec_lo, s28
	s_and_saveexec_b32 s28, s7
	s_xor_b32 s7, exec_lo, s28
	s_cbranch_execnz .LBB75_79
.LBB75_61:                              ;   in Loop: Header=BB75_4 Depth=1
	s_or_b32 exec_lo, exec_lo, s7
	s_and_saveexec_b32 s7, s6
.LBB75_62:                              ;   in Loop: Header=BB75_4 Depth=1
	v_mov_b32_e32 v9, s18
	v_mov_b32_e32 v10, s19
.LBB75_63:                              ;   in Loop: Header=BB75_4 Depth=1
	s_or_b32 exec_lo, exec_lo, s7
	v_mov_b32_e32 v14, v10
	v_mov_b32_e32 v13, v9
	s_and_saveexec_b32 s6, s0
	s_xor_b32 s0, exec_lo, s6
	s_cbranch_execz .LBB75_21
.LBB75_64:                              ;   in Loop: Header=BB75_4 Depth=1
	v_add_co_u32 v1, vcc_lo, s20, v1
	v_add_co_ci_u32_e64 v2, null, s21, v2, vcc_lo
	global_store_dwordx2 v[1:2], v[11:12], off
	s_or_b32 exec_lo, exec_lo, s0
	s_and_saveexec_b32 s0, s1
	s_cbranch_execz .LBB75_22
.LBB75_65:                              ;   in Loop: Header=BB75_4 Depth=1
	v_add_co_u32 v1, vcc_lo, s20, v3
	v_add_co_ci_u32_e64 v2, null, s21, v4, vcc_lo
	s_waitcnt vmcnt(0)
	global_store_dwordx2 v[1:2], v[15:16], off
	s_or_b32 exec_lo, exec_lo, s0
	s_and_saveexec_b32 s0, s2
	s_cbranch_execz .LBB75_23
.LBB75_66:                              ;   in Loop: Header=BB75_4 Depth=1
	v_add_co_u32 v1, vcc_lo, s20, v5
	v_add_co_ci_u32_e64 v2, null, s21, v6, vcc_lo
	s_waitcnt vmcnt(0)
	global_store_dwordx2 v[1:2], v[17:18], off
	s_or_b32 exec_lo, exec_lo, s0
	s_and_saveexec_b32 s0, s3
	s_cbranch_execz .LBB75_3
.LBB75_67:                              ;   in Loop: Header=BB75_4 Depth=1
	v_add_co_u32 v1, vcc_lo, s20, v7
	v_add_co_ci_u32_e64 v2, null, s21, v8, vcc_lo
	s_waitcnt vmcnt(0)
	global_store_dwordx2 v[1:2], v[13:14], off
	s_branch .LBB75_3
.LBB75_68:                              ;   in Loop: Header=BB75_4 Depth=1
	v_cmp_ne_u64_e32 vcc_lo, 1, v[15:16]
	s_and_b32 s7, vcc_lo, exec_lo
	s_andn2_saveexec_b32 s28, s28
	s_cbranch_execz .LBB75_30
.LBB75_69:                              ;   in Loop: Header=BB75_4 Depth=1
	v_cmp_ne_u64_e32 vcc_lo, -1, v[15:16]
	s_andn2_b32 s7, s7, exec_lo
	s_mov_b32 s6, exec_lo
	s_and_b32 s29, vcc_lo, exec_lo
	s_or_b32 s7, s7, s29
	s_or_b32 exec_lo, exec_lo, s28
	s_and_saveexec_b32 s28, s7
	s_xor_b32 s7, exec_lo, s28
	s_cbranch_execz .LBB75_31
.LBB75_70:                              ;   in Loop: Header=BB75_4 Depth=1
	v_mov_b32_e32 v15, 0
	v_mov_b32_e32 v16, 0
	s_andn2_b32 s6, s6, exec_lo
	s_or_b32 exec_lo, exec_lo, s7
	s_and_saveexec_b32 s7, s6
	s_cbranch_execnz .LBB75_32
	s_branch .LBB75_33
.LBB75_71:                              ;   in Loop: Header=BB75_4 Depth=1
	v_cmp_ne_u64_e32 vcc_lo, 1, v[17:18]
	s_and_b32 s7, vcc_lo, exec_lo
	s_andn2_saveexec_b32 s28, s28
	s_cbranch_execz .LBB75_40
.LBB75_72:                              ;   in Loop: Header=BB75_4 Depth=1
	v_cmp_ne_u64_e32 vcc_lo, -1, v[17:18]
	s_andn2_b32 s7, s7, exec_lo
	s_mov_b32 s6, exec_lo
	s_and_b32 s29, vcc_lo, exec_lo
	s_or_b32 s7, s7, s29
	s_or_b32 exec_lo, exec_lo, s28
	s_and_saveexec_b32 s28, s7
	s_xor_b32 s7, exec_lo, s28
	s_cbranch_execz .LBB75_41
.LBB75_73:                              ;   in Loop: Header=BB75_4 Depth=1
	v_mov_b32_e32 v17, 0
	v_mov_b32_e32 v18, 0
	s_andn2_b32 s6, s6, exec_lo
	s_or_b32 exec_lo, exec_lo, s7
	s_and_saveexec_b32 s7, s6
	s_cbranch_execnz .LBB75_42
	s_branch .LBB75_43
.LBB75_74:                              ;   in Loop: Header=BB75_4 Depth=1
	v_cmp_ne_u64_e32 vcc_lo, 1, v[13:14]
	s_and_b32 s7, vcc_lo, exec_lo
	s_andn2_saveexec_b32 s28, s28
	s_cbranch_execz .LBB75_50
.LBB75_75:                              ;   in Loop: Header=BB75_4 Depth=1
	v_cmp_ne_u64_e32 vcc_lo, -1, v[13:14]
	s_andn2_b32 s7, s7, exec_lo
	s_mov_b32 s6, exec_lo
	s_and_b32 s29, vcc_lo, exec_lo
	s_or_b32 s7, s7, s29
	s_or_b32 exec_lo, exec_lo, s28
	s_and_saveexec_b32 s28, s7
	s_xor_b32 s7, exec_lo, s28
	s_cbranch_execz .LBB75_51
.LBB75_76:                              ;   in Loop: Header=BB75_4 Depth=1
	v_mov_b32_e32 v13, 0
	v_mov_b32_e32 v14, 0
	s_andn2_b32 s6, s6, exec_lo
	s_or_b32 exec_lo, exec_lo, s7
	s_and_saveexec_b32 s7, s6
	s_cbranch_execnz .LBB75_52
	s_branch .LBB75_53
.LBB75_77:                              ;   in Loop: Header=BB75_4 Depth=1
	v_cmp_ne_u64_e32 vcc_lo, 1, v[9:10]
	s_and_b32 s7, vcc_lo, exec_lo
	s_andn2_saveexec_b32 s28, s28
	s_cbranch_execz .LBB75_60
.LBB75_78:                              ;   in Loop: Header=BB75_4 Depth=1
	v_cmp_ne_u64_e32 vcc_lo, -1, v[9:10]
	s_andn2_b32 s7, s7, exec_lo
	s_mov_b32 s6, exec_lo
	s_and_b32 s29, vcc_lo, exec_lo
	s_or_b32 s7, s7, s29
	s_or_b32 exec_lo, exec_lo, s28
	s_and_saveexec_b32 s28, s7
	s_xor_b32 s7, exec_lo, s28
	s_cbranch_execz .LBB75_61
.LBB75_79:                              ;   in Loop: Header=BB75_4 Depth=1
	v_mov_b32_e32 v9, 0
	v_mov_b32_e32 v10, 0
	s_andn2_b32 s6, s6, exec_lo
	s_or_b32 exec_lo, exec_lo, s7
	s_and_saveexec_b32 s7, s6
	s_cbranch_execnz .LBB75_62
	s_branch .LBB75_63
.LBB75_80:
	s_cbranch_execz .LBB75_82
	s_branch .LBB75_145
.LBB75_81:
.LBB75_82:
	v_cmp_gt_i64_e64 s0, 0x10000, s[10:11]
	v_mov_b32_e32 v2, 0
	v_lshlrev_b32_e32 v1, 2, v0
	s_mov_b32 s1, 0
	s_and_b32 s0, s0, exec_lo
	s_cselect_b32 s3, s11, 0
	s_cselect_b32 s2, s10, 0x10000
	s_mov_b32 s0, exec_lo
	v_cmpx_gt_i64_e64 s[2:3], v[1:2]
	s_cbranch_execz .LBB75_145
; %bb.83:
	s_load_dword s6, s[4:5], 0xf54
	s_cmp_lg_u64 s[8:9], 0
	v_cmp_gt_i64_e64 s11, s[8:9], -1
	s_cselect_b32 s10, -1, 0
	s_and_b32 s0, s8, 1
	v_mov_b32_e32 v1, v2
	s_waitcnt vmcnt(0)
	v_cndmask_b32_e64 v16, 0, 1, s10
	s_cmp_eq_u64 s[0:1], 0
	s_cselect_b32 s5, 0, -1
	s_cselect_b32 s4, 1, -1
	s_waitcnt lgkmcnt(0)
	s_and_b32 s12, s6, 0xffff
	s_branch .LBB75_86
.LBB75_84:                              ;   in Loop: Header=BB75_86 Depth=1
	s_or_b32 exec_lo, exec_lo, s6
	v_mov_b32_e32 v13, v5
	v_mov_b32_e32 v12, v4
.LBB75_85:                              ;   in Loop: Header=BB75_86 Depth=1
	v_add_co_u32 v0, vcc_lo, v0, s12
	v_add_co_ci_u32_e64 v1, null, 0, v1, vcc_lo
	s_waitcnt vmcnt(0)
	global_store_dwordx4 v[14:15], v[6:9], off
	global_store_dwordx4 v[14:15], v[10:13], off offset:16
	v_lshlrev_b64 v[2:3], 2, v[0:1]
	v_cmp_le_i64_e32 vcc_lo, s[2:3], v[2:3]
	s_or_b32 s1, vcc_lo, s1
	s_andn2_b32 exec_lo, exec_lo, s1
	s_cbranch_execz .LBB75_145
.LBB75_86:                              ; =>This Loop Header: Depth=1
                                        ;     Child Loop BB75_96 Depth 2
                                        ;     Child Loop BB75_106 Depth 2
                                        ;     Child Loop BB75_116 Depth 2
                                        ;     Child Loop BB75_126 Depth 2
	v_lshlrev_b64 v[2:3], 5, v[0:1]
	v_cmp_ne_u32_e64 s0, 1, v16
	s_mov_b32 s6, -1
                                        ; implicit-def: $vgpr6_vgpr7
	v_add_co_u32 v14, vcc_lo, s20, v2
	v_add_co_ci_u32_e64 v15, null, s21, v3, vcc_lo
	s_and_b32 vcc_lo, exec_lo, s11
	s_clause 0x1
	global_load_dwordx4 v[2:5], v[14:15], off offset:16
	global_load_dwordx4 v[8:11], v[14:15], off
	s_cbranch_vccnz .LBB75_94
; %bb.87:                               ;   in Loop: Header=BB75_86 Depth=1
	s_andn2_b32 vcc_lo, exec_lo, s6
	s_cbranch_vccz .LBB75_98
.LBB75_88:                              ;   in Loop: Header=BB75_86 Depth=1
	s_andn2_b32 vcc_lo, exec_lo, s11
	s_mov_b32 s0, -1
	s_cbranch_vccz .LBB75_104
.LBB75_89:                              ;   in Loop: Header=BB75_86 Depth=1
	s_andn2_b32 vcc_lo, exec_lo, s0
	s_cbranch_vccz .LBB75_108
.LBB75_90:                              ;   in Loop: Header=BB75_86 Depth=1
	s_andn2_b32 vcc_lo, exec_lo, s11
	s_mov_b32 s0, -1
                                        ; implicit-def: $vgpr10_vgpr11
	s_cbranch_vccz .LBB75_114
.LBB75_91:                              ;   in Loop: Header=BB75_86 Depth=1
	s_andn2_b32 vcc_lo, exec_lo, s0
	s_cbranch_vccz .LBB75_118
.LBB75_92:                              ;   in Loop: Header=BB75_86 Depth=1
	s_andn2_b32 vcc_lo, exec_lo, s11
	s_mov_b32 s0, -1
	s_cbranch_vccz .LBB75_124
.LBB75_93:                              ;   in Loop: Header=BB75_86 Depth=1
	s_andn2_b32 vcc_lo, exec_lo, s0
	s_cbranch_vccnz .LBB75_85
	s_branch .LBB75_128
.LBB75_94:                              ;   in Loop: Header=BB75_86 Depth=1
	v_mov_b32_e32 v6, 1
	v_mov_b32_e32 v7, 0
	s_and_b32 vcc_lo, exec_lo, s0
	s_cbranch_vccnz .LBB75_97
; %bb.95:                               ;   in Loop: Header=BB75_86 Depth=1
	s_waitcnt vmcnt(0)
	v_mov_b32_e32 v13, v9
	v_mov_b32_e32 v12, v8
	s_mov_b64 s[6:7], s[8:9]
	.p2align	6
.LBB75_96:                              ;   Parent Loop BB75_86 Depth=1
                                        ; =>  This Inner Loop Header: Depth=2
	s_bitcmp1_b32 s6, 0
	v_mul_lo_u32 v17, v12, v13
	s_cselect_b32 vcc_lo, -1, 0
	v_cmp_gt_u64_e64 s0, s[6:7], 1
	v_cndmask_b32_e32 v18, 1, v12, vcc_lo
	v_cndmask_b32_e32 v19, 0, v13, vcc_lo
	v_mad_u64_u32 v[12:13], null, v12, v12, 0
	s_lshr_b64 s[6:7], s[6:7], 1
	v_mul_lo_u32 v20, v18, v7
	v_mul_lo_u32 v19, v19, v6
	v_mad_u64_u32 v[6:7], null, v18, v6, 0
	s_and_b32 vcc_lo, exec_lo, s0
	v_add3_u32 v13, v13, v17, v17
	v_add3_u32 v7, v7, v20, v19
	s_cbranch_vccnz .LBB75_96
.LBB75_97:                              ;   in Loop: Header=BB75_86 Depth=1
	s_cbranch_execnz .LBB75_88
.LBB75_98:                              ;   in Loop: Header=BB75_86 Depth=1
	s_mov_b32 s0, 0
	s_mov_b32 s6, 0
	s_mov_b32 s7, exec_lo
	s_waitcnt vmcnt(0)
	v_cmpx_lt_i64_e32 0, v[8:9]
	s_xor_b32 s7, exec_lo, s7
	s_cbranch_execnz .LBB75_132
; %bb.99:                               ;   in Loop: Header=BB75_86 Depth=1
	s_andn2_saveexec_b32 s7, s7
	s_cbranch_execnz .LBB75_133
.LBB75_100:                             ;   in Loop: Header=BB75_86 Depth=1
	s_or_b32 exec_lo, exec_lo, s7
	s_and_saveexec_b32 s7, s6
	s_xor_b32 s6, exec_lo, s7
	s_cbranch_execnz .LBB75_134
.LBB75_101:                             ;   in Loop: Header=BB75_86 Depth=1
	s_or_b32 exec_lo, exec_lo, s6
	s_and_saveexec_b32 s6, s0
.LBB75_102:                             ;   in Loop: Header=BB75_86 Depth=1
	v_mov_b32_e32 v9, s5
	v_mov_b32_e32 v8, s4
.LBB75_103:                             ;   in Loop: Header=BB75_86 Depth=1
	s_or_b32 exec_lo, exec_lo, s6
	v_mov_b32_e32 v6, v8
	v_mov_b32_e32 v7, v9
	s_andn2_b32 vcc_lo, exec_lo, s11
	s_mov_b32 s0, -1
	s_cbranch_vccnz .LBB75_89
.LBB75_104:                             ;   in Loop: Header=BB75_86 Depth=1
	s_waitcnt vmcnt(0)
	v_mov_b32_e32 v8, 1
	v_mov_b32_e32 v9, 0
	s_andn2_b32 vcc_lo, exec_lo, s10
	s_cbranch_vccnz .LBB75_107
; %bb.105:                              ;   in Loop: Header=BB75_86 Depth=1
	v_mov_b32_e32 v13, v11
	v_mov_b32_e32 v12, v10
	s_mov_b64 s[6:7], s[8:9]
	.p2align	6
.LBB75_106:                             ;   Parent Loop BB75_86 Depth=1
                                        ; =>  This Inner Loop Header: Depth=2
	s_bitcmp1_b32 s6, 0
	v_mul_lo_u32 v17, v12, v13
	s_cselect_b32 vcc_lo, -1, 0
	v_cmp_lt_u64_e64 s0, s[6:7], 2
	v_cndmask_b32_e32 v18, 1, v12, vcc_lo
	v_cndmask_b32_e32 v19, 0, v13, vcc_lo
	v_mad_u64_u32 v[12:13], null, v12, v12, 0
	s_lshr_b64 s[6:7], s[6:7], 1
	v_mul_lo_u32 v20, v18, v9
	v_mul_lo_u32 v19, v19, v8
	v_mad_u64_u32 v[8:9], null, v18, v8, 0
	s_and_b32 vcc_lo, exec_lo, s0
	v_add3_u32 v13, v13, v17, v17
	v_add3_u32 v9, v9, v20, v19
	s_cbranch_vccz .LBB75_106
.LBB75_107:                             ;   in Loop: Header=BB75_86 Depth=1
	s_cbranch_execnz .LBB75_90
.LBB75_108:                             ;   in Loop: Header=BB75_86 Depth=1
	s_mov_b32 s0, 0
	s_mov_b32 s6, 0
	s_mov_b32 s7, exec_lo
	s_waitcnt vmcnt(0)
	v_cmpx_lt_i64_e32 0, v[10:11]
	s_xor_b32 s7, exec_lo, s7
	s_cbranch_execnz .LBB75_135
; %bb.109:                              ;   in Loop: Header=BB75_86 Depth=1
	s_andn2_saveexec_b32 s7, s7
	s_cbranch_execnz .LBB75_136
.LBB75_110:                             ;   in Loop: Header=BB75_86 Depth=1
	s_or_b32 exec_lo, exec_lo, s7
	s_and_saveexec_b32 s7, s6
	s_xor_b32 s6, exec_lo, s7
	s_cbranch_execnz .LBB75_137
.LBB75_111:                             ;   in Loop: Header=BB75_86 Depth=1
	s_or_b32 exec_lo, exec_lo, s6
	s_and_saveexec_b32 s6, s0
.LBB75_112:                             ;   in Loop: Header=BB75_86 Depth=1
	v_mov_b32_e32 v11, s5
	v_mov_b32_e32 v10, s4
.LBB75_113:                             ;   in Loop: Header=BB75_86 Depth=1
	s_or_b32 exec_lo, exec_lo, s6
	v_mov_b32_e32 v8, v10
	v_mov_b32_e32 v9, v11
	s_andn2_b32 vcc_lo, exec_lo, s11
	s_mov_b32 s0, -1
                                        ; implicit-def: $vgpr10_vgpr11
	s_cbranch_vccnz .LBB75_91
.LBB75_114:                             ;   in Loop: Header=BB75_86 Depth=1
	s_waitcnt vmcnt(0)
	v_mov_b32_e32 v10, 1
	v_mov_b32_e32 v11, 0
	s_andn2_b32 vcc_lo, exec_lo, s10
	s_cbranch_vccnz .LBB75_117
; %bb.115:                              ;   in Loop: Header=BB75_86 Depth=1
	v_mov_b32_e32 v13, v3
	v_mov_b32_e32 v12, v2
	s_mov_b64 s[6:7], s[8:9]
	.p2align	6
.LBB75_116:                             ;   Parent Loop BB75_86 Depth=1
                                        ; =>  This Inner Loop Header: Depth=2
	s_bitcmp1_b32 s6, 0
	v_mul_lo_u32 v17, v12, v13
	s_cselect_b32 vcc_lo, -1, 0
	v_cmp_lt_u64_e64 s0, s[6:7], 2
	v_cndmask_b32_e32 v18, 1, v12, vcc_lo
	v_cndmask_b32_e32 v19, 0, v13, vcc_lo
	v_mad_u64_u32 v[12:13], null, v12, v12, 0
	s_lshr_b64 s[6:7], s[6:7], 1
	v_mul_lo_u32 v20, v18, v11
	v_mul_lo_u32 v19, v19, v10
	v_mad_u64_u32 v[10:11], null, v18, v10, 0
	s_and_b32 vcc_lo, exec_lo, s0
	v_add3_u32 v13, v13, v17, v17
	v_add3_u32 v11, v11, v20, v19
	s_cbranch_vccz .LBB75_116
.LBB75_117:                             ;   in Loop: Header=BB75_86 Depth=1
	s_cbranch_execnz .LBB75_92
.LBB75_118:                             ;   in Loop: Header=BB75_86 Depth=1
	s_mov_b32 s0, 0
	s_mov_b32 s6, 0
	s_mov_b32 s7, exec_lo
	s_waitcnt vmcnt(1)
	v_cmpx_lt_i64_e32 0, v[2:3]
	s_xor_b32 s7, exec_lo, s7
	s_cbranch_execnz .LBB75_138
; %bb.119:                              ;   in Loop: Header=BB75_86 Depth=1
	s_andn2_saveexec_b32 s7, s7
	s_cbranch_execnz .LBB75_139
.LBB75_120:                             ;   in Loop: Header=BB75_86 Depth=1
	s_or_b32 exec_lo, exec_lo, s7
	s_and_saveexec_b32 s7, s6
	s_xor_b32 s6, exec_lo, s7
	s_cbranch_execnz .LBB75_140
.LBB75_121:                             ;   in Loop: Header=BB75_86 Depth=1
	s_or_b32 exec_lo, exec_lo, s6
	s_and_saveexec_b32 s6, s0
.LBB75_122:                             ;   in Loop: Header=BB75_86 Depth=1
	v_mov_b32_e32 v2, s4
	v_mov_b32_e32 v3, s5
.LBB75_123:                             ;   in Loop: Header=BB75_86 Depth=1
	s_or_b32 exec_lo, exec_lo, s6
	s_waitcnt vmcnt(0)
	v_mov_b32_e32 v11, v3
	v_mov_b32_e32 v10, v2
	s_andn2_b32 vcc_lo, exec_lo, s11
	s_mov_b32 s0, -1
	s_cbranch_vccnz .LBB75_93
.LBB75_124:                             ;   in Loop: Header=BB75_86 Depth=1
	v_mov_b32_e32 v12, 1
	v_mov_b32_e32 v13, 0
	s_andn2_b32 vcc_lo, exec_lo, s10
	s_cbranch_vccnz .LBB75_127
; %bb.125:                              ;   in Loop: Header=BB75_86 Depth=1
	s_waitcnt vmcnt(1)
	v_mov_b32_e32 v2, v4
	v_mov_b32_e32 v3, v5
	s_mov_b64 s[6:7], s[8:9]
	.p2align	6
.LBB75_126:                             ;   Parent Loop BB75_86 Depth=1
                                        ; =>  This Inner Loop Header: Depth=2
	s_bitcmp1_b32 s6, 0
	v_mul_lo_u32 v17, v2, v3
	s_cselect_b32 vcc_lo, -1, 0
	v_cmp_lt_u64_e64 s0, s[6:7], 2
	v_cndmask_b32_e32 v18, 1, v2, vcc_lo
	v_cndmask_b32_e32 v19, 0, v3, vcc_lo
	v_mad_u64_u32 v[2:3], null, v2, v2, 0
	s_lshr_b64 s[6:7], s[6:7], 1
	v_mul_lo_u32 v20, v18, v13
	v_mul_lo_u32 v19, v19, v12
	v_mad_u64_u32 v[12:13], null, v18, v12, 0
	s_and_b32 vcc_lo, exec_lo, s0
	v_add3_u32 v3, v3, v17, v17
	v_add3_u32 v13, v13, v20, v19
	s_cbranch_vccz .LBB75_126
.LBB75_127:                             ;   in Loop: Header=BB75_86 Depth=1
	s_cbranch_execnz .LBB75_85
.LBB75_128:                             ;   in Loop: Header=BB75_86 Depth=1
	s_mov_b32 s0, 0
	s_mov_b32 s6, 0
	s_mov_b32 s7, exec_lo
	s_waitcnt vmcnt(1)
	v_cmpx_lt_i64_e32 0, v[4:5]
	s_xor_b32 s7, exec_lo, s7
	s_cbranch_execnz .LBB75_141
; %bb.129:                              ;   in Loop: Header=BB75_86 Depth=1
	s_andn2_saveexec_b32 s7, s7
	s_cbranch_execnz .LBB75_142
.LBB75_130:                             ;   in Loop: Header=BB75_86 Depth=1
	s_or_b32 exec_lo, exec_lo, s7
	s_and_saveexec_b32 s7, s6
	s_xor_b32 s6, exec_lo, s7
	s_cbranch_execnz .LBB75_143
.LBB75_131:                             ;   in Loop: Header=BB75_86 Depth=1
	s_or_b32 exec_lo, exec_lo, s6
	s_and_saveexec_b32 s6, s0
	s_cbranch_execz .LBB75_84
	s_branch .LBB75_144
.LBB75_132:                             ;   in Loop: Header=BB75_86 Depth=1
	v_cmp_ne_u64_e32 vcc_lo, 1, v[8:9]
	s_and_b32 s6, vcc_lo, exec_lo
	s_andn2_saveexec_b32 s7, s7
	s_cbranch_execz .LBB75_100
.LBB75_133:                             ;   in Loop: Header=BB75_86 Depth=1
	v_cmp_ne_u64_e32 vcc_lo, -1, v[8:9]
	s_andn2_b32 s6, s6, exec_lo
	s_mov_b32 s0, exec_lo
	s_and_b32 s13, vcc_lo, exec_lo
	s_or_b32 s6, s6, s13
	s_or_b32 exec_lo, exec_lo, s7
	s_and_saveexec_b32 s7, s6
	s_xor_b32 s6, exec_lo, s7
	s_cbranch_execz .LBB75_101
.LBB75_134:                             ;   in Loop: Header=BB75_86 Depth=1
	v_mov_b32_e32 v8, 0
	v_mov_b32_e32 v9, 0
	s_andn2_b32 s0, s0, exec_lo
	s_or_b32 exec_lo, exec_lo, s6
	s_and_saveexec_b32 s6, s0
	s_cbranch_execnz .LBB75_102
	s_branch .LBB75_103
.LBB75_135:                             ;   in Loop: Header=BB75_86 Depth=1
	v_cmp_ne_u64_e32 vcc_lo, 1, v[10:11]
	s_and_b32 s6, vcc_lo, exec_lo
	s_andn2_saveexec_b32 s7, s7
	s_cbranch_execz .LBB75_110
.LBB75_136:                             ;   in Loop: Header=BB75_86 Depth=1
	v_cmp_ne_u64_e32 vcc_lo, -1, v[10:11]
	s_andn2_b32 s6, s6, exec_lo
	s_mov_b32 s0, exec_lo
	s_and_b32 s13, vcc_lo, exec_lo
	s_or_b32 s6, s6, s13
	s_or_b32 exec_lo, exec_lo, s7
	s_and_saveexec_b32 s7, s6
	s_xor_b32 s6, exec_lo, s7
	s_cbranch_execz .LBB75_111
.LBB75_137:                             ;   in Loop: Header=BB75_86 Depth=1
	v_mov_b32_e32 v10, 0
	v_mov_b32_e32 v11, 0
	s_andn2_b32 s0, s0, exec_lo
	s_or_b32 exec_lo, exec_lo, s6
	s_and_saveexec_b32 s6, s0
	s_cbranch_execnz .LBB75_112
	s_branch .LBB75_113
.LBB75_138:                             ;   in Loop: Header=BB75_86 Depth=1
	v_cmp_ne_u64_e32 vcc_lo, 1, v[2:3]
	s_and_b32 s6, vcc_lo, exec_lo
	s_andn2_saveexec_b32 s7, s7
	s_cbranch_execz .LBB75_120
.LBB75_139:                             ;   in Loop: Header=BB75_86 Depth=1
	v_cmp_ne_u64_e32 vcc_lo, -1, v[2:3]
	s_andn2_b32 s6, s6, exec_lo
	s_mov_b32 s0, exec_lo
	s_and_b32 s13, vcc_lo, exec_lo
	s_or_b32 s6, s6, s13
	s_or_b32 exec_lo, exec_lo, s7
	s_and_saveexec_b32 s7, s6
	s_xor_b32 s6, exec_lo, s7
	s_cbranch_execz .LBB75_121
.LBB75_140:                             ;   in Loop: Header=BB75_86 Depth=1
	v_mov_b32_e32 v2, 0
	v_mov_b32_e32 v3, 0
	s_andn2_b32 s0, s0, exec_lo
	s_or_b32 exec_lo, exec_lo, s6
	s_and_saveexec_b32 s6, s0
	s_cbranch_execnz .LBB75_122
	s_branch .LBB75_123
.LBB75_141:                             ;   in Loop: Header=BB75_86 Depth=1
	v_cmp_ne_u64_e32 vcc_lo, 1, v[4:5]
	s_and_b32 s6, vcc_lo, exec_lo
	s_andn2_saveexec_b32 s7, s7
	s_cbranch_execz .LBB75_130
.LBB75_142:                             ;   in Loop: Header=BB75_86 Depth=1
	v_cmp_ne_u64_e32 vcc_lo, -1, v[4:5]
	s_andn2_b32 s6, s6, exec_lo
	s_mov_b32 s0, exec_lo
	s_and_b32 s13, vcc_lo, exec_lo
	s_or_b32 s6, s6, s13
	s_or_b32 exec_lo, exec_lo, s7
	s_and_saveexec_b32 s7, s6
	s_xor_b32 s6, exec_lo, s7
	s_cbranch_execz .LBB75_131
.LBB75_143:                             ;   in Loop: Header=BB75_86 Depth=1
	v_mov_b32_e32 v4, 0
	v_mov_b32_e32 v5, 0
	s_andn2_b32 s0, s0, exec_lo
	s_or_b32 exec_lo, exec_lo, s6
	s_and_saveexec_b32 s6, s0
	s_cbranch_execz .LBB75_84
.LBB75_144:                             ;   in Loop: Header=BB75_86 Depth=1
	v_mov_b32_e32 v4, s4
	v_mov_b32_e32 v5, s5
	s_branch .LBB75_84
.LBB75_145:
	s_endpgm
	.section	.rodata,"a",@progbits
	.p2align	6, 0x0
	.amdhsa_kernel _ZN2at6native12_GLOBAL__N_125multi_tensor_apply_kernelINS1_28TensorListScalarListMetadataIlLi1EEENS1_25BinaryOpScalarListFunctorIlLi1ELi1ELi0EEEJNS1_13power_functorIlEEEEEvT_T0_DpT1_
		.amdhsa_group_segment_fixed_size 0
		.amdhsa_private_segment_fixed_size 0
		.amdhsa_kernarg_size 4168
		.amdhsa_user_sgpr_count 6
		.amdhsa_user_sgpr_private_segment_buffer 1
		.amdhsa_user_sgpr_dispatch_ptr 0
		.amdhsa_user_sgpr_queue_ptr 0
		.amdhsa_user_sgpr_kernarg_segment_ptr 1
		.amdhsa_user_sgpr_dispatch_id 0
		.amdhsa_user_sgpr_flat_scratch_init 0
		.amdhsa_user_sgpr_private_segment_size 0
		.amdhsa_wavefront_size32 1
		.amdhsa_uses_dynamic_stack 0
		.amdhsa_system_sgpr_private_segment_wavefront_offset 0
		.amdhsa_system_sgpr_workgroup_id_x 1
		.amdhsa_system_sgpr_workgroup_id_y 0
		.amdhsa_system_sgpr_workgroup_id_z 0
		.amdhsa_system_sgpr_workgroup_info 0
		.amdhsa_system_vgpr_workitem_id 0
		.amdhsa_next_free_vgpr 26
		.amdhsa_next_free_sgpr 30
		.amdhsa_reserve_vcc 1
		.amdhsa_reserve_flat_scratch 0
		.amdhsa_float_round_mode_32 0
		.amdhsa_float_round_mode_16_64 0
		.amdhsa_float_denorm_mode_32 3
		.amdhsa_float_denorm_mode_16_64 3
		.amdhsa_dx10_clamp 1
		.amdhsa_ieee_mode 1
		.amdhsa_fp16_overflow 0
		.amdhsa_workgroup_processor_mode 1
		.amdhsa_memory_ordered 1
		.amdhsa_forward_progress 1
		.amdhsa_shared_vgpr_count 0
		.amdhsa_exception_fp_ieee_invalid_op 0
		.amdhsa_exception_fp_denorm_src 0
		.amdhsa_exception_fp_ieee_div_zero 0
		.amdhsa_exception_fp_ieee_overflow 0
		.amdhsa_exception_fp_ieee_underflow 0
		.amdhsa_exception_fp_ieee_inexact 0
		.amdhsa_exception_int_div_zero 0
	.end_amdhsa_kernel
	.section	.text._ZN2at6native12_GLOBAL__N_125multi_tensor_apply_kernelINS1_28TensorListScalarListMetadataIlLi1EEENS1_25BinaryOpScalarListFunctorIlLi1ELi1ELi0EEEJNS1_13power_functorIlEEEEEvT_T0_DpT1_,"axG",@progbits,_ZN2at6native12_GLOBAL__N_125multi_tensor_apply_kernelINS1_28TensorListScalarListMetadataIlLi1EEENS1_25BinaryOpScalarListFunctorIlLi1ELi1ELi0EEEJNS1_13power_functorIlEEEEEvT_T0_DpT1_,comdat
.Lfunc_end75:
	.size	_ZN2at6native12_GLOBAL__N_125multi_tensor_apply_kernelINS1_28TensorListScalarListMetadataIlLi1EEENS1_25BinaryOpScalarListFunctorIlLi1ELi1ELi0EEEJNS1_13power_functorIlEEEEEvT_T0_DpT1_, .Lfunc_end75-_ZN2at6native12_GLOBAL__N_125multi_tensor_apply_kernelINS1_28TensorListScalarListMetadataIlLi1EEENS1_25BinaryOpScalarListFunctorIlLi1ELi1ELi0EEEJNS1_13power_functorIlEEEEEvT_T0_DpT1_
                                        ; -- End function
	.set _ZN2at6native12_GLOBAL__N_125multi_tensor_apply_kernelINS1_28TensorListScalarListMetadataIlLi1EEENS1_25BinaryOpScalarListFunctorIlLi1ELi1ELi0EEEJNS1_13power_functorIlEEEEEvT_T0_DpT1_.num_vgpr, 26
	.set _ZN2at6native12_GLOBAL__N_125multi_tensor_apply_kernelINS1_28TensorListScalarListMetadataIlLi1EEENS1_25BinaryOpScalarListFunctorIlLi1ELi1ELi0EEEJNS1_13power_functorIlEEEEEvT_T0_DpT1_.num_agpr, 0
	.set _ZN2at6native12_GLOBAL__N_125multi_tensor_apply_kernelINS1_28TensorListScalarListMetadataIlLi1EEENS1_25BinaryOpScalarListFunctorIlLi1ELi1ELi0EEEJNS1_13power_functorIlEEEEEvT_T0_DpT1_.numbered_sgpr, 30
	.set _ZN2at6native12_GLOBAL__N_125multi_tensor_apply_kernelINS1_28TensorListScalarListMetadataIlLi1EEENS1_25BinaryOpScalarListFunctorIlLi1ELi1ELi0EEEJNS1_13power_functorIlEEEEEvT_T0_DpT1_.num_named_barrier, 0
	.set _ZN2at6native12_GLOBAL__N_125multi_tensor_apply_kernelINS1_28TensorListScalarListMetadataIlLi1EEENS1_25BinaryOpScalarListFunctorIlLi1ELi1ELi0EEEJNS1_13power_functorIlEEEEEvT_T0_DpT1_.private_seg_size, 0
	.set _ZN2at6native12_GLOBAL__N_125multi_tensor_apply_kernelINS1_28TensorListScalarListMetadataIlLi1EEENS1_25BinaryOpScalarListFunctorIlLi1ELi1ELi0EEEJNS1_13power_functorIlEEEEEvT_T0_DpT1_.uses_vcc, 1
	.set _ZN2at6native12_GLOBAL__N_125multi_tensor_apply_kernelINS1_28TensorListScalarListMetadataIlLi1EEENS1_25BinaryOpScalarListFunctorIlLi1ELi1ELi0EEEJNS1_13power_functorIlEEEEEvT_T0_DpT1_.uses_flat_scratch, 0
	.set _ZN2at6native12_GLOBAL__N_125multi_tensor_apply_kernelINS1_28TensorListScalarListMetadataIlLi1EEENS1_25BinaryOpScalarListFunctorIlLi1ELi1ELi0EEEJNS1_13power_functorIlEEEEEvT_T0_DpT1_.has_dyn_sized_stack, 0
	.set _ZN2at6native12_GLOBAL__N_125multi_tensor_apply_kernelINS1_28TensorListScalarListMetadataIlLi1EEENS1_25BinaryOpScalarListFunctorIlLi1ELi1ELi0EEEJNS1_13power_functorIlEEEEEvT_T0_DpT1_.has_recursion, 0
	.set _ZN2at6native12_GLOBAL__N_125multi_tensor_apply_kernelINS1_28TensorListScalarListMetadataIlLi1EEENS1_25BinaryOpScalarListFunctorIlLi1ELi1ELi0EEEJNS1_13power_functorIlEEEEEvT_T0_DpT1_.has_indirect_call, 0
	.section	.AMDGPU.csdata,"",@progbits
; Kernel info:
; codeLenInByte = 3952
; TotalNumSgprs: 32
; NumVgprs: 26
; ScratchSize: 0
; MemoryBound: 1
; FloatMode: 240
; IeeeMode: 1
; LDSByteSize: 0 bytes/workgroup (compile time only)
; SGPRBlocks: 0
; VGPRBlocks: 3
; NumSGPRsForWavesPerEU: 32
; NumVGPRsForWavesPerEU: 26
; Occupancy: 16
; WaveLimiterHint : 1
; COMPUTE_PGM_RSRC2:SCRATCH_EN: 0
; COMPUTE_PGM_RSRC2:USER_SGPR: 6
; COMPUTE_PGM_RSRC2:TRAP_HANDLER: 0
; COMPUTE_PGM_RSRC2:TGID_X_EN: 1
; COMPUTE_PGM_RSRC2:TGID_Y_EN: 0
; COMPUTE_PGM_RSRC2:TGID_Z_EN: 0
; COMPUTE_PGM_RSRC2:TIDIG_COMP_CNT: 0
	.section	.text._ZN2at6native12_GLOBAL__N_125multi_tensor_apply_kernelINS1_28TensorListScalarListMetadataIsLi1EEENS1_25BinaryOpScalarListFunctorIsLi1ELi1ELi0EEEJNS1_13power_functorIsEEEEEvT_T0_DpT1_,"axG",@progbits,_ZN2at6native12_GLOBAL__N_125multi_tensor_apply_kernelINS1_28TensorListScalarListMetadataIsLi1EEENS1_25BinaryOpScalarListFunctorIsLi1ELi1ELi0EEEJNS1_13power_functorIsEEEEEvT_T0_DpT1_,comdat
	.globl	_ZN2at6native12_GLOBAL__N_125multi_tensor_apply_kernelINS1_28TensorListScalarListMetadataIsLi1EEENS1_25BinaryOpScalarListFunctorIsLi1ELi1ELi0EEEJNS1_13power_functorIsEEEEEvT_T0_DpT1_ ; -- Begin function _ZN2at6native12_GLOBAL__N_125multi_tensor_apply_kernelINS1_28TensorListScalarListMetadataIsLi1EEENS1_25BinaryOpScalarListFunctorIsLi1ELi1ELi0EEEJNS1_13power_functorIsEEEEEvT_T0_DpT1_
	.p2align	8
	.type	_ZN2at6native12_GLOBAL__N_125multi_tensor_apply_kernelINS1_28TensorListScalarListMetadataIsLi1EEENS1_25BinaryOpScalarListFunctorIsLi1ELi1ELi0EEEJNS1_13power_functorIsEEEEEvT_T0_DpT1_,@function
_ZN2at6native12_GLOBAL__N_125multi_tensor_apply_kernelINS1_28TensorListScalarListMetadataIsLi1EEENS1_25BinaryOpScalarListFunctorIsLi1ELi1ELi0EEEJNS1_13power_functorIsEEEEEvT_T0_DpT1_: ; @_ZN2at6native12_GLOBAL__N_125multi_tensor_apply_kernelINS1_28TensorListScalarListMetadataIsLi1EEENS1_25BinaryOpScalarListFunctorIsLi1ELi1ELi0EEEJNS1_13power_functorIsEEEEEvT_T0_DpT1_
; %bb.0:
	v_mov_b32_e32 v1, s6
	s_add_u32 s0, s4, s6
	s_mul_i32 s1, s6, 3
	s_mul_hi_u32 s2, s6, 3
	s_addc_u32 s3, s5, 0
	global_load_ubyte v1, v1, s[4:5] offset:1728
	s_add_u32 s0, s0, s1
	s_addc_u32 s1, s3, s2
	s_mov_b32 s11, 0
	s_load_dword s0, s[0:1], 0x800
	s_mov_b32 s15, s11
	s_waitcnt vmcnt(0)
	v_readfirstlane_b32 s1, v1
	v_mul_lo_u32 v2, v1, -6
	v_mul_hi_i32 v3, v1, -6
	s_lshl_b32 s6, s1, 3
	s_waitcnt lgkmcnt(0)
	s_ashr_i32 s1, s0, 31
	s_add_u32 s7, s4, s6
	s_addc_u32 s8, s5, 0
	v_add_co_u32 v1, vcc_lo, s7, v2
	v_add_co_ci_u32_e64 v2, null, s8, v3, vcc_lo
	s_load_dwordx2 s[2:3], s[4:5], s6 offset:0x300
	s_lshl_b64 s[12:13], s[0:1], 17
	global_load_ushort v1, v[1:2], off offset:1536
	s_load_dwordx2 s[8:9], s[4:5], s6 offset:0x0
	s_waitcnt lgkmcnt(0)
	s_add_u32 s7, s8, s12
	s_addc_u32 s16, s9, s13
	s_lshl_b64 s[0:1], s[0:1], 16
	s_and_b32 s10, s7, 7
	s_sub_u32 s8, s2, s0
	s_subb_u32 s9, s3, s1
	s_and_b32 s14, s2, 3
	s_or_b64 s[0:1], s[10:11], s[14:15]
	s_cmp_eq_u64 s[0:1], 0
	s_waitcnt vmcnt(0)
	v_readfirstlane_b32 s17, v1
	s_cbranch_scc1 .LBB76_81
; %bb.1:
	v_cmp_lt_i64_e64 s0, s[8:9], 1
	s_and_b32 vcc_lo, exec_lo, s0
	s_cbranch_vccnz .LBB76_80
; %bb.2:
	s_load_dword s0, s[4:5], 0xd14
	v_cmp_gt_i64_e64 s1, 0x10000, s[8:9]
	v_cmp_gt_u64_e64 s2, 0x10000, s[8:9]
	s_sext_i32_i16 s3, s17
	s_mov_b64 s[14:15], 0
	s_and_b32 s1, s1, exec_lo
	s_cselect_b32 s11, s9, 0
	s_cselect_b32 s10, s8, 0x10000
	s_waitcnt lgkmcnt(0)
	s_and_b32 s18, s0, 0xffff
	s_and_b32 s0, s2, exec_lo
	s_cselect_b32 s13, s9, 0
	s_cselect_b32 s12, s8, 0x10000
	s_lshl_b32 s19, s18, 1
	s_cmp_gt_i32 s3, -1
	s_mul_i32 s21, s18, 3
	s_cselect_b32 s20, -1, 0
	s_and_b32 s0, 0xffff, s17
	s_cmp_lg_u32 s0, 0
	s_cselect_b32 s22, -1, 0
	s_bitcmp0_b32 s17, 0
	v_cndmask_b32_e64 v9, 0, 1, s22
	s_cselect_b32 s23, 1, 0xffff
	s_lshl_b32 s24, s18, 2
	s_branch .LBB76_4
.LBB76_3:                               ;   in Loop: Header=BB76_4 Depth=1
	s_or_b32 exec_lo, exec_lo, s0
	s_add_u32 s14, s14, s24
	s_addc_u32 s15, s15, 0
	v_cmp_ge_i64_e64 s0, s[14:15], s[10:11]
	s_and_b32 vcc_lo, exec_lo, s0
	s_cbranch_vccnz .LBB76_80
.LBB76_4:                               ; =>This Loop Header: Depth=1
                                        ;     Child Loop BB76_15 Depth 2
                                        ;     Child Loop BB76_20 Depth 2
	;; [unrolled: 1-line block ×4, first 2 shown]
	v_add_co_u32 v7, s0, s14, v0
	v_add_co_ci_u32_e64 v8, null, s15, 0, s0
	s_waitcnt vmcnt(0)
	v_mov_b32_e32 v13, 0
	v_cmp_gt_u64_e64 s0, s[12:13], v[7:8]
	v_lshlrev_b64 v[1:2], 1, v[7:8]
	s_and_saveexec_b32 s1, s0
	s_cbranch_execz .LBB76_6
; %bb.5:                                ;   in Loop: Header=BB76_4 Depth=1
	v_add_co_u32 v3, vcc_lo, s7, v1
	v_add_co_ci_u32_e64 v4, null, s16, v2, vcc_lo
	global_load_ushort v13, v[3:4], off
.LBB76_6:                               ;   in Loop: Header=BB76_4 Depth=1
	s_or_b32 exec_lo, exec_lo, s1
	v_add_co_u32 v3, vcc_lo, v7, s18
	v_add_co_ci_u32_e64 v4, null, 0, v8, vcc_lo
	v_mov_b32_e32 v12, 0
	v_mov_b32_e32 v14, 0
	v_cmp_gt_u64_e64 s1, s[12:13], v[3:4]
	v_lshlrev_b64 v[3:4], 1, v[3:4]
	s_and_saveexec_b32 s2, s1
	s_cbranch_execz .LBB76_8
; %bb.7:                                ;   in Loop: Header=BB76_4 Depth=1
	v_add_co_u32 v5, vcc_lo, s7, v3
	v_add_co_ci_u32_e64 v6, null, s16, v4, vcc_lo
	global_load_ushort v14, v[5:6], off
.LBB76_8:                               ;   in Loop: Header=BB76_4 Depth=1
	s_or_b32 exec_lo, exec_lo, s2
	v_add_co_u32 v5, vcc_lo, v7, s19
	v_add_co_ci_u32_e64 v6, null, 0, v8, vcc_lo
	v_cmp_gt_u64_e64 s2, s[12:13], v[5:6]
	v_lshlrev_b64 v[5:6], 1, v[5:6]
	s_and_saveexec_b32 s3, s2
	s_cbranch_execz .LBB76_10
; %bb.9:                                ;   in Loop: Header=BB76_4 Depth=1
	v_add_co_u32 v10, vcc_lo, s7, v5
	v_add_co_ci_u32_e64 v11, null, s16, v6, vcc_lo
	global_load_ushort v12, v[10:11], off
.LBB76_10:                              ;   in Loop: Header=BB76_4 Depth=1
	s_or_b32 exec_lo, exec_lo, s3
	v_add_co_u32 v7, vcc_lo, v7, s21
	v_add_co_ci_u32_e64 v8, null, 0, v8, vcc_lo
	v_mov_b32_e32 v10, 0
	v_cmp_gt_u64_e64 s3, s[12:13], v[7:8]
	v_lshlrev_b64 v[7:8], 1, v[7:8]
	s_and_saveexec_b32 s6, s3
	s_cbranch_execz .LBB76_12
; %bb.11:                               ;   in Loop: Header=BB76_4 Depth=1
	v_add_co_u32 v10, vcc_lo, s7, v7
	v_add_co_ci_u32_e64 v11, null, s16, v8, vcc_lo
	global_load_ushort v10, v[10:11], off
.LBB76_12:                              ;   in Loop: Header=BB76_4 Depth=1
	s_or_b32 exec_lo, exec_lo, s6
	v_cmp_ne_u32_e64 s6, 1, v9
	s_and_b32 vcc_lo, exec_lo, s20
	s_mov_b32 s25, -1
                                        ; implicit-def: $vgpr11
	s_cbranch_vccz .LBB76_36
; %bb.13:                               ;   in Loop: Header=BB76_4 Depth=1
	v_mov_b32_e32 v11, 1
	s_and_b32 vcc_lo, exec_lo, s6
	s_cbranch_vccnz .LBB76_16
; %bb.14:                               ;   in Loop: Header=BB76_4 Depth=1
	s_waitcnt vmcnt(0)
	v_mov_b32_e32 v15, v13
	s_mov_b32 s6, s17
.LBB76_15:                              ;   Parent Loop BB76_4 Depth=1
                                        ; =>  This Inner Loop Header: Depth=2
	s_bitcmp1_b32 s6, 0
	s_sext_i32_i16 s25, s6
	s_cselect_b32 vcc_lo, -1, 0
	s_and_b32 s6, 0xffff, s6
	v_cndmask_b32_e32 v16, 1, v15, vcc_lo
	v_mul_lo_u16 v15, v15, v15
	s_lshr_b32 s6, s6, 1
	s_cmp_gt_i32 s25, 1
	v_mul_lo_u16 v11, v16, v11
	s_cbranch_scc1 .LBB76_15
.LBB76_16:                              ;   in Loop: Header=BB76_4 Depth=1
	s_cbranch_execz .LBB76_37
.LBB76_17:                              ;   in Loop: Header=BB76_4 Depth=1
	s_andn2_b32 vcc_lo, exec_lo, s20
	s_mov_b32 s6, -1
                                        ; implicit-def: $vgpr13
	s_cbranch_vccnz .LBB76_46
.LBB76_18:                              ;   in Loop: Header=BB76_4 Depth=1
	s_waitcnt vmcnt(0)
	v_mov_b32_e32 v13, 1
	s_andn2_b32 vcc_lo, exec_lo, s22
	s_cbranch_vccnz .LBB76_21
; %bb.19:                               ;   in Loop: Header=BB76_4 Depth=1
	v_mov_b32_e32 v15, v14
	s_mov_b32 s6, s17
.LBB76_20:                              ;   Parent Loop BB76_4 Depth=1
                                        ; =>  This Inner Loop Header: Depth=2
	s_bitcmp1_b32 s6, 0
	s_sext_i32_i16 s25, s6
	s_cselect_b32 vcc_lo, -1, 0
	s_and_b32 s6, 0xffff, s6
	v_cndmask_b32_e32 v16, 1, v15, vcc_lo
	v_mul_lo_u16 v15, v15, v15
	s_lshr_b32 s6, s6, 1
	s_cmp_lt_i32 s25, 2
	v_mul_lo_u16 v13, v16, v13
	s_cbranch_scc0 .LBB76_20
.LBB76_21:                              ;   in Loop: Header=BB76_4 Depth=1
	s_cbranch_execz .LBB76_47
.LBB76_22:                              ;   in Loop: Header=BB76_4 Depth=1
	s_andn2_b32 vcc_lo, exec_lo, s20
	s_mov_b32 s6, -1
                                        ; implicit-def: $vgpr14
	s_cbranch_vccnz .LBB76_56
.LBB76_23:                              ;   in Loop: Header=BB76_4 Depth=1
	s_waitcnt vmcnt(0)
	v_mov_b32_e32 v14, 1
	s_andn2_b32 vcc_lo, exec_lo, s22
	s_cbranch_vccnz .LBB76_26
; %bb.24:                               ;   in Loop: Header=BB76_4 Depth=1
	v_mov_b32_e32 v15, v12
	s_mov_b32 s6, s17
.LBB76_25:                              ;   Parent Loop BB76_4 Depth=1
                                        ; =>  This Inner Loop Header: Depth=2
	s_bitcmp1_b32 s6, 0
	s_sext_i32_i16 s25, s6
	s_cselect_b32 vcc_lo, -1, 0
	s_and_b32 s6, 0xffff, s6
	v_cndmask_b32_e32 v16, 1, v15, vcc_lo
	v_mul_lo_u16 v15, v15, v15
	s_lshr_b32 s6, s6, 1
	s_cmp_lt_i32 s25, 2
	v_mul_lo_u16 v14, v16, v14
	s_cbranch_scc0 .LBB76_25
.LBB76_26:                              ;   in Loop: Header=BB76_4 Depth=1
	s_cbranch_execz .LBB76_57
.LBB76_27:                              ;   in Loop: Header=BB76_4 Depth=1
	s_andn2_b32 vcc_lo, exec_lo, s20
	s_mov_b32 s6, -1
                                        ; implicit-def: $vgpr12
	s_cbranch_vccnz .LBB76_66
.LBB76_28:                              ;   in Loop: Header=BB76_4 Depth=1
	s_waitcnt vmcnt(0)
	v_mov_b32_e32 v12, 1
	s_andn2_b32 vcc_lo, exec_lo, s22
	s_cbranch_vccnz .LBB76_31
; %bb.29:                               ;   in Loop: Header=BB76_4 Depth=1
	v_mov_b32_e32 v15, v10
	s_mov_b32 s6, s17
.LBB76_30:                              ;   Parent Loop BB76_4 Depth=1
                                        ; =>  This Inner Loop Header: Depth=2
	s_bitcmp1_b32 s6, 0
	s_sext_i32_i16 s25, s6
	s_cselect_b32 vcc_lo, -1, 0
	s_and_b32 s6, 0xffff, s6
	v_cndmask_b32_e32 v16, 1, v15, vcc_lo
	v_mul_lo_u16 v15, v15, v15
	s_lshr_b32 s6, s6, 1
	s_cmp_lt_i32 s25, 2
	v_mul_lo_u16 v12, v16, v12
	s_cbranch_scc0 .LBB76_30
.LBB76_31:                              ;   in Loop: Header=BB76_4 Depth=1
	s_cbranch_execz .LBB76_67
.LBB76_32:                              ;   in Loop: Header=BB76_4 Depth=1
	s_and_saveexec_b32 s6, s0
	s_xor_b32 s0, exec_lo, s6
	s_cbranch_execz .LBB76_76
.LBB76_33:                              ;   in Loop: Header=BB76_4 Depth=1
	v_add_co_u32 v1, vcc_lo, s7, v1
	v_add_co_ci_u32_e64 v2, null, s16, v2, vcc_lo
	global_store_short v[1:2], v11, off
	s_or_b32 exec_lo, exec_lo, s0
	s_and_saveexec_b32 s0, s1
	s_cbranch_execnz .LBB76_77
.LBB76_34:                              ;   in Loop: Header=BB76_4 Depth=1
	s_or_b32 exec_lo, exec_lo, s0
	s_and_saveexec_b32 s0, s2
	s_cbranch_execz .LBB76_78
.LBB76_35:                              ;   in Loop: Header=BB76_4 Depth=1
	v_add_co_u32 v1, vcc_lo, s7, v5
	v_add_co_ci_u32_e64 v2, null, s16, v6, vcc_lo
	s_waitcnt vmcnt(0)
	global_store_short v[1:2], v14, off
	s_or_b32 exec_lo, exec_lo, s0
	s_and_saveexec_b32 s0, s3
	s_cbranch_execz .LBB76_3
	s_branch .LBB76_79
.LBB76_36:                              ;   in Loop: Header=BB76_4 Depth=1
	s_andn2_b32 vcc_lo, exec_lo, s25
	s_cbranch_vccnz .LBB76_17
.LBB76_37:                              ;   in Loop: Header=BB76_4 Depth=1
	s_mov_b32 s6, 0
	s_mov_b32 s25, 0
	s_mov_b32 s26, exec_lo
	s_waitcnt vmcnt(0)
	v_cmpx_lt_i16_e32 0, v13
	s_xor_b32 s26, exec_lo, s26
	s_cbranch_execz .LBB76_41
; %bb.38:                               ;   in Loop: Header=BB76_4 Depth=1
	v_cmp_ne_u16_e32 vcc_lo, 1, v13
	s_and_b32 s25, vcc_lo, exec_lo
	s_andn2_saveexec_b32 s26, s26
	s_cbranch_execnz .LBB76_42
.LBB76_39:                              ;   in Loop: Header=BB76_4 Depth=1
	s_or_b32 exec_lo, exec_lo, s26
	s_and_saveexec_b32 s26, s25
	s_xor_b32 s25, exec_lo, s26
	s_cbranch_execz .LBB76_43
.LBB76_40:                              ;   in Loop: Header=BB76_4 Depth=1
	v_mov_b32_e32 v13, 0
	s_andn2_b32 s6, s6, exec_lo
	s_or_b32 exec_lo, exec_lo, s25
	s_and_saveexec_b32 s25, s6
	s_cbranch_execnz .LBB76_44
	s_branch .LBB76_45
.LBB76_41:                              ;   in Loop: Header=BB76_4 Depth=1
	s_andn2_saveexec_b32 s26, s26
	s_cbranch_execz .LBB76_39
.LBB76_42:                              ;   in Loop: Header=BB76_4 Depth=1
	v_cmp_ne_u16_e32 vcc_lo, -1, v13
	s_andn2_b32 s25, s25, exec_lo
	s_mov_b32 s6, exec_lo
	s_and_b32 s27, vcc_lo, exec_lo
	s_or_b32 s25, s25, s27
	s_or_b32 exec_lo, exec_lo, s26
	s_and_saveexec_b32 s26, s25
	s_xor_b32 s25, exec_lo, s26
	s_cbranch_execnz .LBB76_40
.LBB76_43:                              ;   in Loop: Header=BB76_4 Depth=1
	s_or_b32 exec_lo, exec_lo, s25
	s_and_saveexec_b32 s25, s6
.LBB76_44:                              ;   in Loop: Header=BB76_4 Depth=1
	v_mov_b32_e32 v13, s23
.LBB76_45:                              ;   in Loop: Header=BB76_4 Depth=1
	s_or_b32 exec_lo, exec_lo, s25
	v_mov_b32_e32 v11, v13
	s_andn2_b32 vcc_lo, exec_lo, s20
	s_mov_b32 s6, -1
                                        ; implicit-def: $vgpr13
	s_cbranch_vccz .LBB76_18
.LBB76_46:                              ;   in Loop: Header=BB76_4 Depth=1
	s_andn2_b32 vcc_lo, exec_lo, s6
	s_cbranch_vccnz .LBB76_22
.LBB76_47:                              ;   in Loop: Header=BB76_4 Depth=1
	s_mov_b32 s6, 0
	s_mov_b32 s25, 0
	s_mov_b32 s26, exec_lo
	s_waitcnt vmcnt(0)
	v_cmpx_lt_i16_e32 0, v14
	s_xor_b32 s26, exec_lo, s26
	s_cbranch_execz .LBB76_51
; %bb.48:                               ;   in Loop: Header=BB76_4 Depth=1
	v_cmp_ne_u16_e32 vcc_lo, 1, v14
	s_and_b32 s25, vcc_lo, exec_lo
	s_andn2_saveexec_b32 s26, s26
	s_cbranch_execnz .LBB76_52
.LBB76_49:                              ;   in Loop: Header=BB76_4 Depth=1
	s_or_b32 exec_lo, exec_lo, s26
	s_and_saveexec_b32 s26, s25
	s_xor_b32 s25, exec_lo, s26
	s_cbranch_execz .LBB76_53
.LBB76_50:                              ;   in Loop: Header=BB76_4 Depth=1
	v_mov_b32_e32 v14, 0
	s_andn2_b32 s6, s6, exec_lo
	s_or_b32 exec_lo, exec_lo, s25
	s_and_saveexec_b32 s25, s6
	s_cbranch_execnz .LBB76_54
	s_branch .LBB76_55
.LBB76_51:                              ;   in Loop: Header=BB76_4 Depth=1
	s_andn2_saveexec_b32 s26, s26
	s_cbranch_execz .LBB76_49
.LBB76_52:                              ;   in Loop: Header=BB76_4 Depth=1
	v_cmp_ne_u16_e32 vcc_lo, -1, v14
	s_andn2_b32 s25, s25, exec_lo
	s_mov_b32 s6, exec_lo
	s_and_b32 s27, vcc_lo, exec_lo
	s_or_b32 s25, s25, s27
	s_or_b32 exec_lo, exec_lo, s26
	s_and_saveexec_b32 s26, s25
	s_xor_b32 s25, exec_lo, s26
	s_cbranch_execnz .LBB76_50
.LBB76_53:                              ;   in Loop: Header=BB76_4 Depth=1
	s_or_b32 exec_lo, exec_lo, s25
	s_and_saveexec_b32 s25, s6
.LBB76_54:                              ;   in Loop: Header=BB76_4 Depth=1
	v_mov_b32_e32 v14, s23
.LBB76_55:                              ;   in Loop: Header=BB76_4 Depth=1
	s_or_b32 exec_lo, exec_lo, s25
	v_mov_b32_e32 v13, v14
	s_andn2_b32 vcc_lo, exec_lo, s20
	s_mov_b32 s6, -1
                                        ; implicit-def: $vgpr14
	s_cbranch_vccz .LBB76_23
.LBB76_56:                              ;   in Loop: Header=BB76_4 Depth=1
	s_andn2_b32 vcc_lo, exec_lo, s6
	s_cbranch_vccnz .LBB76_27
.LBB76_57:                              ;   in Loop: Header=BB76_4 Depth=1
	s_mov_b32 s6, 0
	s_mov_b32 s25, 0
	s_mov_b32 s26, exec_lo
	s_waitcnt vmcnt(0)
	v_cmpx_lt_i16_e32 0, v12
	s_xor_b32 s26, exec_lo, s26
	s_cbranch_execz .LBB76_61
; %bb.58:                               ;   in Loop: Header=BB76_4 Depth=1
	v_cmp_ne_u16_e32 vcc_lo, 1, v12
	s_and_b32 s25, vcc_lo, exec_lo
	s_andn2_saveexec_b32 s26, s26
	s_cbranch_execnz .LBB76_62
.LBB76_59:                              ;   in Loop: Header=BB76_4 Depth=1
	s_or_b32 exec_lo, exec_lo, s26
	s_and_saveexec_b32 s26, s25
	s_xor_b32 s25, exec_lo, s26
	s_cbranch_execz .LBB76_63
.LBB76_60:                              ;   in Loop: Header=BB76_4 Depth=1
	v_mov_b32_e32 v12, 0
	s_andn2_b32 s6, s6, exec_lo
	s_or_b32 exec_lo, exec_lo, s25
	s_and_saveexec_b32 s25, s6
	s_cbranch_execnz .LBB76_64
	s_branch .LBB76_65
.LBB76_61:                              ;   in Loop: Header=BB76_4 Depth=1
	s_andn2_saveexec_b32 s26, s26
	s_cbranch_execz .LBB76_59
.LBB76_62:                              ;   in Loop: Header=BB76_4 Depth=1
	v_cmp_ne_u16_e32 vcc_lo, -1, v12
	s_andn2_b32 s25, s25, exec_lo
	s_mov_b32 s6, exec_lo
	s_and_b32 s27, vcc_lo, exec_lo
	s_or_b32 s25, s25, s27
	s_or_b32 exec_lo, exec_lo, s26
	s_and_saveexec_b32 s26, s25
	s_xor_b32 s25, exec_lo, s26
	s_cbranch_execnz .LBB76_60
.LBB76_63:                              ;   in Loop: Header=BB76_4 Depth=1
	s_or_b32 exec_lo, exec_lo, s25
	s_and_saveexec_b32 s25, s6
.LBB76_64:                              ;   in Loop: Header=BB76_4 Depth=1
	v_mov_b32_e32 v12, s23
.LBB76_65:                              ;   in Loop: Header=BB76_4 Depth=1
	s_or_b32 exec_lo, exec_lo, s25
	v_mov_b32_e32 v14, v12
	s_andn2_b32 vcc_lo, exec_lo, s20
	s_mov_b32 s6, -1
                                        ; implicit-def: $vgpr12
	s_cbranch_vccz .LBB76_28
.LBB76_66:                              ;   in Loop: Header=BB76_4 Depth=1
	s_andn2_b32 vcc_lo, exec_lo, s6
	s_cbranch_vccnz .LBB76_32
.LBB76_67:                              ;   in Loop: Header=BB76_4 Depth=1
	s_mov_b32 s6, 0
	s_mov_b32 s25, 0
	s_mov_b32 s26, exec_lo
	s_waitcnt vmcnt(0)
	v_cmpx_lt_i16_e32 0, v10
	s_xor_b32 s26, exec_lo, s26
	s_cbranch_execz .LBB76_71
; %bb.68:                               ;   in Loop: Header=BB76_4 Depth=1
	v_cmp_ne_u16_e32 vcc_lo, 1, v10
	s_and_b32 s25, vcc_lo, exec_lo
	s_andn2_saveexec_b32 s26, s26
	s_cbranch_execnz .LBB76_72
.LBB76_69:                              ;   in Loop: Header=BB76_4 Depth=1
	s_or_b32 exec_lo, exec_lo, s26
	s_and_saveexec_b32 s26, s25
	s_xor_b32 s25, exec_lo, s26
	s_cbranch_execz .LBB76_73
.LBB76_70:                              ;   in Loop: Header=BB76_4 Depth=1
	v_mov_b32_e32 v10, 0
	s_andn2_b32 s6, s6, exec_lo
	s_or_b32 exec_lo, exec_lo, s25
	s_and_saveexec_b32 s25, s6
	s_cbranch_execnz .LBB76_74
	s_branch .LBB76_75
.LBB76_71:                              ;   in Loop: Header=BB76_4 Depth=1
	s_andn2_saveexec_b32 s26, s26
	s_cbranch_execz .LBB76_69
.LBB76_72:                              ;   in Loop: Header=BB76_4 Depth=1
	v_cmp_ne_u16_e32 vcc_lo, -1, v10
	s_andn2_b32 s25, s25, exec_lo
	s_mov_b32 s6, exec_lo
	s_and_b32 s27, vcc_lo, exec_lo
	s_or_b32 s25, s25, s27
	s_or_b32 exec_lo, exec_lo, s26
	s_and_saveexec_b32 s26, s25
	s_xor_b32 s25, exec_lo, s26
	s_cbranch_execnz .LBB76_70
.LBB76_73:                              ;   in Loop: Header=BB76_4 Depth=1
	s_or_b32 exec_lo, exec_lo, s25
	s_and_saveexec_b32 s25, s6
.LBB76_74:                              ;   in Loop: Header=BB76_4 Depth=1
	v_mov_b32_e32 v10, s23
.LBB76_75:                              ;   in Loop: Header=BB76_4 Depth=1
	s_or_b32 exec_lo, exec_lo, s25
	v_mov_b32_e32 v12, v10
	s_and_saveexec_b32 s6, s0
	s_xor_b32 s0, exec_lo, s6
	s_cbranch_execnz .LBB76_33
.LBB76_76:                              ;   in Loop: Header=BB76_4 Depth=1
	s_or_b32 exec_lo, exec_lo, s0
	s_and_saveexec_b32 s0, s1
	s_cbranch_execz .LBB76_34
.LBB76_77:                              ;   in Loop: Header=BB76_4 Depth=1
	v_add_co_u32 v1, vcc_lo, s7, v3
	v_add_co_ci_u32_e64 v2, null, s16, v4, vcc_lo
	s_waitcnt vmcnt(0)
	global_store_short v[1:2], v13, off
	s_or_b32 exec_lo, exec_lo, s0
	s_and_saveexec_b32 s0, s2
	s_cbranch_execnz .LBB76_35
.LBB76_78:                              ;   in Loop: Header=BB76_4 Depth=1
	s_or_b32 exec_lo, exec_lo, s0
	s_and_saveexec_b32 s0, s3
	s_cbranch_execz .LBB76_3
.LBB76_79:                              ;   in Loop: Header=BB76_4 Depth=1
	v_add_co_u32 v1, vcc_lo, s7, v7
	v_add_co_ci_u32_e64 v2, null, s16, v8, vcc_lo
	s_waitcnt vmcnt(0)
	global_store_short v[1:2], v12, off
	s_branch .LBB76_3
.LBB76_80:
	s_cbranch_execz .LBB76_82
	s_branch .LBB76_145
.LBB76_81:
.LBB76_82:
	v_cmp_gt_i64_e64 s0, 0x10000, s[8:9]
	v_mov_b32_e32 v2, 0
	v_lshlrev_b32_e32 v1, 2, v0
	s_mov_b32 s1, 0
	s_and_b32 s0, s0, exec_lo
	s_cselect_b32 s3, s9, 0
	s_cselect_b32 s2, s8, 0x10000
	s_mov_b32 s0, exec_lo
	v_cmpx_gt_i64_e64 s[2:3], v[1:2]
	s_cbranch_execz .LBB76_145
; %bb.83:
	s_load_dword s0, s[4:5], 0xd14
	s_sext_i32_i16 s4, s17
	v_mov_b32_e32 v1, v2
	s_cmp_gt_i32 s4, -1
	s_cselect_b32 s4, -1, 0
	s_and_b32 s5, 0xffff, s17
	s_cmp_lg_u32 s5, 0
	s_cselect_b32 s5, -1, 0
	s_bitcmp0_b32 s17, 0
	v_cndmask_b32_e64 v6, 0, 1, s5
	s_cselect_b32 s6, 1, 0xffff
	s_waitcnt lgkmcnt(0)
	s_and_b32 s8, s0, 0xffff
	s_branch .LBB76_86
.LBB76_84:                              ;   in Loop: Header=BB76_86 Depth=1
	s_or_b32 exec_lo, exec_lo, s9
	v_mov_b32_e32 v9, v5
.LBB76_85:                              ;   in Loop: Header=BB76_86 Depth=1
	v_add_co_u32 v0, vcc_lo, v0, s8
	v_add_co_ci_u32_e64 v1, null, 0, v1, vcc_lo
	v_perm_b32 v5, v9, v8, 0x5040100
	v_perm_b32 v4, v4, v7, 0x5040100
	v_lshlrev_b64 v[10:11], 2, v[0:1]
	global_store_dwordx2 v[2:3], v[4:5], off
	v_cmp_le_i64_e32 vcc_lo, s[2:3], v[10:11]
	s_or_b32 s1, vcc_lo, s1
	s_andn2_b32 exec_lo, exec_lo, s1
	s_cbranch_execz .LBB76_145
.LBB76_86:                              ; =>This Loop Header: Depth=1
                                        ;     Child Loop BB76_89 Depth 2
                                        ;     Child Loop BB76_94 Depth 2
	;; [unrolled: 1-line block ×4, first 2 shown]
	v_lshlrev_b64 v[2:3], 3, v[0:1]
	v_cmp_ne_u32_e64 s0, 1, v6
	s_mov_b32 s9, -1
                                        ; implicit-def: $vgpr7
	v_add_co_u32 v2, vcc_lo, s7, v2
	v_add_co_ci_u32_e64 v3, null, s16, v3, vcc_lo
	s_and_b32 vcc_lo, exec_lo, s4
	global_load_dwordx2 v[4:5], v[2:3], off
	s_cbranch_vccz .LBB76_106
; %bb.87:                               ;   in Loop: Header=BB76_86 Depth=1
	v_mov_b32_e32 v7, 1
	s_and_b32 vcc_lo, exec_lo, s0
	s_cbranch_vccnz .LBB76_90
; %bb.88:                               ;   in Loop: Header=BB76_86 Depth=1
	s_waitcnt vmcnt(0)
	v_mov_b32_e32 v8, v4
	s_mov_b32 s0, s17
.LBB76_89:                              ;   Parent Loop BB76_86 Depth=1
                                        ; =>  This Inner Loop Header: Depth=2
	s_bitcmp1_b32 s0, 0
	s_sext_i32_i16 s9, s0
	s_cselect_b32 vcc_lo, -1, 0
	s_and_b32 s0, 0xffff, s0
	v_cndmask_b32_e32 v9, 1, v8, vcc_lo
	v_mul_lo_u16 v8, v8, v8
	s_lshr_b32 s0, s0, 1
	s_cmp_gt_i32 s9, 1
	v_mul_lo_u16 v7, v9, v7
	s_cbranch_scc1 .LBB76_89
.LBB76_90:                              ;   in Loop: Header=BB76_86 Depth=1
	s_cbranch_execz .LBB76_107
.LBB76_91:                              ;   in Loop: Header=BB76_86 Depth=1
	s_waitcnt vmcnt(0)
	v_lshrrev_b32_e32 v8, 16, v4
	s_andn2_b32 vcc_lo, exec_lo, s4
	s_mov_b32 s0, -1
                                        ; implicit-def: $vgpr4
	s_cbranch_vccnz .LBB76_116
.LBB76_92:                              ;   in Loop: Header=BB76_86 Depth=1
	v_mov_b32_e32 v4, 1
	s_andn2_b32 vcc_lo, exec_lo, s5
	s_cbranch_vccnz .LBB76_95
; %bb.93:                               ;   in Loop: Header=BB76_86 Depth=1
	v_mov_b32_e32 v9, v8
	s_mov_b32 s0, s17
.LBB76_94:                              ;   Parent Loop BB76_86 Depth=1
                                        ; =>  This Inner Loop Header: Depth=2
	s_bitcmp1_b32 s0, 0
	s_sext_i32_i16 s9, s0
	s_cselect_b32 vcc_lo, -1, 0
	s_and_b32 s0, 0xffff, s0
	v_cndmask_b32_e32 v10, 1, v9, vcc_lo
	v_mul_lo_u16 v9, v9, v9
	s_lshr_b32 s0, s0, 1
	s_cmp_lt_i32 s9, 2
	v_mul_lo_u16 v4, v10, v4
	s_cbranch_scc0 .LBB76_94
.LBB76_95:                              ;   in Loop: Header=BB76_86 Depth=1
	s_cbranch_execz .LBB76_117
.LBB76_96:                              ;   in Loop: Header=BB76_86 Depth=1
	v_mov_b32_e32 v9, v5
	s_andn2_b32 vcc_lo, exec_lo, s4
	s_mov_b32 s0, -1
                                        ; implicit-def: $vgpr8
	s_cbranch_vccnz .LBB76_126
.LBB76_97:                              ;   in Loop: Header=BB76_86 Depth=1
	v_mov_b32_e32 v8, 1
	s_andn2_b32 vcc_lo, exec_lo, s5
	s_cbranch_vccnz .LBB76_100
; %bb.98:                               ;   in Loop: Header=BB76_86 Depth=1
	v_mov_b32_e32 v10, v9
	s_mov_b32 s0, s17
.LBB76_99:                              ;   Parent Loop BB76_86 Depth=1
                                        ; =>  This Inner Loop Header: Depth=2
	s_bitcmp1_b32 s0, 0
	s_sext_i32_i16 s9, s0
	s_cselect_b32 vcc_lo, -1, 0
	s_and_b32 s0, 0xffff, s0
	v_cndmask_b32_e32 v11, 1, v10, vcc_lo
	v_mul_lo_u16 v10, v10, v10
	s_lshr_b32 s0, s0, 1
	s_cmp_lt_i32 s9, 2
	v_mul_lo_u16 v8, v11, v8
	s_cbranch_scc0 .LBB76_99
.LBB76_100:                             ;   in Loop: Header=BB76_86 Depth=1
	s_cbranch_execz .LBB76_127
.LBB76_101:                             ;   in Loop: Header=BB76_86 Depth=1
	v_lshrrev_b32_e32 v5, 16, v5
	s_andn2_b32 vcc_lo, exec_lo, s4
	s_mov_b32 s0, -1
                                        ; implicit-def: $vgpr9
	s_cbranch_vccnz .LBB76_136
.LBB76_102:                             ;   in Loop: Header=BB76_86 Depth=1
	v_mov_b32_e32 v9, 1
	s_andn2_b32 vcc_lo, exec_lo, s5
	s_cbranch_vccnz .LBB76_105
; %bb.103:                              ;   in Loop: Header=BB76_86 Depth=1
	v_mov_b32_e32 v10, v5
	s_mov_b32 s0, s17
.LBB76_104:                             ;   Parent Loop BB76_86 Depth=1
                                        ; =>  This Inner Loop Header: Depth=2
	s_bitcmp1_b32 s0, 0
	s_sext_i32_i16 s9, s0
	s_cselect_b32 vcc_lo, -1, 0
	s_and_b32 s0, 0xffff, s0
	v_cndmask_b32_e32 v11, 1, v10, vcc_lo
	v_mul_lo_u16 v10, v10, v10
	s_lshr_b32 s0, s0, 1
	s_cmp_lt_i32 s9, 2
	v_mul_lo_u16 v9, v11, v9
	s_cbranch_scc0 .LBB76_104
.LBB76_105:                             ;   in Loop: Header=BB76_86 Depth=1
	s_cbranch_execnz .LBB76_85
	s_branch .LBB76_137
.LBB76_106:                             ;   in Loop: Header=BB76_86 Depth=1
	s_andn2_b32 vcc_lo, exec_lo, s9
	s_cbranch_vccnz .LBB76_91
.LBB76_107:                             ;   in Loop: Header=BB76_86 Depth=1
	s_mov_b32 s0, 0
	s_mov_b32 s9, 0
	s_mov_b32 s10, exec_lo
	s_waitcnt vmcnt(0)
	v_cmpx_lt_i16_e32 0, v4
	s_xor_b32 s10, exec_lo, s10
; %bb.108:                              ;   in Loop: Header=BB76_86 Depth=1
	v_cmp_ne_u16_e32 vcc_lo, 1, v4
	s_and_b32 s9, vcc_lo, exec_lo
; %bb.109:                              ;   in Loop: Header=BB76_86 Depth=1
	s_andn2_saveexec_b32 s10, s10
; %bb.110:                              ;   in Loop: Header=BB76_86 Depth=1
	v_cmp_ne_u16_e32 vcc_lo, -1, v4
	s_andn2_b32 s9, s9, exec_lo
	s_mov_b32 s0, exec_lo
	s_and_b32 s11, vcc_lo, exec_lo
	s_or_b32 s9, s9, s11
; %bb.111:                              ;   in Loop: Header=BB76_86 Depth=1
	s_or_b32 exec_lo, exec_lo, s10
	v_mov_b32_e32 v7, v4
	s_and_saveexec_b32 s10, s9
	s_xor_b32 s9, exec_lo, s10
; %bb.112:                              ;   in Loop: Header=BB76_86 Depth=1
	v_mov_b32_e32 v7, 0
	s_andn2_b32 s0, s0, exec_lo
; %bb.113:                              ;   in Loop: Header=BB76_86 Depth=1
	s_or_b32 exec_lo, exec_lo, s9
	s_and_saveexec_b32 s9, s0
; %bb.114:                              ;   in Loop: Header=BB76_86 Depth=1
	v_mov_b32_e32 v7, s6
; %bb.115:                              ;   in Loop: Header=BB76_86 Depth=1
	s_or_b32 exec_lo, exec_lo, s9
	v_lshrrev_b32_e32 v8, 16, v4
	s_andn2_b32 vcc_lo, exec_lo, s4
	s_mov_b32 s0, -1
                                        ; implicit-def: $vgpr4
	s_cbranch_vccz .LBB76_92
.LBB76_116:                             ;   in Loop: Header=BB76_86 Depth=1
	s_andn2_b32 vcc_lo, exec_lo, s0
	s_cbranch_vccnz .LBB76_96
.LBB76_117:                             ;   in Loop: Header=BB76_86 Depth=1
	s_mov_b32 s0, 0
	s_mov_b32 s9, 0
	s_mov_b32 s10, exec_lo
	v_cmpx_lt_i16_e32 0, v8
	s_xor_b32 s10, exec_lo, s10
	s_cbranch_execz .LBB76_121
; %bb.118:                              ;   in Loop: Header=BB76_86 Depth=1
	v_cmp_ne_u16_e32 vcc_lo, 1, v8
	s_and_b32 s9, vcc_lo, exec_lo
	s_andn2_saveexec_b32 s10, s10
	s_cbranch_execnz .LBB76_122
.LBB76_119:                             ;   in Loop: Header=BB76_86 Depth=1
	s_or_b32 exec_lo, exec_lo, s10
	s_and_saveexec_b32 s10, s9
	s_xor_b32 s9, exec_lo, s10
	s_cbranch_execz .LBB76_123
.LBB76_120:                             ;   in Loop: Header=BB76_86 Depth=1
	v_mov_b32_e32 v8, 0
	s_andn2_b32 s0, s0, exec_lo
	s_or_b32 exec_lo, exec_lo, s9
	s_and_saveexec_b32 s9, s0
	s_cbranch_execnz .LBB76_124
	s_branch .LBB76_125
.LBB76_121:                             ;   in Loop: Header=BB76_86 Depth=1
	s_andn2_saveexec_b32 s10, s10
	s_cbranch_execz .LBB76_119
.LBB76_122:                             ;   in Loop: Header=BB76_86 Depth=1
	v_cmp_ne_u16_e32 vcc_lo, -1, v8
	s_andn2_b32 s9, s9, exec_lo
	s_mov_b32 s0, exec_lo
	s_and_b32 s11, vcc_lo, exec_lo
	s_or_b32 s9, s9, s11
	s_or_b32 exec_lo, exec_lo, s10
	s_and_saveexec_b32 s10, s9
	s_xor_b32 s9, exec_lo, s10
	s_cbranch_execnz .LBB76_120
.LBB76_123:                             ;   in Loop: Header=BB76_86 Depth=1
	s_or_b32 exec_lo, exec_lo, s9
	s_and_saveexec_b32 s9, s0
.LBB76_124:                             ;   in Loop: Header=BB76_86 Depth=1
	v_mov_b32_e32 v8, s6
.LBB76_125:                             ;   in Loop: Header=BB76_86 Depth=1
	s_or_b32 exec_lo, exec_lo, s9
	v_mov_b32_e32 v4, v8
	v_mov_b32_e32 v9, v5
	s_andn2_b32 vcc_lo, exec_lo, s4
	s_mov_b32 s0, -1
                                        ; implicit-def: $vgpr8
	s_cbranch_vccz .LBB76_97
.LBB76_126:                             ;   in Loop: Header=BB76_86 Depth=1
	s_andn2_b32 vcc_lo, exec_lo, s0
	s_cbranch_vccnz .LBB76_101
.LBB76_127:                             ;   in Loop: Header=BB76_86 Depth=1
	s_mov_b32 s0, 0
	s_mov_b32 s9, 0
	s_mov_b32 s10, exec_lo
	v_cmpx_lt_i16_e32 0, v5
	s_xor_b32 s10, exec_lo, s10
	s_cbranch_execz .LBB76_131
; %bb.128:                              ;   in Loop: Header=BB76_86 Depth=1
	v_cmp_ne_u16_e32 vcc_lo, 1, v5
	s_and_b32 s9, vcc_lo, exec_lo
	s_andn2_saveexec_b32 s10, s10
	s_cbranch_execnz .LBB76_132
.LBB76_129:                             ;   in Loop: Header=BB76_86 Depth=1
	s_or_b32 exec_lo, exec_lo, s10
	s_and_saveexec_b32 s10, s9
	s_xor_b32 s9, exec_lo, s10
	s_cbranch_execz .LBB76_133
.LBB76_130:                             ;   in Loop: Header=BB76_86 Depth=1
	v_mov_b32_e32 v9, 0
	s_andn2_b32 s0, s0, exec_lo
	s_or_b32 exec_lo, exec_lo, s9
	s_and_saveexec_b32 s9, s0
	s_cbranch_execnz .LBB76_134
	s_branch .LBB76_135
.LBB76_131:                             ;   in Loop: Header=BB76_86 Depth=1
	s_andn2_saveexec_b32 s10, s10
	s_cbranch_execz .LBB76_129
.LBB76_132:                             ;   in Loop: Header=BB76_86 Depth=1
	v_cmp_ne_u16_e32 vcc_lo, -1, v5
	s_andn2_b32 s9, s9, exec_lo
	s_mov_b32 s0, exec_lo
	s_and_b32 s11, vcc_lo, exec_lo
	s_or_b32 s9, s9, s11
	s_or_b32 exec_lo, exec_lo, s10
	s_and_saveexec_b32 s10, s9
	s_xor_b32 s9, exec_lo, s10
	s_cbranch_execnz .LBB76_130
.LBB76_133:                             ;   in Loop: Header=BB76_86 Depth=1
	s_or_b32 exec_lo, exec_lo, s9
	s_and_saveexec_b32 s9, s0
.LBB76_134:                             ;   in Loop: Header=BB76_86 Depth=1
	v_mov_b32_e32 v9, s6
.LBB76_135:                             ;   in Loop: Header=BB76_86 Depth=1
	s_or_b32 exec_lo, exec_lo, s9
	v_mov_b32_e32 v8, v9
	v_lshrrev_b32_e32 v5, 16, v5
	s_andn2_b32 vcc_lo, exec_lo, s4
	s_mov_b32 s0, -1
                                        ; implicit-def: $vgpr9
	s_cbranch_vccz .LBB76_102
.LBB76_136:                             ;   in Loop: Header=BB76_86 Depth=1
	s_andn2_b32 vcc_lo, exec_lo, s0
	s_cbranch_vccnz .LBB76_85
.LBB76_137:                             ;   in Loop: Header=BB76_86 Depth=1
	s_mov_b32 s0, 0
	s_mov_b32 s9, 0
	s_mov_b32 s10, exec_lo
	v_cmpx_lt_i16_e32 0, v5
	s_xor_b32 s10, exec_lo, s10
	s_cbranch_execz .LBB76_141
; %bb.138:                              ;   in Loop: Header=BB76_86 Depth=1
	v_cmp_ne_u16_e32 vcc_lo, 1, v5
	s_and_b32 s9, vcc_lo, exec_lo
	s_andn2_saveexec_b32 s10, s10
	s_cbranch_execnz .LBB76_142
.LBB76_139:                             ;   in Loop: Header=BB76_86 Depth=1
	s_or_b32 exec_lo, exec_lo, s10
	s_and_saveexec_b32 s10, s9
	s_xor_b32 s9, exec_lo, s10
	s_cbranch_execz .LBB76_143
.LBB76_140:                             ;   in Loop: Header=BB76_86 Depth=1
	v_mov_b32_e32 v5, 0
	s_andn2_b32 s0, s0, exec_lo
	s_or_b32 exec_lo, exec_lo, s9
	s_and_saveexec_b32 s9, s0
	s_cbranch_execz .LBB76_84
	s_branch .LBB76_144
.LBB76_141:                             ;   in Loop: Header=BB76_86 Depth=1
	s_andn2_saveexec_b32 s10, s10
	s_cbranch_execz .LBB76_139
.LBB76_142:                             ;   in Loop: Header=BB76_86 Depth=1
	v_cmp_ne_u16_e32 vcc_lo, -1, v5
	s_andn2_b32 s9, s9, exec_lo
	s_mov_b32 s0, exec_lo
	s_and_b32 s11, vcc_lo, exec_lo
	s_or_b32 s9, s9, s11
	s_or_b32 exec_lo, exec_lo, s10
	s_and_saveexec_b32 s10, s9
	s_xor_b32 s9, exec_lo, s10
	s_cbranch_execnz .LBB76_140
.LBB76_143:                             ;   in Loop: Header=BB76_86 Depth=1
	s_or_b32 exec_lo, exec_lo, s9
	s_and_saveexec_b32 s9, s0
	s_cbranch_execz .LBB76_84
.LBB76_144:                             ;   in Loop: Header=BB76_86 Depth=1
	v_mov_b32_e32 v5, s6
	s_branch .LBB76_84
.LBB76_145:
	s_endpgm
	.section	.rodata,"a",@progbits
	.p2align	6, 0x0
	.amdhsa_kernel _ZN2at6native12_GLOBAL__N_125multi_tensor_apply_kernelINS1_28TensorListScalarListMetadataIsLi1EEENS1_25BinaryOpScalarListFunctorIsLi1ELi1ELi0EEEJNS1_13power_functorIsEEEEEvT_T0_DpT1_
		.amdhsa_group_segment_fixed_size 0
		.amdhsa_private_segment_fixed_size 0
		.amdhsa_kernarg_size 3592
		.amdhsa_user_sgpr_count 6
		.amdhsa_user_sgpr_private_segment_buffer 1
		.amdhsa_user_sgpr_dispatch_ptr 0
		.amdhsa_user_sgpr_queue_ptr 0
		.amdhsa_user_sgpr_kernarg_segment_ptr 1
		.amdhsa_user_sgpr_dispatch_id 0
		.amdhsa_user_sgpr_flat_scratch_init 0
		.amdhsa_user_sgpr_private_segment_size 0
		.amdhsa_wavefront_size32 1
		.amdhsa_uses_dynamic_stack 0
		.amdhsa_system_sgpr_private_segment_wavefront_offset 0
		.amdhsa_system_sgpr_workgroup_id_x 1
		.amdhsa_system_sgpr_workgroup_id_y 0
		.amdhsa_system_sgpr_workgroup_id_z 0
		.amdhsa_system_sgpr_workgroup_info 0
		.amdhsa_system_vgpr_workitem_id 0
		.amdhsa_next_free_vgpr 17
		.amdhsa_next_free_sgpr 28
		.amdhsa_reserve_vcc 1
		.amdhsa_reserve_flat_scratch 0
		.amdhsa_float_round_mode_32 0
		.amdhsa_float_round_mode_16_64 0
		.amdhsa_float_denorm_mode_32 3
		.amdhsa_float_denorm_mode_16_64 3
		.amdhsa_dx10_clamp 1
		.amdhsa_ieee_mode 1
		.amdhsa_fp16_overflow 0
		.amdhsa_workgroup_processor_mode 1
		.amdhsa_memory_ordered 1
		.amdhsa_forward_progress 1
		.amdhsa_shared_vgpr_count 0
		.amdhsa_exception_fp_ieee_invalid_op 0
		.amdhsa_exception_fp_denorm_src 0
		.amdhsa_exception_fp_ieee_div_zero 0
		.amdhsa_exception_fp_ieee_overflow 0
		.amdhsa_exception_fp_ieee_underflow 0
		.amdhsa_exception_fp_ieee_inexact 0
		.amdhsa_exception_int_div_zero 0
	.end_amdhsa_kernel
	.section	.text._ZN2at6native12_GLOBAL__N_125multi_tensor_apply_kernelINS1_28TensorListScalarListMetadataIsLi1EEENS1_25BinaryOpScalarListFunctorIsLi1ELi1ELi0EEEJNS1_13power_functorIsEEEEEvT_T0_DpT1_,"axG",@progbits,_ZN2at6native12_GLOBAL__N_125multi_tensor_apply_kernelINS1_28TensorListScalarListMetadataIsLi1EEENS1_25BinaryOpScalarListFunctorIsLi1ELi1ELi0EEEJNS1_13power_functorIsEEEEEvT_T0_DpT1_,comdat
.Lfunc_end76:
	.size	_ZN2at6native12_GLOBAL__N_125multi_tensor_apply_kernelINS1_28TensorListScalarListMetadataIsLi1EEENS1_25BinaryOpScalarListFunctorIsLi1ELi1ELi0EEEJNS1_13power_functorIsEEEEEvT_T0_DpT1_, .Lfunc_end76-_ZN2at6native12_GLOBAL__N_125multi_tensor_apply_kernelINS1_28TensorListScalarListMetadataIsLi1EEENS1_25BinaryOpScalarListFunctorIsLi1ELi1ELi0EEEJNS1_13power_functorIsEEEEEvT_T0_DpT1_
                                        ; -- End function
	.set _ZN2at6native12_GLOBAL__N_125multi_tensor_apply_kernelINS1_28TensorListScalarListMetadataIsLi1EEENS1_25BinaryOpScalarListFunctorIsLi1ELi1ELi0EEEJNS1_13power_functorIsEEEEEvT_T0_DpT1_.num_vgpr, 17
	.set _ZN2at6native12_GLOBAL__N_125multi_tensor_apply_kernelINS1_28TensorListScalarListMetadataIsLi1EEENS1_25BinaryOpScalarListFunctorIsLi1ELi1ELi0EEEJNS1_13power_functorIsEEEEEvT_T0_DpT1_.num_agpr, 0
	.set _ZN2at6native12_GLOBAL__N_125multi_tensor_apply_kernelINS1_28TensorListScalarListMetadataIsLi1EEENS1_25BinaryOpScalarListFunctorIsLi1ELi1ELi0EEEJNS1_13power_functorIsEEEEEvT_T0_DpT1_.numbered_sgpr, 28
	.set _ZN2at6native12_GLOBAL__N_125multi_tensor_apply_kernelINS1_28TensorListScalarListMetadataIsLi1EEENS1_25BinaryOpScalarListFunctorIsLi1ELi1ELi0EEEJNS1_13power_functorIsEEEEEvT_T0_DpT1_.num_named_barrier, 0
	.set _ZN2at6native12_GLOBAL__N_125multi_tensor_apply_kernelINS1_28TensorListScalarListMetadataIsLi1EEENS1_25BinaryOpScalarListFunctorIsLi1ELi1ELi0EEEJNS1_13power_functorIsEEEEEvT_T0_DpT1_.private_seg_size, 0
	.set _ZN2at6native12_GLOBAL__N_125multi_tensor_apply_kernelINS1_28TensorListScalarListMetadataIsLi1EEENS1_25BinaryOpScalarListFunctorIsLi1ELi1ELi0EEEJNS1_13power_functorIsEEEEEvT_T0_DpT1_.uses_vcc, 1
	.set _ZN2at6native12_GLOBAL__N_125multi_tensor_apply_kernelINS1_28TensorListScalarListMetadataIsLi1EEENS1_25BinaryOpScalarListFunctorIsLi1ELi1ELi0EEEJNS1_13power_functorIsEEEEEvT_T0_DpT1_.uses_flat_scratch, 0
	.set _ZN2at6native12_GLOBAL__N_125multi_tensor_apply_kernelINS1_28TensorListScalarListMetadataIsLi1EEENS1_25BinaryOpScalarListFunctorIsLi1ELi1ELi0EEEJNS1_13power_functorIsEEEEEvT_T0_DpT1_.has_dyn_sized_stack, 0
	.set _ZN2at6native12_GLOBAL__N_125multi_tensor_apply_kernelINS1_28TensorListScalarListMetadataIsLi1EEENS1_25BinaryOpScalarListFunctorIsLi1ELi1ELi0EEEJNS1_13power_functorIsEEEEEvT_T0_DpT1_.has_recursion, 0
	.set _ZN2at6native12_GLOBAL__N_125multi_tensor_apply_kernelINS1_28TensorListScalarListMetadataIsLi1EEENS1_25BinaryOpScalarListFunctorIsLi1ELi1ELi0EEEJNS1_13power_functorIsEEEEEvT_T0_DpT1_.has_indirect_call, 0
	.section	.AMDGPU.csdata,"",@progbits
; Kernel info:
; codeLenInByte = 3168
; TotalNumSgprs: 30
; NumVgprs: 17
; ScratchSize: 0
; MemoryBound: 0
; FloatMode: 240
; IeeeMode: 1
; LDSByteSize: 0 bytes/workgroup (compile time only)
; SGPRBlocks: 0
; VGPRBlocks: 2
; NumSGPRsForWavesPerEU: 30
; NumVGPRsForWavesPerEU: 17
; Occupancy: 16
; WaveLimiterHint : 0
; COMPUTE_PGM_RSRC2:SCRATCH_EN: 0
; COMPUTE_PGM_RSRC2:USER_SGPR: 6
; COMPUTE_PGM_RSRC2:TRAP_HANDLER: 0
; COMPUTE_PGM_RSRC2:TGID_X_EN: 1
; COMPUTE_PGM_RSRC2:TGID_Y_EN: 0
; COMPUTE_PGM_RSRC2:TGID_Z_EN: 0
; COMPUTE_PGM_RSRC2:TIDIG_COMP_CNT: 0
	.section	.text._ZN2at6native12_GLOBAL__N_125multi_tensor_apply_kernelINS1_28TensorListScalarListMetadataIdLi1EEENS1_25BinaryOpScalarListFunctorIdLi1ELi1ELi0EEEJNS1_13power_functorIdEEEEEvT_T0_DpT1_,"axG",@progbits,_ZN2at6native12_GLOBAL__N_125multi_tensor_apply_kernelINS1_28TensorListScalarListMetadataIdLi1EEENS1_25BinaryOpScalarListFunctorIdLi1ELi1ELi0EEEJNS1_13power_functorIdEEEEEvT_T0_DpT1_,comdat
	.globl	_ZN2at6native12_GLOBAL__N_125multi_tensor_apply_kernelINS1_28TensorListScalarListMetadataIdLi1EEENS1_25BinaryOpScalarListFunctorIdLi1ELi1ELi0EEEJNS1_13power_functorIdEEEEEvT_T0_DpT1_ ; -- Begin function _ZN2at6native12_GLOBAL__N_125multi_tensor_apply_kernelINS1_28TensorListScalarListMetadataIdLi1EEENS1_25BinaryOpScalarListFunctorIdLi1ELi1ELi0EEEJNS1_13power_functorIdEEEEEvT_T0_DpT1_
	.p2align	8
	.type	_ZN2at6native12_GLOBAL__N_125multi_tensor_apply_kernelINS1_28TensorListScalarListMetadataIdLi1EEENS1_25BinaryOpScalarListFunctorIdLi1ELi1ELi0EEEJNS1_13power_functorIdEEEEEvT_T0_DpT1_,@function
_ZN2at6native12_GLOBAL__N_125multi_tensor_apply_kernelINS1_28TensorListScalarListMetadataIdLi1EEENS1_25BinaryOpScalarListFunctorIdLi1ELi1ELi0EEEJNS1_13power_functorIdEEEEEvT_T0_DpT1_: ; @_ZN2at6native12_GLOBAL__N_125multi_tensor_apply_kernelINS1_28TensorListScalarListMetadataIdLi1EEENS1_25BinaryOpScalarListFunctorIdLi1ELi1ELi0EEEJNS1_13power_functorIdEEEEEvT_T0_DpT1_
; %bb.0:
	v_mov_b32_e32 v1, 0x800
	s_add_u32 s0, s4, s6
	s_addc_u32 s1, s5, 0
	s_mov_b32 s7, 0
	global_load_ubyte v1, v1, s[0:1] offset:256
	s_lshl_b64 s[0:1], s[6:7], 2
	s_add_u32 s0, s4, s0
	s_addc_u32 s1, s5, s1
	s_waitcnt vmcnt(0)
	v_lshlrev_b32_e32 v1, 3, v1
	v_readfirstlane_b32 s2, v1
	s_clause 0x3
	s_load_dword s0, s[0:1], 0xa40
	s_load_dwordx2 s[22:23], s[4:5], s2 offset:0x600
	s_load_dwordx2 s[8:9], s[4:5], s2 offset:0x0
	s_load_dwordx2 s[2:3], s[4:5], s2 offset:0x300
	s_waitcnt lgkmcnt(0)
	s_ashr_i32 s1, s0, 31
	s_lshl_b64 s[10:11], s[0:1], 19
	s_lshl_b64 s[0:1], s[0:1], 16
	s_and_b32 s6, s8, 31
	s_sub_u32 s12, s2, s0
	s_subb_u32 s13, s3, s1
	s_and_b32 s0, s2, 3
	s_mov_b32 s1, s7
	s_or_b64 s[0:1], s[6:7], s[0:1]
	s_cmp_eq_u64 s[0:1], 0
	s_cbranch_scc1 .LBB77_21
; %bb.1:
	v_cmp_lt_i64_e64 s0, s[12:13], 1
	s_and_b32 vcc_lo, exec_lo, s0
	s_cbranch_vccnz .LBB77_20
; %bb.2:
	s_load_dword s0, s[4:5], 0xf54
	v_cmp_gt_i64_e64 s1, 0x10000, s[12:13]
	v_cmp_gt_u64_e64 s2, 0x10000, s[12:13]
	v_lshlrev_b32_e32 v1, 3, v0
	s_mov_b32 s20, 0x55555555
	s_mov_b32 s24, 0xfefa39ef
	;; [unrolled: 1-line block ×3, first 2 shown]
	s_and_b32 s1, s1, exec_lo
	s_cselect_b32 s15, s13, 0
	s_cselect_b32 s14, s12, 0x10000
	s_mov_b32 s28, 0x968915a9
	s_mov_b32 s30, 0x4222de17
	s_mov_b32 s34, 0x3abe935a
	s_mov_b32 s36, 0x47e6c9c2
	s_mov_b32 s38, 0xcfa74449
	s_mov_b32 s40, 0x71bf3c30
	s_mov_b32 s42, 0x1c7792ce
	s_mov_b32 s44, 0x924920da
	s_mov_b32 s46, 0x9999999c
	s_mov_b32 s48, 0xd5df274d
	s_waitcnt lgkmcnt(0)
	s_and_b32 s0, s0, 0xffff
	s_and_b32 s1, s2, exec_lo
	v_add_co_u32 v13, s3, v0, s0
	s_cselect_b32 s17, s13, 0
	s_cselect_b32 s16, s12, 0x10000
	s_lshl_b32 s1, s0, 1
	v_lshlrev_b32_e32 v3, 3, v13
	s_lshl_b32 s33, s0, 2
	s_add_u32 s6, s8, s10
	s_mul_i32 s2, s0, 3
	s_mul_i32 s78, s0, 24
	s_addc_u32 s7, s9, s11
	s_lshl_b32 s79, s0, 5
	s_lshl_b32 s80, s0, 4
	v_add_co_u32 v17, s0, s1, v0
	v_add_co_u32 v1, s18, s6, v1
	;; [unrolled: 1-line block ×3, first 2 shown]
	v_add_co_ci_u32_e64 v18, null, 0, 0, s0
	v_add_co_u32 v3, s0, s6, v3
	v_add_co_ci_u32_e64 v2, null, s7, 0, s18
	v_add_co_ci_u32_e64 v15, null, 0, 0, s2
	;; [unrolled: 1-line block ×4, first 2 shown]
	s_mov_b32 s52, 0x652b82fe
	s_mov_b32 s58, 0xfca7ab0c
	;; [unrolled: 1-line block ×11, first 2 shown]
	s_mov_b64 s[18:19], 0
	s_mov_b32 s21, 0x3fe55555
	s_mov_b32 s25, 0x3fe62e42
	;; [unrolled: 1-line block ×27, first 2 shown]
	s_branch .LBB77_4
.LBB77_3:                               ;   in Loop: Header=BB77_4 Depth=1
	s_or_b32 exec_lo, exec_lo, s6
	s_add_u32 s18, s18, s33
	s_addc_u32 s19, s19, 0
	v_add_co_u32 v1, vcc_lo, v1, s79
	v_cmp_lt_i64_e64 s0, s[18:19], s[14:15]
	v_add_co_ci_u32_e64 v2, null, 0, v2, vcc_lo
	v_add_co_u32 v3, vcc_lo, v3, s79
	v_add_co_ci_u32_e64 v4, null, 0, v4, vcc_lo
	s_and_b32 vcc_lo, exec_lo, s0
	s_cbranch_vccz .LBB77_20
.LBB77_4:                               ; =>This Inner Loop Header: Depth=1
	s_waitcnt vmcnt(0)
	v_add_co_u32 v5, s0, v0, s18
	v_add_co_ci_u32_e64 v6, null, 0, s19, s0
	v_mov_b32_e32 v9, 0
	v_mov_b32_e32 v11, 0
	;; [unrolled: 1-line block ×3, first 2 shown]
	v_cmp_gt_u64_e64 s2, s[16:17], v[5:6]
	v_mov_b32_e32 v12, 0
	s_and_saveexec_b32 s0, s2
	s_cbranch_execz .LBB77_6
; %bb.5:                                ;   in Loop: Header=BB77_4 Depth=1
	global_load_dwordx2 v[11:12], v[1:2], off
.LBB77_6:                               ;   in Loop: Header=BB77_4 Depth=1
	s_or_b32 exec_lo, exec_lo, s0
	v_add_co_u32 v5, vcc_lo, v13, s18
	v_add_co_ci_u32_e64 v6, null, s19, v16, vcc_lo
	v_cmp_gt_u64_e64 s1, s[16:17], v[5:6]
	s_and_saveexec_b32 s0, s1
	s_cbranch_execz .LBB77_8
; %bb.7:                                ;   in Loop: Header=BB77_4 Depth=1
	global_load_dwordx2 v[9:10], v[3:4], off
.LBB77_8:                               ;   in Loop: Header=BB77_4 Depth=1
	s_or_b32 exec_lo, exec_lo, s0
	v_add_co_u32 v7, vcc_lo, v17, s18
	v_add_co_ci_u32_e64 v8, null, s19, v18, vcc_lo
	v_mov_b32_e32 v5, 0
	v_mov_b32_e32 v6, 0
	v_cmp_gt_u64_e64 s0, s[16:17], v[7:8]
	v_mov_b32_e32 v7, 0
	v_mov_b32_e32 v8, 0
	s_and_saveexec_b32 s3, s0
	s_cbranch_execz .LBB77_10
; %bb.9:                                ;   in Loop: Header=BB77_4 Depth=1
	v_add_co_u32 v7, vcc_lo, v1, s80
	v_add_co_ci_u32_e64 v8, null, 0, v2, vcc_lo
	global_load_dwordx2 v[7:8], v[7:8], off
.LBB77_10:                              ;   in Loop: Header=BB77_4 Depth=1
	s_or_b32 exec_lo, exec_lo, s3
	v_add_co_u32 v19, vcc_lo, v14, s18
	v_add_co_ci_u32_e64 v20, null, s19, v15, vcc_lo
	v_cmp_gt_u64_e32 vcc_lo, s[16:17], v[19:20]
	s_and_saveexec_b32 s6, vcc_lo
	s_cbranch_execnz .LBB77_15
; %bb.11:                               ;   in Loop: Header=BB77_4 Depth=1
	s_or_b32 exec_lo, exec_lo, s6
	s_and_saveexec_b32 s81, s2
	s_cbranch_execnz .LBB77_16
.LBB77_12:                              ;   in Loop: Header=BB77_4 Depth=1
	s_or_b32 exec_lo, exec_lo, s81
	s_and_saveexec_b32 s81, s1
	s_cbranch_execnz .LBB77_17
.LBB77_13:                              ;   in Loop: Header=BB77_4 Depth=1
	s_or_b32 exec_lo, exec_lo, s81
	s_and_saveexec_b32 s7, s0
	s_cbranch_execnz .LBB77_18
.LBB77_14:                              ;   in Loop: Header=BB77_4 Depth=1
	s_or_b32 exec_lo, exec_lo, s7
	s_and_saveexec_b32 s6, vcc_lo
	s_cbranch_execz .LBB77_3
	s_branch .LBB77_19
.LBB77_15:                              ;   in Loop: Header=BB77_4 Depth=1
	v_add_co_u32 v5, s3, v1, s78
	v_add_co_ci_u32_e64 v6, null, 0, v2, s3
	global_load_dwordx2 v[5:6], v[5:6], off
	s_or_b32 exec_lo, exec_lo, s6
	s_and_saveexec_b32 s81, s2
	s_cbranch_execz .LBB77_12
.LBB77_16:                              ;   in Loop: Header=BB77_4 Depth=1
	s_waitcnt vmcnt(0)
	v_cmp_neq_f64_e64 s2, 1.0, v[11:12]
	v_mov_b32_e32 v19, s23
	s_mov_b32 s50, s20
	s_mov_b32 s54, s24
	;; [unrolled: 1-line block ×3, first 2 shown]
	v_cndmask_b32_e64 v20, 0x3ff00000, v19, s2
	v_cndmask_b32_e64 v19, 0, s22, s2
	v_cmp_neq_f64_e64 s2, 0, v[19:20]
	v_cmp_neq_f64_e64 s7, v[19:20], |v[19:20]|
	v_cndmask_b32_e64 v12, 0x3ff00000, v12, s2
	v_cndmask_b32_e64 v11, 0, v11, s2
	v_frexp_mant_f64_e64 v[21:22], |v[11:12]|
	v_frexp_exp_i32_f64_e32 v23, v[11:12]
	v_cmp_gt_f64_e64 s2, s[20:21], v[21:22]
	v_subrev_co_ci_u32_e64 v41, null, 0, v23, s2
	v_cndmask_b32_e64 v23, 0, 1, s2
	v_ldexp_f64 v[21:22], v[21:22], v23
	v_add_f64 v[23:24], v[21:22], 1.0
	v_add_f64 v[29:30], v[21:22], -1.0
	v_rcp_f64_e32 v[25:26], v[23:24]
	v_add_f64 v[31:32], v[23:24], -1.0
	v_add_f64 v[21:22], v[21:22], -v[31:32]
	v_fma_f64 v[27:28], -v[23:24], v[25:26], 1.0
	v_fma_f64 v[25:26], v[27:28], v[25:26], v[25:26]
	v_fma_f64 v[27:28], -v[23:24], v[25:26], 1.0
	v_fma_f64 v[25:26], v[27:28], v[25:26], v[25:26]
	v_mul_f64 v[27:28], v[29:30], v[25:26]
	v_mul_f64 v[33:34], v[23:24], v[27:28]
	v_fma_f64 v[23:24], v[27:28], v[23:24], -v[33:34]
	v_fma_f64 v[21:22], v[27:28], v[21:22], v[23:24]
	v_add_f64 v[23:24], v[33:34], v[21:22]
	v_add_f64 v[31:32], v[29:30], -v[23:24]
	v_add_f64 v[33:34], v[23:24], -v[33:34]
	;; [unrolled: 1-line block ×5, first 2 shown]
	v_add_f64 v[21:22], v[21:22], v[23:24]
	v_add_f64 v[21:22], v[31:32], v[21:22]
	v_mul_f64 v[21:22], v[25:26], v[21:22]
	v_add_f64 v[23:24], v[27:28], v[21:22]
	v_add_f64 v[25:26], v[23:24], -v[27:28]
	v_mul_f64 v[27:28], v[23:24], v[23:24]
	v_add_f64 v[21:22], v[21:22], -v[25:26]
	v_fma_f64 v[25:26], v[23:24], v[23:24], -v[27:28]
	v_add_f64 v[29:30], v[21:22], v[21:22]
	v_fma_f64 v[25:26], v[23:24], v[29:30], v[25:26]
	v_add_f64 v[29:30], v[27:28], v[25:26]
	v_fma_f64 v[31:32], v[29:30], s[30:31], s[28:29]
	v_add_f64 v[27:28], v[29:30], -v[27:28]
	v_mul_f64 v[37:38], v[23:24], v[29:30]
	v_fma_f64 v[31:32], v[29:30], v[31:32], s[34:35]
	v_add_f64 v[25:26], v[25:26], -v[27:28]
	v_fma_f64 v[39:40], v[29:30], v[23:24], -v[37:38]
	v_fma_f64 v[31:32], v[29:30], v[31:32], s[36:37]
	v_fma_f64 v[31:32], v[29:30], v[31:32], s[38:39]
	;; [unrolled: 1-line block ×6, first 2 shown]
	v_mul_f64 v[33:34], v[29:30], v[31:32]
	v_fma_f64 v[27:28], v[29:30], v[31:32], -v[33:34]
	v_fma_f64 v[29:30], v[29:30], v[21:22], v[39:40]
	v_ldexp_f64 v[21:22], v[21:22], 1
	v_fma_f64 v[27:28], v[25:26], v[31:32], v[27:28]
	v_fma_f64 v[25:26], v[25:26], v[23:24], v[29:30]
	v_ldexp_f64 v[23:24], v[23:24], 1
	v_add_f64 v[31:32], v[33:34], v[27:28]
	v_add_f64 v[33:34], v[31:32], -v[33:34]
	v_add_f64 v[35:36], v[31:32], s[20:21]
	v_add_f64 v[27:28], v[27:28], -v[33:34]
	v_add_f64 v[33:34], v[35:36], s[50:51]
	v_cmp_lt_f64_e64 s50, |v[11:12]|, 1.0
	v_add_f64 v[27:28], v[27:28], s[48:49]
	v_add_f64 v[31:32], v[31:32], -v[33:34]
	s_xor_b32 s7, s7, s50
	v_cmp_class_f64_e64 s50, v[11:12], 0x204
	v_add_f64 v[27:28], v[27:28], v[31:32]
	v_add_f64 v[31:32], v[37:38], v[25:26]
	;; [unrolled: 1-line block ×3, first 2 shown]
	v_add_f64 v[37:38], v[31:32], -v[37:38]
	v_add_f64 v[33:34], v[35:36], -v[29:30]
	v_mul_f64 v[35:36], v[31:32], v[29:30]
	v_add_f64 v[25:26], v[25:26], -v[37:38]
	v_add_f64 v[27:28], v[27:28], v[33:34]
	v_fma_f64 v[33:34], v[31:32], v[29:30], -v[35:36]
	v_fma_f64 v[27:28], v[31:32], v[27:28], v[33:34]
	v_fma_f64 v[25:26], v[25:26], v[29:30], v[27:28]
	v_cvt_f64_i32_e32 v[29:30], v41
	v_add_f64 v[27:28], v[35:36], v[25:26]
	v_add_f64 v[31:32], v[27:28], -v[35:36]
	v_add_f64 v[33:34], v[23:24], v[27:28]
	v_mul_f64 v[35:36], v[29:30], s[24:25]
	v_add_f64 v[25:26], v[25:26], -v[31:32]
	v_add_f64 v[23:24], v[33:34], -v[23:24]
	v_fma_f64 v[31:32], v[29:30], s[24:25], -v[35:36]
	v_add_f64 v[21:22], v[21:22], v[25:26]
	v_add_f64 v[23:24], v[27:28], -v[23:24]
	v_fma_f64 v[25:26], v[29:30], s[26:27], v[31:32]
	v_add_f64 v[21:22], v[21:22], v[23:24]
	v_add_f64 v[23:24], v[35:36], v[25:26]
	v_add_f64 v[27:28], v[33:34], v[21:22]
	v_add_f64 v[35:36], v[23:24], -v[35:36]
	v_add_f64 v[29:30], v[23:24], v[27:28]
	v_add_f64 v[33:34], v[27:28], -v[33:34]
	v_add_f64 v[25:26], v[25:26], -v[35:36]
	v_add_f64 v[31:32], v[29:30], -v[23:24]
	v_add_f64 v[21:22], v[21:22], -v[33:34]
	v_add_f64 v[37:38], v[29:30], -v[31:32]
	v_add_f64 v[27:28], v[27:28], -v[31:32]
	v_add_f64 v[31:32], v[25:26], v[21:22]
	v_add_f64 v[23:24], v[23:24], -v[37:38]
	v_add_f64 v[23:24], v[27:28], v[23:24]
	v_add_f64 v[27:28], v[31:32], -v[25:26]
	;; [unrolled: 2-line block ×3, first 2 shown]
	v_add_f64 v[21:22], v[21:22], -v[27:28]
	v_add_f64 v[33:34], v[29:30], v[23:24]
	v_add_f64 v[25:26], v[25:26], -v[31:32]
	v_add_f64 v[27:28], v[33:34], -v[29:30]
	v_add_f64 v[21:22], v[21:22], v[25:26]
	v_add_f64 v[23:24], v[23:24], -v[27:28]
	v_add_f64 v[21:22], v[21:22], v[23:24]
	v_add_f64 v[23:24], v[33:34], v[21:22]
	v_add_f64 v[25:26], v[23:24], -v[33:34]
	v_mul_f64 v[27:28], v[19:20], v[23:24]
	v_add_f64 v[21:22], v[21:22], -v[25:26]
	v_fma_f64 v[23:24], v[19:20], v[23:24], -v[27:28]
	v_cmp_class_f64_e64 s2, v[27:28], 0x204
	v_fma_f64 v[21:22], v[19:20], v[21:22], v[23:24]
	v_add_f64 v[23:24], v[27:28], v[21:22]
	v_cndmask_b32_e64 v26, v24, v28, s2
	v_cndmask_b32_e64 v25, v23, v27, s2
	v_add_f64 v[23:24], v[23:24], -v[27:28]
	v_mul_f64 v[29:30], v[25:26], s[52:53]
	v_cmp_nlt_f64_e64 s3, 0x40900000, v[25:26]
	v_cmp_neq_f64_e64 s2, 0x7ff00000, |v[25:26]|
	v_cmp_ngt_f64_e64 s6, 0xc090cc00, v[25:26]
	v_add_f64 v[21:22], v[21:22], -v[23:24]
	v_trunc_f64_e32 v[23:24], v[19:20]
	v_rndne_f64_e32 v[29:30], v[29:30]
	v_cndmask_b32_e64 v22, 0, v22, s2
	v_cndmask_b32_e64 v21, 0, v21, s2
	s_and_b32 s2, s6, s3
	v_fma_f64 v[31:32], v[29:30], s[54:55], v[25:26]
	v_cvt_i32_f64_e32 v35, v[29:30]
	v_fma_f64 v[31:32], v[29:30], s[56:57], v[31:32]
	v_fma_f64 v[33:34], v[31:32], s[60:61], s[58:59]
	;; [unrolled: 1-line block ×10, first 2 shown]
	v_fma_f64 v[33:34], v[31:32], v[33:34], 1.0
	v_fma_f64 v[29:30], v[31:32], v[33:34], 1.0
	v_ldexp_f64 v[27:28], v[29:30], v35
	v_mul_f64 v[29:30], v[19:20], 0.5
	v_cndmask_b32_e64 v28, 0x7ff00000, v28, s3
	v_trunc_f64_e32 v[25:26], v[29:30]
	v_cndmask_b32_e64 v27, 0, v27, s2
	v_cmp_eq_f64_e64 s2, v[23:24], v[19:20]
	v_cndmask_b32_e64 v28, 0, v28, s6
	v_fma_f64 v[21:22], v[27:28], v[21:22], v[27:28]
	v_cmp_class_f64_e64 s6, v[27:28], 0x204
	v_cmp_neq_f64_e64 s3, v[25:26], v[29:30]
	v_cndmask_b32_e64 v26, 0x7ff00000, 0, s7
	v_cmp_neq_f64_e64 s7, |v[11:12]|, 1.0
	v_cndmask_b32_e64 v22, v22, v28, s6
	v_cndmask_b32_e64 v21, v21, v27, s6
	v_cmp_eq_f64_e64 s6, 0, v[11:12]
	v_cndmask_b32_e64 v25, 0, v21, s2
	s_and_b32 s3, s2, s3
	v_cndmask_b32_e64 v24, 0x3ff00000, v12, s3
	v_cndmask_b32_e64 v23, 0, v12, s3
	v_cmp_gt_f64_e64 s3, 0, v[19:20]
	v_cndmask_b32_e64 v26, 0x3ff00000, v26, s7
	v_bfi_b32 v22, 0x7fffffff, v22, v24
	v_cndmask_b32_e64 v24, 0x7ff80000, v22, s2
	v_cmp_gt_f64_e64 s2, 0, v[11:12]
	s_xor_b32 s3, s3, s6
	v_cndmask_b32_e64 v21, v21, v25, s2
	v_cndmask_b32_e64 v22, v22, v24, s2
	v_cmp_class_f64_e64 s2, v[19:20], 0x204
	v_cndmask_b32_e64 v24, 0x7ff00000, 0, s3
	s_or_b32 s3, s6, s50
	v_bfi_b32 v23, 0x7fffffff, v24, v23
	v_cndmask_b32_e64 v22, v22, v26, s2
	s_or_b32 s2, s3, s2
	v_cndmask_b32_e64 v21, v21, 0, s2
	v_cmp_o_f64_e64 s2, v[11:12], v[19:20]
	v_cndmask_b32_e64 v22, v22, v23, s3
	v_cndmask_b32_e64 v11, 0, v21, s2
	v_cndmask_b32_e64 v12, 0x7ff80000, v22, s2
	global_store_dwordx2 v[1:2], v[11:12], off
	s_or_b32 exec_lo, exec_lo, s81
	s_and_saveexec_b32 s81, s1
	s_cbranch_execz .LBB77_13
.LBB77_17:                              ;   in Loop: Header=BB77_4 Depth=1
	s_waitcnt vmcnt(0)
	v_cmp_neq_f64_e64 s1, 1.0, v[9:10]
	v_mov_b32_e32 v11, s23
	s_mov_b32 s50, s20
	s_mov_b32 s54, s24
	;; [unrolled: 1-line block ×3, first 2 shown]
	v_cndmask_b32_e64 v12, 0x3ff00000, v11, s1
	v_cndmask_b32_e64 v11, 0, s22, s1
	v_cmp_neq_f64_e64 s1, 0, v[11:12]
	v_cmp_neq_f64_e64 s7, v[11:12], |v[11:12]|
	v_cndmask_b32_e64 v10, 0x3ff00000, v10, s1
	v_cndmask_b32_e64 v9, 0, v9, s1
	v_frexp_mant_f64_e64 v[19:20], |v[9:10]|
	v_cmp_eq_f64_e64 s6, 0, v[9:10]
	v_cmp_gt_f64_e64 s1, s[20:21], v[19:20]
	v_cndmask_b32_e64 v21, 0, 1, s1
	v_ldexp_f64 v[19:20], v[19:20], v21
	v_add_f64 v[21:22], v[19:20], 1.0
	v_add_f64 v[27:28], v[19:20], -1.0
	v_rcp_f64_e32 v[23:24], v[21:22]
	v_add_f64 v[29:30], v[21:22], -1.0
	v_add_f64 v[19:20], v[19:20], -v[29:30]
	v_fma_f64 v[25:26], -v[21:22], v[23:24], 1.0
	v_fma_f64 v[23:24], v[25:26], v[23:24], v[23:24]
	v_fma_f64 v[25:26], -v[21:22], v[23:24], 1.0
	v_fma_f64 v[23:24], v[25:26], v[23:24], v[23:24]
	v_mul_f64 v[25:26], v[27:28], v[23:24]
	v_mul_f64 v[31:32], v[21:22], v[25:26]
	v_fma_f64 v[21:22], v[25:26], v[21:22], -v[31:32]
	v_fma_f64 v[19:20], v[25:26], v[19:20], v[21:22]
	v_add_f64 v[21:22], v[31:32], v[19:20]
	v_add_f64 v[29:30], v[27:28], -v[21:22]
	v_add_f64 v[31:32], v[21:22], -v[31:32]
	;; [unrolled: 1-line block ×5, first 2 shown]
	v_add_f64 v[19:20], v[19:20], v[21:22]
	v_add_f64 v[19:20], v[29:30], v[19:20]
	v_mul_f64 v[19:20], v[23:24], v[19:20]
	v_add_f64 v[21:22], v[25:26], v[19:20]
	v_add_f64 v[23:24], v[21:22], -v[25:26]
	v_mul_f64 v[25:26], v[21:22], v[21:22]
	v_add_f64 v[19:20], v[19:20], -v[23:24]
	v_fma_f64 v[23:24], v[21:22], v[21:22], -v[25:26]
	v_add_f64 v[27:28], v[19:20], v[19:20]
	v_fma_f64 v[23:24], v[21:22], v[27:28], v[23:24]
	v_add_f64 v[27:28], v[25:26], v[23:24]
	v_fma_f64 v[29:30], v[27:28], s[30:31], s[28:29]
	v_add_f64 v[25:26], v[27:28], -v[25:26]
	v_mul_f64 v[35:36], v[21:22], v[27:28]
	v_fma_f64 v[29:30], v[27:28], v[29:30], s[34:35]
	v_add_f64 v[23:24], v[23:24], -v[25:26]
	v_fma_f64 v[29:30], v[27:28], v[29:30], s[36:37]
	v_fma_f64 v[29:30], v[27:28], v[29:30], s[38:39]
	;; [unrolled: 1-line block ×6, first 2 shown]
	v_mul_f64 v[31:32], v[27:28], v[29:30]
	v_fma_f64 v[25:26], v[27:28], v[29:30], -v[31:32]
	v_fma_f64 v[25:26], v[23:24], v[29:30], v[25:26]
	v_add_f64 v[29:30], v[31:32], v[25:26]
	v_add_f64 v[33:34], v[29:30], s[20:21]
	v_add_f64 v[31:32], v[29:30], -v[31:32]
	v_add_f64 v[37:38], v[33:34], s[50:51]
	v_add_f64 v[25:26], v[25:26], -v[31:32]
	v_fma_f64 v[31:32], v[27:28], v[21:22], -v[35:36]
	v_cmp_lt_f64_e64 s50, |v[9:10]|, 1.0
	v_add_f64 v[29:30], v[29:30], -v[37:38]
	v_add_f64 v[25:26], v[25:26], s[48:49]
	v_fma_f64 v[27:28], v[27:28], v[19:20], v[31:32]
	v_ldexp_f64 v[19:20], v[19:20], 1
	s_xor_b32 s7, s7, s50
	v_cmp_class_f64_e64 s50, v[9:10], 0x204
	v_add_f64 v[25:26], v[25:26], v[29:30]
	v_fma_f64 v[23:24], v[23:24], v[21:22], v[27:28]
	v_ldexp_f64 v[21:22], v[21:22], 1
	v_add_f64 v[27:28], v[33:34], v[25:26]
	v_add_f64 v[29:30], v[35:36], v[23:24]
	v_add_f64 v[31:32], v[33:34], -v[27:28]
	v_mul_f64 v[33:34], v[29:30], v[27:28]
	v_add_f64 v[35:36], v[29:30], -v[35:36]
	v_add_f64 v[25:26], v[25:26], v[31:32]
	v_fma_f64 v[31:32], v[29:30], v[27:28], -v[33:34]
	v_add_f64 v[23:24], v[23:24], -v[35:36]
	v_fma_f64 v[25:26], v[29:30], v[25:26], v[31:32]
	v_fma_f64 v[23:24], v[23:24], v[27:28], v[25:26]
	v_frexp_exp_i32_f64_e32 v27, v[9:10]
	v_add_f64 v[25:26], v[33:34], v[23:24]
	v_subrev_co_ci_u32_e64 v27, null, 0, v27, s1
	v_cvt_f64_i32_e32 v[27:28], v27
	v_add_f64 v[29:30], v[21:22], v[25:26]
	v_add_f64 v[31:32], v[25:26], -v[33:34]
	v_mul_f64 v[33:34], v[27:28], s[24:25]
	v_add_f64 v[21:22], v[29:30], -v[21:22]
	v_add_f64 v[23:24], v[23:24], -v[31:32]
	v_fma_f64 v[31:32], v[27:28], s[24:25], -v[33:34]
	v_add_f64 v[21:22], v[25:26], -v[21:22]
	v_add_f64 v[19:20], v[19:20], v[23:24]
	v_fma_f64 v[23:24], v[27:28], s[26:27], v[31:32]
	v_add_f64 v[19:20], v[19:20], v[21:22]
	v_add_f64 v[21:22], v[33:34], v[23:24]
	;; [unrolled: 1-line block ×3, first 2 shown]
	v_add_f64 v[33:34], v[21:22], -v[33:34]
	v_add_f64 v[27:28], v[21:22], v[25:26]
	v_add_f64 v[29:30], v[25:26], -v[29:30]
	v_add_f64 v[23:24], v[23:24], -v[33:34]
	;; [unrolled: 1-line block ×6, first 2 shown]
	v_add_f64 v[29:30], v[23:24], v[19:20]
	v_add_f64 v[21:22], v[21:22], -v[35:36]
	v_add_f64 v[21:22], v[25:26], v[21:22]
	v_add_f64 v[25:26], v[29:30], -v[23:24]
	;; [unrolled: 2-line block ×3, first 2 shown]
	v_add_f64 v[19:20], v[19:20], -v[25:26]
	v_add_f64 v[31:32], v[27:28], v[21:22]
	v_add_f64 v[23:24], v[23:24], -v[29:30]
	v_add_f64 v[25:26], v[31:32], -v[27:28]
	v_add_f64 v[19:20], v[19:20], v[23:24]
	v_add_f64 v[21:22], v[21:22], -v[25:26]
	v_add_f64 v[19:20], v[19:20], v[21:22]
	v_add_f64 v[21:22], v[31:32], v[19:20]
	v_add_f64 v[23:24], v[21:22], -v[31:32]
	v_mul_f64 v[25:26], v[11:12], v[21:22]
	v_add_f64 v[19:20], v[19:20], -v[23:24]
	v_fma_f64 v[21:22], v[11:12], v[21:22], -v[25:26]
	v_cmp_class_f64_e64 s1, v[25:26], 0x204
	v_fma_f64 v[19:20], v[11:12], v[19:20], v[21:22]
	v_add_f64 v[21:22], v[25:26], v[19:20]
	v_cndmask_b32_e64 v24, v22, v26, s1
	v_cndmask_b32_e64 v23, v21, v25, s1
	v_add_f64 v[21:22], v[21:22], -v[25:26]
	v_mul_f64 v[27:28], v[23:24], s[52:53]
	v_cmp_nlt_f64_e64 s2, 0x40900000, v[23:24]
	v_cmp_neq_f64_e64 s1, 0x7ff00000, |v[23:24]|
	v_cmp_ngt_f64_e64 s3, 0xc090cc00, v[23:24]
	v_add_f64 v[19:20], v[19:20], -v[21:22]
	v_trunc_f64_e32 v[21:22], v[11:12]
	v_rndne_f64_e32 v[27:28], v[27:28]
	v_cndmask_b32_e64 v20, 0, v20, s1
	v_cndmask_b32_e64 v19, 0, v19, s1
	s_and_b32 s1, s3, s2
	v_fma_f64 v[29:30], v[27:28], s[54:55], v[23:24]
	v_cvt_i32_f64_e32 v33, v[27:28]
	v_fma_f64 v[29:30], v[27:28], s[56:57], v[29:30]
	v_fma_f64 v[31:32], v[29:30], s[60:61], s[58:59]
	;; [unrolled: 1-line block ×10, first 2 shown]
	v_fma_f64 v[31:32], v[29:30], v[31:32], 1.0
	v_fma_f64 v[27:28], v[29:30], v[31:32], 1.0
	v_ldexp_f64 v[25:26], v[27:28], v33
	v_mul_f64 v[27:28], v[11:12], 0.5
	v_cndmask_b32_e64 v26, 0x7ff00000, v26, s2
	v_trunc_f64_e32 v[23:24], v[27:28]
	v_cndmask_b32_e64 v25, 0, v25, s1
	v_cmp_eq_f64_e64 s1, v[21:22], v[11:12]
	v_cndmask_b32_e64 v26, 0, v26, s3
	v_fma_f64 v[19:20], v[25:26], v[19:20], v[25:26]
	v_cmp_class_f64_e64 s3, v[25:26], 0x204
	v_cmp_neq_f64_e64 s2, v[23:24], v[27:28]
	v_cndmask_b32_e64 v23, 0x7ff00000, 0, s7
	v_cmp_neq_f64_e64 s7, |v[9:10]|, 1.0
	v_cndmask_b32_e64 v20, v20, v26, s3
	v_cndmask_b32_e64 v19, v19, v25, s3
	v_cmp_gt_f64_e64 s3, 0, v[11:12]
	v_cndmask_b32_e64 v22, 0, v19, s1
	s_and_b32 s2, s1, s2
	v_cndmask_b32_e64 v21, 0x3ff00000, v10, s2
	v_cndmask_b32_e64 v23, 0x3ff00000, v23, s7
	v_bfi_b32 v20, 0x7fffffff, v20, v21
	v_cndmask_b32_e64 v21, 0x7ff80000, v20, s1
	v_cmp_gt_f64_e64 s1, 0, v[9:10]
	s_xor_b32 s3, s3, s6
	v_cndmask_b32_e64 v19, v19, v22, s1
	v_cndmask_b32_e64 v20, v20, v21, s1
	v_cmp_class_f64_e64 s1, v[11:12], 0x204
	v_cndmask_b32_e64 v22, 0, v10, s2
	s_or_b32 s2, s6, s50
	v_cndmask_b32_e64 v21, 0x7ff00000, 0, s3
	v_bfi_b32 v21, 0x7fffffff, v21, v22
	v_cndmask_b32_e64 v20, v20, v23, s1
	s_or_b32 s1, s2, s1
	v_cndmask_b32_e64 v19, v19, 0, s1
	v_cmp_o_f64_e64 s1, v[9:10], v[11:12]
	v_cndmask_b32_e64 v20, v20, v21, s2
	v_cndmask_b32_e64 v9, 0, v19, s1
	v_cndmask_b32_e64 v10, 0x7ff80000, v20, s1
	global_store_dwordx2 v[3:4], v[9:10], off
	s_or_b32 exec_lo, exec_lo, s81
	s_and_saveexec_b32 s7, s0
	s_cbranch_execz .LBB77_14
.LBB77_18:                              ;   in Loop: Header=BB77_4 Depth=1
	s_waitcnt vmcnt(0)
	v_cmp_neq_f64_e64 s0, 1.0, v[7:8]
	v_mov_b32_e32 v9, s23
	s_mov_b32 s50, s20
	s_mov_b32 s54, s24
	;; [unrolled: 1-line block ×3, first 2 shown]
	v_cndmask_b32_e64 v10, 0x3ff00000, v9, s0
	v_cndmask_b32_e64 v9, 0, s22, s0
	v_cmp_neq_f64_e64 s0, 0, v[9:10]
	v_cmp_neq_f64_e64 s6, v[9:10], |v[9:10]|
	v_cndmask_b32_e64 v8, 0x3ff00000, v8, s0
	v_cndmask_b32_e64 v7, 0, v7, s0
	v_frexp_mant_f64_e64 v[11:12], |v[7:8]|
	v_cmp_eq_f64_e64 s3, 0, v[7:8]
	v_cmp_gt_f64_e64 s0, s[20:21], v[11:12]
	v_cndmask_b32_e64 v19, 0, 1, s0
	v_ldexp_f64 v[11:12], v[11:12], v19
	v_add_f64 v[19:20], v[11:12], 1.0
	v_add_f64 v[25:26], v[11:12], -1.0
	v_rcp_f64_e32 v[21:22], v[19:20]
	v_add_f64 v[27:28], v[19:20], -1.0
	v_add_f64 v[11:12], v[11:12], -v[27:28]
	v_fma_f64 v[23:24], -v[19:20], v[21:22], 1.0
	v_fma_f64 v[21:22], v[23:24], v[21:22], v[21:22]
	v_fma_f64 v[23:24], -v[19:20], v[21:22], 1.0
	v_fma_f64 v[21:22], v[23:24], v[21:22], v[21:22]
	v_mul_f64 v[23:24], v[25:26], v[21:22]
	v_mul_f64 v[29:30], v[19:20], v[23:24]
	v_fma_f64 v[19:20], v[23:24], v[19:20], -v[29:30]
	v_fma_f64 v[11:12], v[23:24], v[11:12], v[19:20]
	v_add_f64 v[19:20], v[29:30], v[11:12]
	v_add_f64 v[27:28], v[25:26], -v[19:20]
	v_add_f64 v[29:30], v[19:20], -v[29:30]
	;; [unrolled: 1-line block ×5, first 2 shown]
	v_add_f64 v[11:12], v[11:12], v[19:20]
	v_add_f64 v[11:12], v[27:28], v[11:12]
	v_mul_f64 v[11:12], v[21:22], v[11:12]
	v_add_f64 v[19:20], v[23:24], v[11:12]
	v_add_f64 v[21:22], v[19:20], -v[23:24]
	v_mul_f64 v[23:24], v[19:20], v[19:20]
	v_add_f64 v[11:12], v[11:12], -v[21:22]
	v_fma_f64 v[21:22], v[19:20], v[19:20], -v[23:24]
	v_add_f64 v[25:26], v[11:12], v[11:12]
	v_fma_f64 v[21:22], v[19:20], v[25:26], v[21:22]
	v_add_f64 v[25:26], v[23:24], v[21:22]
	v_fma_f64 v[27:28], v[25:26], s[30:31], s[28:29]
	v_add_f64 v[23:24], v[25:26], -v[23:24]
	v_mul_f64 v[33:34], v[19:20], v[25:26]
	v_fma_f64 v[27:28], v[25:26], v[27:28], s[34:35]
	v_add_f64 v[21:22], v[21:22], -v[23:24]
	v_fma_f64 v[27:28], v[25:26], v[27:28], s[36:37]
	v_fma_f64 v[27:28], v[25:26], v[27:28], s[38:39]
	;; [unrolled: 1-line block ×6, first 2 shown]
	v_mul_f64 v[29:30], v[25:26], v[27:28]
	v_fma_f64 v[23:24], v[25:26], v[27:28], -v[29:30]
	v_fma_f64 v[23:24], v[21:22], v[27:28], v[23:24]
	v_add_f64 v[27:28], v[29:30], v[23:24]
	v_add_f64 v[31:32], v[27:28], s[20:21]
	v_add_f64 v[29:30], v[27:28], -v[29:30]
	v_add_f64 v[35:36], v[31:32], s[50:51]
	v_add_f64 v[23:24], v[23:24], -v[29:30]
	v_fma_f64 v[29:30], v[25:26], v[19:20], -v[33:34]
	v_cmp_lt_f64_e64 s50, |v[7:8]|, 1.0
	v_add_f64 v[27:28], v[27:28], -v[35:36]
	v_add_f64 v[23:24], v[23:24], s[48:49]
	v_fma_f64 v[25:26], v[25:26], v[11:12], v[29:30]
	v_ldexp_f64 v[11:12], v[11:12], 1
	s_xor_b32 s6, s6, s50
	v_cmp_class_f64_e64 s50, v[7:8], 0x204
	v_add_f64 v[23:24], v[23:24], v[27:28]
	v_fma_f64 v[21:22], v[21:22], v[19:20], v[25:26]
	v_ldexp_f64 v[19:20], v[19:20], 1
	v_add_f64 v[25:26], v[31:32], v[23:24]
	v_add_f64 v[27:28], v[33:34], v[21:22]
	v_add_f64 v[29:30], v[31:32], -v[25:26]
	v_mul_f64 v[31:32], v[27:28], v[25:26]
	v_add_f64 v[33:34], v[27:28], -v[33:34]
	v_add_f64 v[23:24], v[23:24], v[29:30]
	v_fma_f64 v[29:30], v[27:28], v[25:26], -v[31:32]
	v_add_f64 v[21:22], v[21:22], -v[33:34]
	v_fma_f64 v[23:24], v[27:28], v[23:24], v[29:30]
	v_fma_f64 v[21:22], v[21:22], v[25:26], v[23:24]
	v_frexp_exp_i32_f64_e32 v25, v[7:8]
	v_add_f64 v[23:24], v[31:32], v[21:22]
	v_subrev_co_ci_u32_e64 v25, null, 0, v25, s0
	v_cvt_f64_i32_e32 v[25:26], v25
	v_add_f64 v[27:28], v[19:20], v[23:24]
	v_add_f64 v[29:30], v[23:24], -v[31:32]
	v_mul_f64 v[31:32], v[25:26], s[24:25]
	v_add_f64 v[19:20], v[27:28], -v[19:20]
	v_add_f64 v[21:22], v[21:22], -v[29:30]
	v_fma_f64 v[29:30], v[25:26], s[24:25], -v[31:32]
	v_add_f64 v[19:20], v[23:24], -v[19:20]
	v_add_f64 v[11:12], v[11:12], v[21:22]
	v_fma_f64 v[21:22], v[25:26], s[26:27], v[29:30]
	v_add_f64 v[11:12], v[11:12], v[19:20]
	v_add_f64 v[19:20], v[31:32], v[21:22]
	;; [unrolled: 1-line block ×3, first 2 shown]
	v_add_f64 v[31:32], v[19:20], -v[31:32]
	v_add_f64 v[25:26], v[19:20], v[23:24]
	v_add_f64 v[27:28], v[23:24], -v[27:28]
	v_add_f64 v[21:22], v[21:22], -v[31:32]
	v_add_f64 v[29:30], v[25:26], -v[19:20]
	v_add_f64 v[11:12], v[11:12], -v[27:28]
	v_add_f64 v[33:34], v[25:26], -v[29:30]
	v_add_f64 v[23:24], v[23:24], -v[29:30]
	v_add_f64 v[27:28], v[21:22], v[11:12]
	v_add_f64 v[19:20], v[19:20], -v[33:34]
	v_add_f64 v[19:20], v[23:24], v[19:20]
	v_add_f64 v[23:24], v[27:28], -v[21:22]
	v_add_f64 v[19:20], v[27:28], v[19:20]
	v_add_f64 v[27:28], v[27:28], -v[23:24]
	v_add_f64 v[11:12], v[11:12], -v[23:24]
	v_add_f64 v[29:30], v[25:26], v[19:20]
	v_add_f64 v[21:22], v[21:22], -v[27:28]
	v_add_f64 v[23:24], v[29:30], -v[25:26]
	v_add_f64 v[11:12], v[11:12], v[21:22]
	v_add_f64 v[19:20], v[19:20], -v[23:24]
	v_add_f64 v[11:12], v[11:12], v[19:20]
	v_add_f64 v[19:20], v[29:30], v[11:12]
	v_add_f64 v[21:22], v[19:20], -v[29:30]
	v_mul_f64 v[23:24], v[9:10], v[19:20]
	v_add_f64 v[11:12], v[11:12], -v[21:22]
	v_fma_f64 v[19:20], v[9:10], v[19:20], -v[23:24]
	v_cmp_class_f64_e64 s0, v[23:24], 0x204
	v_fma_f64 v[11:12], v[9:10], v[11:12], v[19:20]
	v_add_f64 v[19:20], v[23:24], v[11:12]
	v_cndmask_b32_e64 v22, v20, v24, s0
	v_cndmask_b32_e64 v21, v19, v23, s0
	v_add_f64 v[19:20], v[19:20], -v[23:24]
	v_mul_f64 v[25:26], v[21:22], s[52:53]
	v_cmp_nlt_f64_e64 s1, 0x40900000, v[21:22]
	v_cmp_neq_f64_e64 s0, 0x7ff00000, |v[21:22]|
	v_cmp_ngt_f64_e64 s2, 0xc090cc00, v[21:22]
	v_add_f64 v[11:12], v[11:12], -v[19:20]
	v_trunc_f64_e32 v[19:20], v[9:10]
	v_rndne_f64_e32 v[25:26], v[25:26]
	v_cndmask_b32_e64 v12, 0, v12, s0
	v_cndmask_b32_e64 v11, 0, v11, s0
	s_and_b32 s0, s2, s1
	v_fma_f64 v[27:28], v[25:26], s[54:55], v[21:22]
	v_cvt_i32_f64_e32 v31, v[25:26]
	v_fma_f64 v[27:28], v[25:26], s[56:57], v[27:28]
	v_fma_f64 v[29:30], v[27:28], s[60:61], s[58:59]
	;; [unrolled: 1-line block ×10, first 2 shown]
	v_fma_f64 v[29:30], v[27:28], v[29:30], 1.0
	v_fma_f64 v[25:26], v[27:28], v[29:30], 1.0
	v_ldexp_f64 v[23:24], v[25:26], v31
	v_mul_f64 v[25:26], v[9:10], 0.5
	v_cndmask_b32_e64 v24, 0x7ff00000, v24, s1
	v_trunc_f64_e32 v[21:22], v[25:26]
	v_cndmask_b32_e64 v23, 0, v23, s0
	v_cmp_eq_f64_e64 s0, v[19:20], v[9:10]
	v_cndmask_b32_e64 v24, 0, v24, s2
	v_fma_f64 v[11:12], v[23:24], v[11:12], v[23:24]
	v_cmp_class_f64_e64 s2, v[23:24], 0x204
	v_cmp_neq_f64_e64 s1, v[21:22], v[25:26]
	v_cndmask_b32_e64 v21, 0x7ff00000, 0, s6
	v_cmp_neq_f64_e64 s6, |v[7:8]|, 1.0
	v_cndmask_b32_e64 v12, v12, v24, s2
	v_cndmask_b32_e64 v11, v11, v23, s2
	v_cmp_gt_f64_e64 s2, 0, v[9:10]
	v_cndmask_b32_e64 v20, 0, v11, s0
	s_and_b32 s1, s0, s1
	v_cndmask_b32_e64 v19, 0x3ff00000, v8, s1
	v_cndmask_b32_e64 v21, 0x3ff00000, v21, s6
	v_bfi_b32 v12, 0x7fffffff, v12, v19
	v_cndmask_b32_e64 v19, 0x7ff80000, v12, s0
	v_cmp_gt_f64_e64 s0, 0, v[7:8]
	s_xor_b32 s2, s2, s3
	v_cndmask_b32_e64 v11, v11, v20, s0
	v_cndmask_b32_e64 v12, v12, v19, s0
	v_cmp_class_f64_e64 s0, v[9:10], 0x204
	v_cndmask_b32_e64 v20, 0, v8, s1
	s_or_b32 s1, s3, s50
	v_cndmask_b32_e64 v19, 0x7ff00000, 0, s2
	v_bfi_b32 v19, 0x7fffffff, v19, v20
	v_cndmask_b32_e64 v12, v12, v21, s0
	s_or_b32 s0, s1, s0
	v_cndmask_b32_e64 v11, v11, 0, s0
	v_cmp_o_f64_e64 s0, v[7:8], v[9:10]
	v_cndmask_b32_e64 v12, v12, v19, s1
	v_cndmask_b32_e64 v7, 0, v11, s0
	;; [unrolled: 1-line block ×3, first 2 shown]
	v_add_co_u32 v9, s0, v1, s80
	v_add_co_ci_u32_e64 v10, null, 0, v2, s0
	global_store_dwordx2 v[9:10], v[7:8], off
	s_or_b32 exec_lo, exec_lo, s7
	s_and_saveexec_b32 s6, vcc_lo
	s_cbranch_execz .LBB77_3
.LBB77_19:                              ;   in Loop: Header=BB77_4 Depth=1
	s_waitcnt vmcnt(0)
	v_cmp_neq_f64_e32 vcc_lo, 1.0, v[5:6]
	v_mov_b32_e32 v7, s23
	s_mov_b32 s50, s20
	s_mov_b32 s54, s24
	;; [unrolled: 1-line block ×3, first 2 shown]
	v_cndmask_b32_e32 v8, 0x3ff00000, v7, vcc_lo
	v_cndmask_b32_e64 v7, 0, s22, vcc_lo
	v_cmp_neq_f64_e32 vcc_lo, 0, v[7:8]
	v_cmp_neq_f64_e64 s3, v[7:8], |v[7:8]|
	v_cndmask_b32_e32 v6, 0x3ff00000, v6, vcc_lo
	v_cndmask_b32_e32 v5, 0, v5, vcc_lo
	v_frexp_mant_f64_e64 v[9:10], |v[5:6]|
	v_cmp_lt_f64_e64 s7, |v[5:6]|, 1.0
	v_cmp_eq_f64_e64 s2, 0, v[5:6]
	v_cmp_gt_f64_e32 vcc_lo, s[20:21], v[9:10]
	s_xor_b32 s3, s3, s7
	v_cmp_class_f64_e64 s7, v[5:6], 0x204
	v_cndmask_b32_e64 v11, 0, 1, vcc_lo
	v_ldexp_f64 v[9:10], v[9:10], v11
	v_add_f64 v[11:12], v[9:10], 1.0
	v_add_f64 v[23:24], v[9:10], -1.0
	v_rcp_f64_e32 v[19:20], v[11:12]
	v_add_f64 v[25:26], v[11:12], -1.0
	v_add_f64 v[9:10], v[9:10], -v[25:26]
	v_fma_f64 v[21:22], -v[11:12], v[19:20], 1.0
	v_fma_f64 v[19:20], v[21:22], v[19:20], v[19:20]
	v_fma_f64 v[21:22], -v[11:12], v[19:20], 1.0
	v_fma_f64 v[19:20], v[21:22], v[19:20], v[19:20]
	v_mul_f64 v[21:22], v[23:24], v[19:20]
	v_mul_f64 v[27:28], v[11:12], v[21:22]
	v_fma_f64 v[11:12], v[21:22], v[11:12], -v[27:28]
	v_fma_f64 v[9:10], v[21:22], v[9:10], v[11:12]
	v_add_f64 v[11:12], v[27:28], v[9:10]
	v_add_f64 v[25:26], v[23:24], -v[11:12]
	v_add_f64 v[27:28], v[11:12], -v[27:28]
	;; [unrolled: 1-line block ×5, first 2 shown]
	v_add_f64 v[9:10], v[9:10], v[11:12]
	v_add_f64 v[9:10], v[25:26], v[9:10]
	v_mul_f64 v[9:10], v[19:20], v[9:10]
	v_add_f64 v[11:12], v[21:22], v[9:10]
	v_add_f64 v[19:20], v[11:12], -v[21:22]
	v_mul_f64 v[21:22], v[11:12], v[11:12]
	v_add_f64 v[9:10], v[9:10], -v[19:20]
	v_fma_f64 v[19:20], v[11:12], v[11:12], -v[21:22]
	v_add_f64 v[23:24], v[9:10], v[9:10]
	v_fma_f64 v[19:20], v[11:12], v[23:24], v[19:20]
	v_add_f64 v[23:24], v[21:22], v[19:20]
	v_fma_f64 v[25:26], v[23:24], s[30:31], s[28:29]
	v_add_f64 v[21:22], v[23:24], -v[21:22]
	v_mul_f64 v[31:32], v[11:12], v[23:24]
	v_fma_f64 v[25:26], v[23:24], v[25:26], s[34:35]
	v_add_f64 v[19:20], v[19:20], -v[21:22]
	v_fma_f64 v[25:26], v[23:24], v[25:26], s[36:37]
	v_fma_f64 v[25:26], v[23:24], v[25:26], s[38:39]
	;; [unrolled: 1-line block ×6, first 2 shown]
	v_mul_f64 v[27:28], v[23:24], v[25:26]
	v_fma_f64 v[21:22], v[23:24], v[25:26], -v[27:28]
	v_fma_f64 v[21:22], v[19:20], v[25:26], v[21:22]
	v_add_f64 v[25:26], v[27:28], v[21:22]
	v_add_f64 v[29:30], v[25:26], s[20:21]
	v_add_f64 v[27:28], v[25:26], -v[27:28]
	v_add_f64 v[33:34], v[29:30], s[50:51]
	v_add_f64 v[21:22], v[21:22], -v[27:28]
	v_fma_f64 v[27:28], v[23:24], v[11:12], -v[31:32]
	v_add_f64 v[25:26], v[25:26], -v[33:34]
	v_add_f64 v[21:22], v[21:22], s[48:49]
	v_fma_f64 v[23:24], v[23:24], v[9:10], v[27:28]
	v_ldexp_f64 v[9:10], v[9:10], 1
	v_add_f64 v[21:22], v[21:22], v[25:26]
	v_fma_f64 v[19:20], v[19:20], v[11:12], v[23:24]
	v_ldexp_f64 v[11:12], v[11:12], 1
	v_add_f64 v[23:24], v[29:30], v[21:22]
	v_add_f64 v[25:26], v[31:32], v[19:20]
	v_add_f64 v[27:28], v[29:30], -v[23:24]
	v_mul_f64 v[29:30], v[25:26], v[23:24]
	v_add_f64 v[31:32], v[25:26], -v[31:32]
	v_add_f64 v[21:22], v[21:22], v[27:28]
	v_fma_f64 v[27:28], v[25:26], v[23:24], -v[29:30]
	v_add_f64 v[19:20], v[19:20], -v[31:32]
	v_fma_f64 v[21:22], v[25:26], v[21:22], v[27:28]
	v_fma_f64 v[19:20], v[19:20], v[23:24], v[21:22]
	v_frexp_exp_i32_f64_e32 v23, v[5:6]
	v_add_f64 v[21:22], v[29:30], v[19:20]
	v_subrev_co_ci_u32_e64 v23, null, 0, v23, vcc_lo
	v_cvt_f64_i32_e32 v[23:24], v23
	v_add_f64 v[25:26], v[11:12], v[21:22]
	v_add_f64 v[27:28], v[21:22], -v[29:30]
	v_mul_f64 v[29:30], v[23:24], s[24:25]
	v_add_f64 v[11:12], v[25:26], -v[11:12]
	v_add_f64 v[19:20], v[19:20], -v[27:28]
	v_fma_f64 v[27:28], v[23:24], s[24:25], -v[29:30]
	v_add_f64 v[11:12], v[21:22], -v[11:12]
	v_add_f64 v[9:10], v[9:10], v[19:20]
	v_fma_f64 v[19:20], v[23:24], s[26:27], v[27:28]
	v_add_f64 v[9:10], v[9:10], v[11:12]
	v_add_f64 v[11:12], v[29:30], v[19:20]
	;; [unrolled: 1-line block ×3, first 2 shown]
	v_add_f64 v[29:30], v[11:12], -v[29:30]
	v_add_f64 v[23:24], v[11:12], v[21:22]
	v_add_f64 v[25:26], v[21:22], -v[25:26]
	v_add_f64 v[19:20], v[19:20], -v[29:30]
	;; [unrolled: 1-line block ×6, first 2 shown]
	v_add_f64 v[25:26], v[19:20], v[9:10]
	v_add_f64 v[11:12], v[11:12], -v[31:32]
	v_add_f64 v[11:12], v[21:22], v[11:12]
	v_add_f64 v[21:22], v[25:26], -v[19:20]
	;; [unrolled: 2-line block ×3, first 2 shown]
	v_add_f64 v[9:10], v[9:10], -v[21:22]
	v_add_f64 v[27:28], v[23:24], v[11:12]
	v_add_f64 v[19:20], v[19:20], -v[25:26]
	v_add_f64 v[21:22], v[27:28], -v[23:24]
	v_add_f64 v[9:10], v[9:10], v[19:20]
	v_add_f64 v[11:12], v[11:12], -v[21:22]
	v_add_f64 v[9:10], v[9:10], v[11:12]
	v_add_f64 v[11:12], v[27:28], v[9:10]
	v_add_f64 v[19:20], v[11:12], -v[27:28]
	v_mul_f64 v[21:22], v[7:8], v[11:12]
	v_add_f64 v[9:10], v[9:10], -v[19:20]
	v_fma_f64 v[11:12], v[7:8], v[11:12], -v[21:22]
	v_cmp_class_f64_e64 vcc_lo, v[21:22], 0x204
	v_fma_f64 v[9:10], v[7:8], v[9:10], v[11:12]
	v_add_f64 v[11:12], v[21:22], v[9:10]
	v_cndmask_b32_e32 v20, v12, v22, vcc_lo
	v_cndmask_b32_e32 v19, v11, v21, vcc_lo
	v_add_f64 v[11:12], v[11:12], -v[21:22]
	v_mul_f64 v[23:24], v[19:20], s[52:53]
	v_cmp_nlt_f64_e64 s0, 0x40900000, v[19:20]
	v_cmp_neq_f64_e64 vcc_lo, 0x7ff00000, |v[19:20]|
	v_cmp_ngt_f64_e64 s1, 0xc090cc00, v[19:20]
	v_add_f64 v[9:10], v[9:10], -v[11:12]
	v_trunc_f64_e32 v[11:12], v[7:8]
	v_rndne_f64_e32 v[23:24], v[23:24]
	v_cndmask_b32_e32 v10, 0, v10, vcc_lo
	v_cndmask_b32_e32 v9, 0, v9, vcc_lo
	s_and_b32 vcc_lo, s1, s0
	v_fma_f64 v[25:26], v[23:24], s[54:55], v[19:20]
	v_cvt_i32_f64_e32 v29, v[23:24]
	v_fma_f64 v[25:26], v[23:24], s[56:57], v[25:26]
	v_fma_f64 v[27:28], v[25:26], s[60:61], s[58:59]
	;; [unrolled: 1-line block ×10, first 2 shown]
	v_fma_f64 v[27:28], v[25:26], v[27:28], 1.0
	v_fma_f64 v[23:24], v[25:26], v[27:28], 1.0
	v_ldexp_f64 v[21:22], v[23:24], v29
	v_mul_f64 v[23:24], v[7:8], 0.5
	v_cndmask_b32_e64 v22, 0x7ff00000, v22, s0
	v_trunc_f64_e32 v[19:20], v[23:24]
	v_cndmask_b32_e32 v21, 0, v21, vcc_lo
	v_cmp_eq_f64_e32 vcc_lo, v[11:12], v[7:8]
	v_cndmask_b32_e64 v22, 0, v22, s1
	v_fma_f64 v[9:10], v[21:22], v[9:10], v[21:22]
	v_cmp_class_f64_e64 s1, v[21:22], 0x204
	v_cmp_neq_f64_e64 s0, v[19:20], v[23:24]
	v_cndmask_b32_e64 v19, 0x7ff00000, 0, s3
	v_cmp_neq_f64_e64 s3, |v[5:6]|, 1.0
	v_cndmask_b32_e64 v10, v10, v22, s1
	v_cndmask_b32_e64 v9, v9, v21, s1
	v_cmp_gt_f64_e64 s1, 0, v[7:8]
	v_cndmask_b32_e32 v12, 0, v9, vcc_lo
	s_and_b32 s0, vcc_lo, s0
	v_cndmask_b32_e64 v11, 0x3ff00000, v6, s0
	v_cndmask_b32_e64 v19, 0x3ff00000, v19, s3
	v_bfi_b32 v10, 0x7fffffff, v10, v11
	v_cndmask_b32_e32 v11, 0x7ff80000, v10, vcc_lo
	v_cmp_gt_f64_e32 vcc_lo, 0, v[5:6]
	s_xor_b32 s1, s1, s2
	v_cndmask_b32_e32 v9, v9, v12, vcc_lo
	v_cndmask_b32_e32 v10, v10, v11, vcc_lo
	v_cmp_class_f64_e64 vcc_lo, v[7:8], 0x204
	v_cndmask_b32_e64 v11, 0x7ff00000, 0, s1
	v_cndmask_b32_e64 v12, 0, v6, s0
	s_or_b32 s0, s2, s7
	v_bfi_b32 v11, 0x7fffffff, v11, v12
	v_cndmask_b32_e32 v10, v10, v19, vcc_lo
	v_cndmask_b32_e64 v10, v10, v11, s0
	s_or_b32 s0, s0, vcc_lo
	v_cmp_o_f64_e32 vcc_lo, v[5:6], v[7:8]
	v_cndmask_b32_e64 v9, v9, 0, s0
	v_cndmask_b32_e32 v5, 0, v9, vcc_lo
	v_cndmask_b32_e32 v6, 0x7ff80000, v10, vcc_lo
	v_add_co_u32 v7, vcc_lo, v1, s78
	v_add_co_ci_u32_e64 v8, null, 0, v2, vcc_lo
	global_store_dwordx2 v[7:8], v[5:6], off
	s_branch .LBB77_3
.LBB77_20:
	s_cbranch_execz .LBB77_22
	s_branch .LBB77_25
.LBB77_21:
.LBB77_22:
	v_cmp_gt_i64_e64 s0, 0x10000, s[12:13]
	v_mov_b32_e32 v2, 0
	v_lshlrev_b32_e32 v1, 2, v0
	s_mov_b32 s33, 0
	s_and_b32 s0, s0, exec_lo
	s_cselect_b32 s25, s13, 0
	s_cselect_b32 s24, s12, 0x10000
	s_mov_b32 s0, exec_lo
	v_cmpx_gt_i64_e64 s[24:25], v[1:2]
	s_cbranch_execz .LBB77_25
; %bb.23:
	s_load_dword s0, s[4:5], 0xf54
	v_mov_b32_e32 v1, v2
	v_lshlrev_b32_e32 v2, 5, v0
	v_mov_b32_e32 v30, s23
	s_mov_b32 s26, 0x55555555
	s_mov_b32 s28, 0x968915a9
	;; [unrolled: 1-line block ×16, first 2 shown]
	s_waitcnt lgkmcnt(0)
	s_and_b32 s23, s0, 0xffff
	s_add_u32 s0, s8, s10
	s_addc_u32 s1, s9, s11
	v_add_co_u32 v2, s0, s0, v2
	v_add_co_ci_u32_e64 v3, null, s1, 0, s0
	s_mov_b32 s66, 0x623fde64
	s_waitcnt vmcnt(0)
	v_add_co_u32 v6, vcc_lo, v2, 16
	v_add_co_ci_u32_e64 v7, null, 0, v3, vcc_lo
	s_mov_b32 s68, 0x7c89e6b0
	s_mov_b32 s70, 0x14761f6e
	;; [unrolled: 1-line block ×14, first 2 shown]
	s_lshl_b32 s82, s23, 5
	s_mov_b32 s43, 0x3fcc71c7
	s_mov_b32 s45, 0x3fd24924
	;; [unrolled: 1-line block ×23, first 2 shown]
.LBB77_24:                              ; =>This Inner Loop Header: Depth=1
	s_clause 0x1
	global_load_dwordx4 v[2:5], v[6:7], off offset:-16
	global_load_dwordx4 v[16:19], v[6:7], off
	s_waitcnt vmcnt(1)
	v_cmp_neq_f64_e32 vcc_lo, 1.0, v[2:3]
	v_cmp_neq_f64_e64 s0, 1.0, v[4:5]
	s_waitcnt vmcnt(0)
	v_cmp_neq_f64_e64 s1, 1.0, v[16:17]
	v_cmp_neq_f64_e64 s2, 1.0, v[18:19]
	v_cndmask_b32_e32 v9, 0x3ff00000, v30, vcc_lo
	v_cndmask_b32_e64 v8, 0, s22, vcc_lo
	v_cmp_neq_f64_e32 vcc_lo, 0, v[8:9]
	v_cmp_gt_f64_e64 s4, 0, v[8:9]
	v_cmp_neq_f64_e64 s11, v[8:9], |v[8:9]|
	v_cndmask_b32_e32 v3, 0x3ff00000, v3, vcc_lo
	v_cndmask_b32_e32 v2, 0, v2, vcc_lo
	v_frexp_mant_f64_e64 v[10:11], |v[2:3]|
	v_frexp_exp_i32_f64_e32 v75, v[2:3]
	v_cmp_lt_f64_e64 s13, |v[2:3]|, 1.0
	v_cmp_class_f64_e64 s90, v[2:3], 0x204
	v_cmp_gt_f64_e32 vcc_lo, s[26:27], v[10:11]
	s_xor_b32 s11, s11, s13
	v_cndmask_b32_e64 v12, 0, 1, vcc_lo
	v_subrev_co_ci_u32_e64 v75, null, 0, v75, vcc_lo
	v_ldexp_f64 v[20:21], v[10:11], v12
	v_cndmask_b32_e64 v11, 0x3ff00000, v30, s0
	v_cndmask_b32_e64 v10, 0, s22, s0
	v_cmp_neq_f64_e64 s0, 0, v[10:11]
	v_cmp_neq_f64_e64 s12, v[10:11], |v[10:11]|
	v_cmp_gt_f64_e64 s5, 0, v[10:11]
	v_add_f64 v[22:23], v[20:21], 1.0
	v_add_f64 v[31:32], v[20:21], -1.0
	v_cndmask_b32_e64 v5, 0x3ff00000, v5, s0
	v_cndmask_b32_e64 v4, 0, v4, s0
	v_frexp_mant_f64_e64 v[26:27], |v[4:5]|
	v_cmp_lt_f64_e64 s14, |v[4:5]|, 1.0
	v_cmp_class_f64_e64 s84, v[4:5], 0x204
	v_rcp_f64_e32 v[12:13], v[22:23]
	v_add_f64 v[37:38], v[22:23], -1.0
	v_add_f64 v[20:21], v[20:21], -v[37:38]
	v_fma_f64 v[14:15], -v[22:23], v[12:13], 1.0
	v_fma_f64 v[24:25], v[14:15], v[12:13], v[12:13]
	v_cndmask_b32_e64 v13, 0x3ff00000, v30, s1
	v_cndmask_b32_e64 v12, 0, s22, s1
	v_cmp_neq_f64_e64 s1, 0, v[12:13]
	v_cmp_neq_f64_e64 s86, v[12:13], |v[12:13]|
	v_cmp_gt_f64_e64 s6, 0, v[12:13]
	v_fma_f64 v[28:29], -v[22:23], v[24:25], 1.0
	v_cndmask_b32_e64 v15, 0x3ff00000, v17, s1
	v_cndmask_b32_e64 v14, 0, v16, s1
	v_cmp_gt_f64_e64 s1, s[26:27], v[26:27]
	v_frexp_mant_f64_e64 v[16:17], |v[14:15]|
	v_cmp_lt_f64_e64 s88, |v[14:15]|, 1.0
	v_cmp_eq_f64_e64 s3, 0, v[14:15]
	v_cmp_class_f64_e64 s83, v[14:15], 0x204
	v_fma_f64 v[24:25], v[28:29], v[24:25], v[24:25]
	v_cndmask_b32_e64 v33, 0, 1, s1
	v_cmp_gt_f64_e64 s0, s[26:27], v[16:17]
	v_ldexp_f64 v[26:27], v[26:27], v33
	v_mul_f64 v[28:29], v[31:32], v[24:25]
	v_cndmask_b32_e64 v33, 0, 1, s0
	v_add_f64 v[35:36], v[26:27], 1.0
	v_add_f64 v[51:52], v[26:27], -1.0
	v_ldexp_f64 v[33:34], v[16:17], v33
	v_cndmask_b32_e64 v17, 0x3ff00000, v30, s2
	v_cndmask_b32_e64 v16, 0, s22, s2
	v_mul_f64 v[39:40], v[22:23], v[28:29]
	v_cmp_neq_f64_e64 s2, 0, v[16:17]
	v_cmp_gt_f64_e64 s7, 0, v[16:17]
	v_cmp_neq_f64_e64 s87, v[16:17], |v[16:17]|
	v_rcp_f64_e32 v[43:44], v[35:36]
	v_add_f64 v[41:42], v[33:34], 1.0
	v_add_f64 v[55:56], v[33:34], -1.0
	v_fma_f64 v[22:23], v[28:29], v[22:23], -v[39:40]
	v_cndmask_b32_e64 v19, 0x3ff00000, v19, s2
	v_cndmask_b32_e64 v18, 0, v18, s2
	v_frexp_exp_i32_f64_e32 v76, v[18:19]
	v_cmp_lt_f64_e64 s89, |v[18:19]|, 1.0
	v_cmp_class_f64_e64 s85, v[18:19], 0x204
	v_fma_f64 v[45:46], -v[35:36], v[43:44], 1.0
	v_rcp_f64_e32 v[37:38], v[41:42]
	v_fma_f64 v[20:21], v[28:29], v[20:21], v[22:23]
	v_frexp_mant_f64_e64 v[22:23], |v[18:19]|
	v_fma_f64 v[43:44], v[45:46], v[43:44], v[43:44]
	v_fma_f64 v[47:48], -v[41:42], v[37:38], 1.0
	v_add_f64 v[45:46], v[39:40], v[20:21]
	v_cmp_gt_f64_e64 s2, s[26:27], v[22:23]
	v_fma_f64 v[37:38], v[47:48], v[37:38], v[37:38]
	v_fma_f64 v[47:48], -v[35:36], v[43:44], 1.0
	v_add_f64 v[39:40], v[45:46], -v[39:40]
	v_cndmask_b32_e64 v49, 0, 1, s2
	v_ldexp_f64 v[22:23], v[22:23], v49
	v_add_f64 v[49:50], v[31:32], -v[45:46]
	v_fma_f64 v[53:54], -v[41:42], v[37:38], 1.0
	v_fma_f64 v[43:44], v[47:48], v[43:44], v[43:44]
	v_add_f64 v[20:21], v[39:40], -v[20:21]
	v_add_f64 v[39:40], v[35:36], -1.0
	v_add_f64 v[47:48], v[22:23], 1.0
	v_add_f64 v[31:32], v[31:32], -v[49:50]
	v_fma_f64 v[37:38], v[53:54], v[37:38], v[37:38]
	v_mul_f64 v[53:54], v[51:52], v[43:44]
	v_add_f64 v[26:27], v[26:27], -v[39:40]
	v_rcp_f64_e32 v[57:58], v[47:48]
	v_add_f64 v[31:32], v[31:32], -v[45:46]
	v_add_f64 v[65:66], v[47:48], -1.0
	v_mul_f64 v[45:46], v[55:56], v[37:38]
	v_mul_f64 v[59:60], v[35:36], v[53:54]
	v_add_f64 v[20:21], v[20:21], v[31:32]
	v_fma_f64 v[61:62], -v[47:48], v[57:58], 1.0
	v_add_f64 v[31:32], v[41:42], -1.0
	v_mul_f64 v[39:40], v[41:42], v[45:46]
	v_fma_f64 v[35:36], v[53:54], v[35:36], -v[59:60]
	v_add_f64 v[20:21], v[49:50], v[20:21]
	v_fma_f64 v[57:58], v[61:62], v[57:58], v[57:58]
	v_add_f64 v[31:32], v[33:34], -v[31:32]
	v_fma_f64 v[33:34], v[45:46], v[41:42], -v[39:40]
	v_fma_f64 v[26:27], v[53:54], v[26:27], v[35:36]
	v_mul_f64 v[20:21], v[24:25], v[20:21]
	v_fma_f64 v[35:36], -v[47:48], v[57:58], 1.0
	v_fma_f64 v[24:25], v[45:46], v[31:32], v[33:34]
	v_add_f64 v[31:32], v[59:60], v[26:27]
	v_add_f64 v[33:34], v[22:23], -1.0
	v_add_f64 v[22:23], v[22:23], -v[65:66]
	v_add_f64 v[41:42], v[28:29], v[20:21]
	v_fma_f64 v[35:36], v[35:36], v[57:58], v[57:58]
	v_add_f64 v[49:50], v[39:40], v[24:25]
	v_add_f64 v[57:58], v[51:52], -v[31:32]
	v_add_f64 v[59:60], v[31:32], -v[59:60]
	;; [unrolled: 1-line block ×3, first 2 shown]
	v_mul_f64 v[61:62], v[33:34], v[35:36]
	v_mul_f64 v[69:70], v[41:42], v[41:42]
	v_add_f64 v[63:64], v[55:56], -v[49:50]
	v_add_f64 v[51:52], v[51:52], -v[57:58]
	v_add_f64 v[26:27], v[59:60], -v[26:27]
	v_add_f64 v[20:21], v[20:21], -v[28:29]
	v_mul_f64 v[67:68], v[47:48], v[61:62]
	v_add_f64 v[28:29], v[49:50], -v[39:40]
	v_add_f64 v[39:40], v[55:56], -v[63:64]
	;; [unrolled: 1-line block ×3, first 2 shown]
	v_fma_f64 v[51:52], v[41:42], v[41:42], -v[69:70]
	v_add_f64 v[55:56], v[20:21], v[20:21]
	v_fma_f64 v[47:48], v[61:62], v[47:48], -v[67:68]
	v_add_f64 v[24:25], v[28:29], -v[24:25]
	v_add_f64 v[28:29], v[39:40], -v[49:50]
	v_add_f64 v[26:27], v[26:27], v[31:32]
	v_fma_f64 v[31:32], v[41:42], v[55:56], v[51:52]
	v_fma_f64 v[22:23], v[61:62], v[22:23], v[47:48]
	v_add_f64 v[24:25], v[24:25], v[28:29]
	v_add_f64 v[26:27], v[57:58], v[26:27]
	;; [unrolled: 1-line block ×5, first 2 shown]
	v_mul_f64 v[26:27], v[43:44], v[26:27]
	v_fma_f64 v[47:48], v[39:40], s[30:31], s[28:29]
	v_add_f64 v[43:44], v[33:34], -v[28:29]
	v_add_f64 v[49:50], v[28:29], -v[67:68]
	v_mul_f64 v[71:72], v[41:42], v[39:40]
	v_mul_f64 v[24:25], v[37:38], v[24:25]
	v_add_f64 v[37:38], v[53:54], v[26:27]
	v_fma_f64 v[47:48], v[39:40], v[47:48], s[34:35]
	v_add_f64 v[33:34], v[33:34], -v[43:44]
	v_add_f64 v[22:23], v[49:50], -v[22:23]
	v_add_f64 v[51:52], v[45:46], v[24:25]
	v_add_f64 v[53:54], v[37:38], -v[53:54]
	v_add_f64 v[28:29], v[33:34], -v[28:29]
	v_fma_f64 v[33:34], v[39:40], v[47:48], s[36:37]
	v_mul_f64 v[47:48], v[37:38], v[37:38]
	v_add_f64 v[45:46], v[51:52], -v[45:46]
	v_add_f64 v[26:27], v[26:27], -v[53:54]
	v_add_f64 v[22:23], v[22:23], v[28:29]
	v_fma_f64 v[28:29], v[39:40], v[33:34], s[38:39]
	v_mul_f64 v[33:34], v[51:52], v[51:52]
	v_fma_f64 v[49:50], v[37:38], v[37:38], -v[47:48]
	v_add_f64 v[24:25], v[24:25], -v[45:46]
	v_add_f64 v[45:46], v[26:27], v[26:27]
	v_add_f64 v[22:23], v[43:44], v[22:23]
	v_fma_f64 v[28:29], v[39:40], v[28:29], s[40:41]
	v_fma_f64 v[43:44], v[51:52], v[51:52], -v[33:34]
	v_add_f64 v[53:54], v[24:25], v[24:25]
	v_fma_f64 v[45:46], v[37:38], v[45:46], v[49:50]
	v_mul_f64 v[22:23], v[35:36], v[22:23]
	v_fma_f64 v[28:29], v[39:40], v[28:29], s[42:43]
	v_fma_f64 v[35:36], v[51:52], v[53:54], v[43:44]
	v_add_f64 v[43:44], v[47:48], v[45:46]
	v_add_f64 v[49:50], v[61:62], v[22:23]
	v_fma_f64 v[28:29], v[39:40], v[28:29], s[44:45]
	v_add_f64 v[53:54], v[33:34], v[35:36]
	v_fma_f64 v[55:56], v[43:44], s[30:31], s[28:29]
	v_add_f64 v[47:48], v[43:44], -v[47:48]
	v_add_f64 v[57:58], v[49:50], -v[61:62]
	v_fma_f64 v[28:29], v[39:40], v[28:29], s[46:47]
	v_mul_f64 v[61:62], v[49:50], v[49:50]
	v_fma_f64 v[59:60], v[53:54], s[30:31], s[28:29]
	v_fma_f64 v[55:56], v[43:44], v[55:56], s[34:35]
	v_add_f64 v[33:34], v[53:54], -v[33:34]
	v_add_f64 v[45:46], v[45:46], -v[47:48]
	v_mul_f64 v[47:48], v[37:38], v[43:44]
	v_add_f64 v[22:23], v[22:23], -v[57:58]
	v_add_f64 v[57:58], v[39:40], -v[69:70]
	v_mul_f64 v[63:64], v[39:40], v[28:29]
	v_fma_f64 v[65:66], v[49:50], v[49:50], -v[61:62]
	v_fma_f64 v[59:60], v[53:54], v[59:60], s[34:35]
	v_fma_f64 v[55:56], v[43:44], v[55:56], s[36:37]
	v_add_f64 v[33:34], v[35:36], -v[33:34]
	v_fma_f64 v[35:36], v[39:40], v[41:42], -v[71:72]
	v_add_f64 v[67:68], v[22:23], v[22:23]
	v_add_f64 v[31:32], v[31:32], -v[57:58]
	v_fma_f64 v[57:58], v[39:40], v[28:29], -v[63:64]
	v_fma_f64 v[59:60], v[53:54], v[59:60], s[36:37]
	v_fma_f64 v[55:56], v[43:44], v[55:56], s[38:39]
	;; [unrolled: 1-line block ×3, first 2 shown]
	v_fma_f64 v[39:40], v[43:44], v[37:38], -v[47:48]
	v_ldexp_f64 v[20:21], v[20:21], 1
	v_fma_f64 v[65:66], v[49:50], v[67:68], v[65:66]
	v_fma_f64 v[28:29], v[31:32], v[28:29], v[57:58]
	;; [unrolled: 1-line block ×6, first 2 shown]
	v_ldexp_f64 v[41:42], v[41:42], 1
	v_ldexp_f64 v[26:27], v[26:27], 1
	v_add_f64 v[59:60], v[61:62], v[65:66]
	v_add_f64 v[67:68], v[63:64], v[28:29]
	v_fma_f64 v[57:58], v[53:54], v[57:58], s[40:41]
	v_fma_f64 v[55:56], v[43:44], v[55:56], s[42:43]
	;; [unrolled: 1-line block ×3, first 2 shown]
	v_ldexp_f64 v[37:38], v[37:38], 1
	v_fma_f64 v[69:70], v[59:60], s[30:31], s[28:29]
	v_add_f64 v[61:62], v[59:60], -v[61:62]
	v_add_f64 v[63:64], v[67:68], -v[63:64]
	v_add_f64 v[73:74], v[67:68], s[26:27]
	v_fma_f64 v[57:58], v[53:54], v[57:58], s[42:43]
	v_fma_f64 v[55:56], v[43:44], v[55:56], s[44:45]
	;; [unrolled: 1-line block ×3, first 2 shown]
	v_add_f64 v[61:62], v[65:66], -v[61:62]
	v_add_f64 v[28:29], v[28:29], -v[63:64]
	v_add_f64 v[63:64], v[73:74], s[52:53]
	v_mul_f64 v[65:66], v[51:52], v[53:54]
	v_fma_f64 v[57:58], v[53:54], v[57:58], s[44:45]
	v_fma_f64 v[55:56], v[43:44], v[55:56], s[46:47]
	;; [unrolled: 1-line block ×3, first 2 shown]
	v_add_f64 v[28:29], v[28:29], s[54:55]
	v_add_f64 v[63:64], v[67:68], -v[63:64]
	v_fma_f64 v[35:36], v[53:54], v[51:52], -v[65:66]
	v_fma_f64 v[57:58], v[53:54], v[57:58], s[46:47]
	v_mul_f64 v[67:68], v[43:44], v[55:56]
	v_fma_f64 v[69:70], v[59:60], v[69:70], s[38:39]
	v_add_f64 v[28:29], v[28:29], v[63:64]
	v_fma_f64 v[35:36], v[53:54], v[24:25], v[35:36]
	v_ldexp_f64 v[24:25], v[24:25], 1
	v_mul_f64 v[63:64], v[53:54], v[57:58]
	v_fma_f64 v[43:44], v[43:44], v[55:56], -v[67:68]
	v_fma_f64 v[69:70], v[59:60], v[69:70], s[40:41]
	v_fma_f64 v[53:54], v[53:54], v[57:58], -v[63:64]
	v_fma_f64 v[43:44], v[45:46], v[55:56], v[43:44]
	v_add_f64 v[45:46], v[73:74], v[28:29]
	v_add_f64 v[55:56], v[71:72], v[31:32]
	v_fma_f64 v[69:70], v[59:60], v[69:70], s[42:43]
	v_fma_f64 v[53:54], v[33:34], v[57:58], v[53:54]
	;; [unrolled: 1-line block ×3, first 2 shown]
	v_add_f64 v[57:58], v[73:74], -v[45:46]
	v_mul_f64 v[73:74], v[55:56], v[45:46]
	v_ldexp_f64 v[51:52], v[51:52], 1
	v_fma_f64 v[69:70], v[59:60], v[69:70], s[44:45]
	v_add_f64 v[28:29], v[28:29], v[57:58]
	v_fma_f64 v[35:36], v[55:56], v[45:46], -v[73:74]
	v_mul_f64 v[57:58], v[49:50], v[59:60]
	v_fma_f64 v[69:70], v[59:60], v[69:70], s[46:47]
	v_fma_f64 v[28:29], v[55:56], v[28:29], v[35:36]
	v_fma_f64 v[35:36], v[59:60], v[49:50], -v[57:58]
	v_add_f64 v[55:56], v[55:56], -v[71:72]
	v_mul_f64 v[71:72], v[59:60], v[69:70]
	v_fma_f64 v[35:36], v[59:60], v[22:23], v[35:36]
	v_add_f64 v[31:32], v[31:32], -v[55:56]
	v_add_f64 v[55:56], v[63:64], v[53:54]
	v_ldexp_f64 v[22:23], v[22:23], 1
	v_fma_f64 v[59:60], v[59:60], v[69:70], -v[71:72]
	v_fma_f64 v[35:36], v[61:62], v[49:50], v[35:36]
	v_fma_f64 v[28:29], v[31:32], v[45:46], v[28:29]
	v_add_f64 v[63:64], v[55:56], -v[63:64]
	v_ldexp_f64 v[49:50], v[49:50], 1
	v_fma_f64 v[59:60], v[61:62], v[69:70], v[59:60]
	v_add_f64 v[69:70], v[47:48], v[39:40]
	v_add_f64 v[61:62], v[67:68], v[43:44]
	v_add_f64 v[53:54], v[53:54], -v[63:64]
	v_add_f64 v[47:48], v[69:70], -v[47:48]
	;; [unrolled: 1-line block ×3, first 2 shown]
	v_add_f64 v[53:54], v[53:54], s[54:55]
	v_add_f64 v[39:40], v[39:40], -v[47:48]
	v_add_f64 v[47:48], v[71:72], v[59:60]
	v_add_f64 v[43:44], v[43:44], -v[67:68]
	;; [unrolled: 2-line block ×3, first 2 shown]
	v_add_f64 v[43:44], v[43:44], s[54:55]
	v_add_f64 v[63:64], v[67:68], s[52:53]
	v_add_f64 v[59:60], v[59:60], -v[71:72]
	v_add_f64 v[71:72], v[55:56], s[26:27]
	v_add_f64 v[61:62], v[61:62], -v[63:64]
	v_add_f64 v[59:60], v[59:60], s[54:55]
	v_add_f64 v[63:64], v[71:72], s[52:53]
	v_add_f64 v[43:44], v[43:44], v[61:62]
	v_add_f64 v[55:56], v[55:56], -v[63:64]
	v_add_f64 v[63:64], v[47:48], s[26:27]
	v_add_f64 v[53:54], v[53:54], v[55:56]
	v_add_f64 v[61:62], v[63:64], s[52:53]
	v_add_f64 v[47:48], v[47:48], -v[61:62]
	v_add_f64 v[61:62], v[67:68], v[43:44]
	v_add_f64 v[47:48], v[59:60], v[47:48]
	v_add_f64 v[55:56], v[67:68], -v[61:62]
	v_mul_f64 v[67:68], v[69:70], v[61:62]
	v_add_f64 v[43:44], v[43:44], v[55:56]
	v_fma_f64 v[55:56], v[69:70], v[61:62], -v[67:68]
	v_fma_f64 v[43:44], v[69:70], v[43:44], v[55:56]
	v_add_f64 v[55:56], v[71:72], v[53:54]
	v_add_f64 v[69:70], v[65:66], v[33:34]
	v_fma_f64 v[31:32], v[39:40], v[61:62], v[43:44]
	v_add_f64 v[59:60], v[71:72], -v[55:56]
	v_mul_f64 v[71:72], v[69:70], v[55:56]
	v_add_f64 v[65:66], v[69:70], -v[65:66]
	v_add_f64 v[43:44], v[73:74], v[28:29]
	v_add_f64 v[45:46], v[67:68], v[31:32]
	;; [unrolled: 1-line block ×3, first 2 shown]
	v_fma_f64 v[59:60], v[69:70], v[55:56], -v[71:72]
	v_add_f64 v[33:34], v[33:34], -v[65:66]
	v_add_f64 v[61:62], v[41:42], v[43:44]
	v_add_f64 v[67:68], v[45:46], -v[67:68]
	v_fma_f64 v[53:54], v[69:70], v[53:54], v[59:60]
	v_add_f64 v[59:60], v[63:64], v[47:48]
	v_add_f64 v[69:70], v[57:58], v[35:36]
	v_add_f64 v[41:42], v[61:62], -v[41:42]
	v_add_f64 v[31:32], v[31:32], -v[67:68]
	v_fma_f64 v[33:34], v[33:34], v[55:56], v[53:54]
	v_add_f64 v[63:64], v[63:64], -v[59:60]
	v_mul_f64 v[65:66], v[69:70], v[59:60]
	v_add_f64 v[57:58], v[69:70], -v[57:58]
	v_frexp_exp_i32_f64_e32 v53, v[4:5]
	v_add_f64 v[41:42], v[43:44], -v[41:42]
	v_add_f64 v[26:27], v[26:27], v[31:32]
	v_add_f64 v[47:48], v[47:48], v[63:64]
	v_fma_f64 v[63:64], v[69:70], v[59:60], -v[65:66]
	v_add_f64 v[35:36], v[35:36], -v[57:58]
	v_cvt_f64_i32_e32 v[57:58], v75
	v_frexp_exp_i32_f64_e32 v75, v[14:15]
	v_subrev_co_ci_u32_e64 v53, null, 0, v53, s1
	v_cvt_f64_i32_e32 v[53:54], v53
	v_fma_f64 v[47:48], v[69:70], v[47:48], v[63:64]
	v_add_f64 v[63:64], v[43:44], -v[73:74]
	v_mul_f64 v[39:40], v[57:58], s[48:49]
	v_mul_f64 v[73:74], v[53:54], s[48:49]
	v_fma_f64 v[35:36], v[35:36], v[59:60], v[47:48]
	v_add_f64 v[47:48], v[71:72], v[33:34]
	v_fma_f64 v[59:60], v[57:58], s[48:49], -v[39:40]
	v_add_f64 v[28:29], v[28:29], -v[63:64]
	v_fma_f64 v[43:44], v[53:54], s[48:49], -v[73:74]
	v_add_f64 v[55:56], v[65:66], v[35:36]
	v_add_f64 v[69:70], v[47:48], -v[71:72]
	v_subrev_co_ci_u32_e64 v71, null, 0, v75, s0
	v_subrev_co_ci_u32_e64 v75, null, 0, v76, s2
	v_fma_f64 v[57:58], v[57:58], s[50:51], v[59:60]
	v_cvt_f64_i32_e32 v[71:72], v71
	v_add_f64 v[59:60], v[37:38], v[45:46]
	v_cvt_f64_i32_e32 v[63:64], v75
	v_add_f64 v[67:68], v[51:52], v[47:48]
	v_add_f64 v[20:21], v[20:21], v[28:29]
	v_fma_f64 v[43:44], v[53:54], s[50:51], v[43:44]
	v_add_f64 v[65:66], v[55:56], -v[65:66]
	v_add_f64 v[33:34], v[33:34], -v[69:70]
	v_add_f64 v[69:70], v[49:50], v[55:56]
	v_add_f64 v[37:38], v[59:60], -v[37:38]
	v_mul_f64 v[28:29], v[63:64], s[48:49]
	v_add_f64 v[51:52], v[67:68], -v[51:52]
	v_add_f64 v[20:21], v[20:21], v[41:42]
	v_add_f64 v[35:36], v[35:36], -v[65:66]
	v_mul_f64 v[65:66], v[71:72], s[48:49]
	v_add_f64 v[49:50], v[69:70], -v[49:50]
	v_add_f64 v[24:25], v[24:25], v[33:34]
	v_add_f64 v[37:38], v[45:46], -v[37:38]
	v_fma_f64 v[45:46], v[63:64], s[48:49], -v[28:29]
	v_add_f64 v[31:32], v[47:48], -v[51:52]
	v_add_f64 v[47:48], v[73:74], v[43:44]
	v_add_f64 v[22:23], v[22:23], v[35:36]
	v_fma_f64 v[53:54], v[71:72], s[48:49], -v[65:66]
	v_add_f64 v[33:34], v[55:56], -v[49:50]
	v_add_f64 v[26:27], v[26:27], v[37:38]
	v_fma_f64 v[41:42], v[63:64], s[50:51], v[45:46]
	v_add_f64 v[45:46], v[39:40], v[57:58]
	v_add_f64 v[24:25], v[24:25], v[31:32]
	;; [unrolled: 1-line block ×3, first 2 shown]
	v_add_f64 v[49:50], v[47:48], -v[73:74]
	v_fma_f64 v[35:36], v[71:72], s[50:51], v[53:54]
	v_add_f64 v[22:23], v[22:23], v[33:34]
	v_add_f64 v[51:52], v[59:60], v[26:27]
	;; [unrolled: 1-line block ×3, first 2 shown]
	v_add_f64 v[39:40], v[45:46], -v[39:40]
	v_add_f64 v[53:54], v[67:68], v[24:25]
	v_add_f64 v[55:56], v[45:46], v[31:32]
	v_add_f64 v[43:44], v[43:44], -v[49:50]
	v_add_f64 v[61:62], v[31:32], -v[61:62]
	v_add_f64 v[33:34], v[65:66], v[35:36]
	v_add_f64 v[63:64], v[69:70], v[22:23]
	;; [unrolled: 1-line block ×3, first 2 shown]
	v_add_f64 v[28:29], v[37:38], -v[28:29]
	v_add_f64 v[39:40], v[57:58], -v[39:40]
	;; [unrolled: 1-line block ×6, first 2 shown]
	v_add_f64 v[57:58], v[33:34], v[53:54]
	v_add_f64 v[73:74], v[37:38], v[63:64]
	v_add_f64 v[69:70], v[63:64], -v[69:70]
	v_add_f64 v[28:29], v[41:42], -v[28:29]
	;; [unrolled: 1-line block ×17, first 2 shown]
	v_add_f64 v[31:32], v[31:32], v[45:46]
	v_add_f64 v[45:46], v[43:44], v[26:27]
	v_add_f64 v[41:42], v[47:48], -v[41:42]
	v_add_f64 v[47:48], v[53:54], -v[67:68]
	;; [unrolled: 1-line block ×5, first 2 shown]
	v_add_f64 v[59:60], v[39:40], v[20:21]
	v_add_f64 v[61:62], v[45:46], -v[43:44]
	v_add_f64 v[41:42], v[51:52], v[41:42]
	v_add_f64 v[51:52], v[35:36], v[24:25]
	;; [unrolled: 1-line block ×5, first 2 shown]
	v_add_f64 v[53:54], v[59:60], -v[39:40]
	v_add_f64 v[31:32], v[59:60], v[31:32]
	v_add_f64 v[26:27], v[26:27], -v[61:62]
	v_add_f64 v[41:42], v[45:46], v[41:42]
	;; [unrolled: 2-line block ×5, first 2 shown]
	v_add_f64 v[45:46], v[45:46], -v[61:62]
	v_add_f64 v[20:21], v[20:21], -v[53:54]
	v_add_f64 v[69:70], v[49:50], v[41:42]
	v_add_f64 v[51:52], v[51:52], -v[63:64]
	v_add_f64 v[53:54], v[57:58], v[33:34]
	;; [unrolled: 2-line block ×3, first 2 shown]
	v_add_f64 v[39:40], v[39:40], -v[59:60]
	v_add_f64 v[55:56], v[67:68], -v[55:56]
	;; [unrolled: 1-line block ×5, first 2 shown]
	v_mul_f64 v[63:64], v[8:9], 0.5
	v_add_f64 v[45:46], v[69:70], -v[49:50]
	v_add_f64 v[35:36], v[35:36], -v[51:52]
	;; [unrolled: 1-line block ×5, first 2 shown]
	v_add_f64 v[20:21], v[20:21], v[39:40]
	v_add_f64 v[31:32], v[31:32], -v[55:56]
	v_add_f64 v[26:27], v[26:27], v[43:44]
	v_add_f64 v[39:40], v[41:42], -v[45:46]
	;; [unrolled: 2-line block ×4, first 2 shown]
	v_add_f64 v[20:21], v[20:21], v[31:32]
	v_add_f64 v[26:27], v[26:27], v[39:40]
	;; [unrolled: 1-line block ×8, first 2 shown]
	v_add_f64 v[39:40], v[31:32], -v[67:68]
	v_mul_f64 v[41:42], v[8:9], v[31:32]
	v_add_f64 v[43:44], v[33:34], -v[69:70]
	v_mul_f64 v[45:46], v[10:11], v[33:34]
	;; [unrolled: 2-line block ×4, first 2 shown]
	v_add_f64 v[20:21], v[20:21], -v[39:40]
	v_fma_f64 v[31:32], v[8:9], v[31:32], -v[41:42]
	v_cmp_class_f64_e64 s1, v[41:42], 0x204
	v_trunc_f64_e32 v[71:72], v[63:64]
	v_add_f64 v[26:27], v[26:27], -v[43:44]
	v_fma_f64 v[33:34], v[10:11], v[33:34], -v[45:46]
	v_add_f64 v[24:25], v[24:25], -v[47:48]
	v_fma_f64 v[35:36], v[12:13], v[35:36], -v[28:29]
	;; [unrolled: 2-line block ×3, first 2 shown]
	v_cmp_class_f64_e64 vcc_lo, v[45:46], 0x204
	v_fma_f64 v[20:21], v[8:9], v[20:21], v[31:32]
	v_cmp_class_f64_e64 s2, v[51:52], 0x204
	v_cmp_class_f64_e64 s0, v[28:29], 0x204
	v_fma_f64 v[22:23], v[10:11], v[26:27], v[33:34]
	v_fma_f64 v[24:25], v[12:13], v[24:25], v[35:36]
	;; [unrolled: 1-line block ×3, first 2 shown]
	v_add_f64 v[31:32], v[41:42], v[20:21]
	v_add_f64 v[33:34], v[45:46], v[22:23]
	;; [unrolled: 1-line block ×4, first 2 shown]
	v_cndmask_b32_e64 v40, v32, v42, s1
	v_cndmask_b32_e64 v39, v31, v41, s1
	v_add_f64 v[31:32], v[31:32], -v[41:42]
	v_cmp_eq_f64_e64 s1, 0, v[4:5]
	v_mul_f64 v[43:44], v[39:40], s[56:57]
	v_cmp_ngt_f64_e64 s15, 0xc090cc00, v[39:40]
	v_cndmask_b32_e32 v48, v34, v46, vcc_lo
	v_cndmask_b32_e32 v47, v33, v45, vcc_lo
	v_cndmask_b32_e64 v50, v36, v29, s0
	v_cndmask_b32_e64 v49, v35, v28, s0
	;; [unrolled: 1-line block ×4, first 2 shown]
	v_mul_f64 v[55:56], v[47:48], s[56:57]
	v_cmp_neq_f64_e32 vcc_lo, v[71:72], v[63:64]
	v_mul_f64 v[57:58], v[49:50], s[56:57]
	v_cmp_eq_f64_e64 s0, 0, v[2:3]
	v_mul_f64 v[59:60], v[53:54], s[56:57]
	v_add_f64 v[28:29], v[35:36], -v[28:29]
	v_rndne_f64_e32 v[43:44], v[43:44]
	v_add_f64 v[33:34], v[33:34], -v[45:46]
	v_mul_f64 v[45:46], v[10:11], 0.5
	v_cmp_nlt_f64_e64 s16, 0x40900000, v[47:48]
	v_add_f64 v[20:21], v[20:21], -v[31:32]
	v_cmp_eq_f64_e64 s2, 0, v[18:19]
	v_cmp_ngt_f64_e64 s17, 0xc090cc00, v[47:48]
	v_cmp_nlt_f64_e64 s18, 0x40900000, v[49:50]
	v_cmp_ngt_f64_e64 s19, 0xc090cc00, v[49:50]
	v_add_f64 v[37:38], v[37:38], -v[51:52]
	v_cmp_nlt_f64_e64 s20, 0x40900000, v[53:54]
	v_cmp_ngt_f64_e64 s21, 0xc090cc00, v[53:54]
	v_cmp_neq_f64_e64 s13, 0x7ff00000, |v[53:54]|
	s_xor_b32 s5, s5, s1
	v_trunc_f64_e32 v[35:36], v[8:9]
	v_trunc_f64_e32 v[51:52], v[10:11]
	v_rndne_f64_e32 v[55:56], v[55:56]
	s_or_b32 s1, s1, s84
	v_rndne_f64_e32 v[57:58], v[57:58]
	s_xor_b32 s4, s4, s0
	v_rndne_f64_e32 v[59:60], v[59:60]
	v_add_f64 v[24:25], v[24:25], -v[28:29]
	v_fma_f64 v[61:62], v[43:44], s[58:59], v[39:40]
	v_cvt_i32_f64_e32 v75, v[43:44]
	v_add_f64 v[22:23], v[22:23], -v[33:34]
	s_or_b32 s0, s0, s90
	s_xor_b32 s7, s7, s2
	s_or_b32 s2, s2, s85
	v_add_f64 v[26:27], v[26:27], -v[37:38]
	v_fma_f64 v[65:66], v[55:56], s[58:59], v[47:48]
	v_cvt_i32_f64_e32 v76, v[55:56]
	v_fma_f64 v[67:68], v[57:58], s[58:59], v[49:50]
	v_cvt_i32_f64_e32 v77, v[57:58]
	v_fma_f64 v[69:70], v[59:60], s[58:59], v[53:54]
	v_fma_f64 v[61:62], v[43:44], s[60:61], v[61:62]
	v_mul_f64 v[43:44], v[12:13], 0.5
	v_cndmask_b32_e64 v27, 0, v27, s13
	v_cndmask_b32_e64 v26, 0, v26, s13
	v_fma_f64 v[65:66], v[55:56], s[60:61], v[65:66]
	v_trunc_f64_e32 v[55:56], v[12:13]
	v_fma_f64 v[67:68], v[57:58], s[60:61], v[67:68]
	v_fma_f64 v[69:70], v[59:60], s[60:61], v[69:70]
	;; [unrolled: 1-line block ×4, first 2 shown]
	v_cmp_eq_f64_e64 s13, v[55:56], v[12:13]
	v_fma_f64 v[71:72], v[67:68], s[64:65], s[62:63]
	v_fma_f64 v[41:42], v[69:70], s[64:65], s[62:63]
	;; [unrolled: 1-line block ×34, first 2 shown]
	v_fma_f64 v[73:74], v[61:62], v[73:74], 1.0
	v_fma_f64 v[63:64], v[65:66], v[63:64], 1.0
	;; [unrolled: 1-line block ×5, first 2 shown]
	v_mul_f64 v[73:74], v[16:17], 0.5
	v_fma_f64 v[57:58], v[65:66], v[63:64], 1.0
	v_trunc_f64_e32 v[63:64], v[16:17]
	v_fma_f64 v[65:66], v[67:68], v[71:72], 1.0
	v_cvt_i32_f64_e32 v71, v[59:60]
	v_fma_f64 v[41:42], v[69:70], v[41:42], 1.0
	v_trunc_f64_e32 v[69:70], v[43:44]
	v_ldexp_f64 v[59:60], v[61:62], v75
	v_trunc_f64_e32 v[61:62], v[73:74]
	v_trunc_f64_e32 v[67:68], v[45:46]
	v_ldexp_f64 v[41:42], v[41:42], v71
	v_cmp_neq_f64_e64 s9, v[69:70], v[43:44]
	v_ldexp_f64 v[43:44], v[57:58], v76
	v_cndmask_b32_e64 v58, 0x7ff00000, 0, s4
	s_xor_b32 s4, s12, s14
	v_cmp_nlt_f64_e64 s14, 0x40900000, v[39:40]
	v_cmp_neq_f64_e64 s10, v[61:62], v[73:74]
	v_cndmask_b32_e64 v61, 0x7ff00000, 0, s4
	v_cmp_neq_f64_e64 s4, 0x7ff00000, |v[39:40]|
	v_cmp_neq_f64_e64 s8, v[67:68], v[45:46]
	v_ldexp_f64 v[45:46], v[65:66], v77
	v_cndmask_b32_e64 v57, 0x7ff00000, 0, s11
	v_cmp_neq_f64_e64 s11, 0x7ff00000, |v[47:48]|
	v_cmp_neq_f64_e64 s12, 0x7ff00000, |v[49:50]|
	v_cndmask_b32_e64 v39, 0x7ff00000, 0, s5
	s_xor_b32 s5, s86, s88
	v_cndmask_b32_e64 v40, 0x7ff00000, 0, s5
	s_xor_b32 s5, s87, s89
	v_cndmask_b32_e64 v37, 0x7ff00000, v42, s20
	v_cndmask_b32_e64 v42, 0x7ff00000, 0, s5
	;; [unrolled: 1-line block ×3, first 2 shown]
	s_and_b32 s9, s13, s9
	v_cndmask_b32_e64 v28, 0x7ff00000, v60, s14
	v_cndmask_b32_e64 v38, 0, v37, s21
	;; [unrolled: 1-line block ×5, first 2 shown]
	s_and_b32 s4, s15, s14
	v_cndmask_b32_e64 v29, 0, v28, s15
	v_cndmask_b32_e64 v28, 0, v59, s4
	s_and_b32 s4, s17, s16
	v_cndmask_b32_e64 v33, 0x7ff00000, v46, s18
	v_cndmask_b32_e64 v31, 0, v43, s4
	;; [unrolled: 1-line block ×3, first 2 shown]
	v_cmp_neq_f64_e64 s7, |v[2:3]|, 1.0
	s_and_b32 s4, s19, s18
	v_cndmask_b32_e64 v34, 0, v33, s19
	v_cndmask_b32_e64 v33, 0, v45, s4
	s_and_b32 s4, s21, s20
	v_cndmask_b32_e64 v23, 0, v23, s11
	v_cndmask_b32_e64 v37, 0, v41, s4
	;; [unrolled: 1-line block ×3, first 2 shown]
	s_xor_b32 s4, s6, s3
	v_fma_f64 v[20:21], v[28:29], v[20:21], v[28:29]
	v_cndmask_b32_e64 v41, 0x7ff00000, 0, s4
	v_fma_f64 v[26:27], v[37:38], v[26:27], v[37:38]
	v_cmp_class_f64_e64 s4, v[37:38], 0x204
	v_cmp_class_f64_e64 s5, v[28:29], 0x204
	v_cndmask_b32_e64 v25, 0, v25, s12
	v_cndmask_b32_e64 v24, 0, v24, s12
	v_fma_f64 v[22:23], v[31:32], v[22:23], v[31:32]
	v_cmp_class_f64_e64 s6, v[31:32], 0x204
	v_cmp_class_f64_e64 s11, v[33:34], 0x204
	v_cmp_eq_f64_e64 s12, v[51:52], v[10:11]
	v_fma_f64 v[24:25], v[33:34], v[24:25], v[33:34]
	v_cmp_gt_f64_e64 s14, 0, v[18:19]
	v_cndmask_b32_e64 v44, 0x3ff00000, v57, s7
	v_cmp_neq_f64_e64 s7, |v[4:5]|, 1.0
	s_or_b32 s3, s3, s83
	v_cndmask_b32_e64 v27, v27, v38, s4
	v_cndmask_b32_e64 v20, v20, v28, s5
	;; [unrolled: 1-line block ×3, first 2 shown]
	v_cmp_eq_f64_e64 s4, v[63:64], v[16:17]
	v_cndmask_b32_e64 v21, v21, v29, s5
	v_cmp_gt_f64_e64 s5, 0, v[2:3]
	v_cndmask_b32_e64 v22, v22, v31, s6
	v_cndmask_b32_e64 v23, v23, v32, s6
	v_cmp_gt_f64_e64 s6, 0, v[4:5]
	v_cndmask_b32_e64 v24, v24, v33, s11
	v_cndmask_b32_e64 v25, v25, v34, s11
	;; [unrolled: 1-line block ×3, first 2 shown]
	v_cmp_neq_f64_e64 s7, |v[14:15]|, 1.0
	v_cmp_gt_f64_e64 s11, 0, v[14:15]
	v_cndmask_b32_e64 v29, 0, v22, s12
	s_and_b32 s8, s12, s8
	v_cndmask_b32_e64 v31, 0, v24, s13
	v_cndmask_b32_e64 v34, 0, v5, s8
	;; [unrolled: 1-line block ×3, first 2 shown]
	s_and_b32 s10, s4, s10
	v_cndmask_b32_e64 v22, v22, v29, s6
	v_cndmask_b32_e64 v29, 0x3ff00000, v5, s8
	;; [unrolled: 1-line block ×5, first 2 shown]
	v_cmp_neq_f64_e64 s7, |v[18:19]|, 1.0
	v_cndmask_b32_e64 v24, v24, v31, s11
	v_cndmask_b32_e64 v31, 0x3ff00000, v15, s9
	v_bfi_b32 v23, 0x7fffffff, v23, v29
	v_bfi_b32 v27, 0x7fffffff, v27, v32
	;; [unrolled: 1-line block ×4, first 2 shown]
	v_cndmask_b32_e64 v34, 0x7ff80000, v25, s13
	v_cndmask_b32_e64 v25, v25, v34, s11
	;; [unrolled: 1-line block ×3, first 2 shown]
	v_cmp_eq_f64_e64 s7, v[35:36], v[8:9]
	v_cndmask_b32_e64 v35, 0, v15, s9
	v_cndmask_b32_e64 v28, 0, v20, s7
	s_and_b32 vcc_lo, s7, vcc_lo
	v_cndmask_b32_e32 v33, 0, v3, vcc_lo
	v_cndmask_b32_e64 v20, v20, v28, s5
	v_cndmask_b32_e32 v28, 0x3ff00000, v3, vcc_lo
	v_cmp_class_f64_e64 vcc_lo, v[8:9], 0x204
	v_bfi_b32 v31, 0x7fffffff, v58, v33
	v_cndmask_b32_e64 v33, 0x7ff80000, v23, s12
	v_bfi_b32 v21, 0x7fffffff, v21, v28
	v_cndmask_b32_e64 v28, 0, v19, s10
	v_cndmask_b32_e64 v23, v23, v33, s6
	v_cmp_class_f64_e64 s6, v[16:17], 0x204
	v_cndmask_b32_e64 v29, 0x7ff80000, v21, s7
	v_bfi_b32 v28, 0x7fffffff, v43, v28
	v_bfi_b32 v33, 0x7fffffff, v41, v35
	v_cndmask_b32_e64 v21, v21, v29, s5
	v_cndmask_b32_e64 v29, 0x7ff80000, v27, s4
	v_cmp_class_f64_e64 s4, v[10:11], 0x204
	v_cmp_class_f64_e64 s5, v[12:13], 0x204
	v_cndmask_b32_e64 v27, v27, v29, s14
	v_cndmask_b32_e32 v21, v21, v44, vcc_lo
	v_cndmask_b32_e64 v21, v21, v31, s0
	s_or_b32 s0, s0, vcc_lo
	v_cmp_o_f64_e32 vcc_lo, v[2:3], v[8:9]
	v_cndmask_b32_e64 v27, v27, v42, s6
	v_cndmask_b32_e64 v20, v20, 0, s0
	v_cndmask_b32_e64 v27, v27, v28, s2
	s_or_b32 s2, s2, s6
	v_cndmask_b32_e64 v23, v23, v45, s4
	s_or_b32 s0, s1, s4
	v_cndmask_b32_e64 v9, v26, 0, s2
	v_cndmask_b32_e64 v3, v22, 0, s0
	v_cmp_o_f64_e64 s0, v[4:5], v[10:11]
	v_cndmask_b32_e64 v23, v23, v32, s1
	s_or_b32 s1, s3, s5
	v_cmp_o_f64_e64 s2, v[18:19], v[16:17]
	v_cndmask_b32_e64 v5, v24, 0, s1
	v_cmp_o_f64_e64 s1, v[14:15], v[12:13]
	v_cndmask_b32_e64 v25, v25, v40, s5
	v_cndmask_b32_e32 v2, 0, v20, vcc_lo
	v_cndmask_b32_e64 v25, v25, v33, s3
	v_add_co_u32 v0, s3, v0, s23
	v_add_co_ci_u32_e64 v1, null, 0, v1, s3
	v_lshlrev_b64 v[12:13], 2, v[0:1]
	v_cndmask_b32_e64 v4, 0, v3, s0
	v_cndmask_b32_e32 v3, 0x7ff80000, v21, vcc_lo
	v_cndmask_b32_e64 v10, 0, v9, s2
	v_cndmask_b32_e64 v11, 0x7ff80000, v27, s2
	;; [unrolled: 1-line block ×5, first 2 shown]
	v_cmp_le_i64_e32 vcc_lo, s[24:25], v[12:13]
	global_store_dwordx4 v[6:7], v[2:5], off offset:-16
	global_store_dwordx4 v[6:7], v[8:11], off
	v_add_co_u32 v6, s0, v6, s82
	v_add_co_ci_u32_e64 v7, null, 0, v7, s0
	s_or_b32 s33, vcc_lo, s33
	s_andn2_b32 exec_lo, exec_lo, s33
	s_cbranch_execnz .LBB77_24
.LBB77_25:
	s_endpgm
	.section	.rodata,"a",@progbits
	.p2align	6, 0x0
	.amdhsa_kernel _ZN2at6native12_GLOBAL__N_125multi_tensor_apply_kernelINS1_28TensorListScalarListMetadataIdLi1EEENS1_25BinaryOpScalarListFunctorIdLi1ELi1ELi0EEEJNS1_13power_functorIdEEEEEvT_T0_DpT1_
		.amdhsa_group_segment_fixed_size 0
		.amdhsa_private_segment_fixed_size 0
		.amdhsa_kernarg_size 4168
		.amdhsa_user_sgpr_count 6
		.amdhsa_user_sgpr_private_segment_buffer 1
		.amdhsa_user_sgpr_dispatch_ptr 0
		.amdhsa_user_sgpr_queue_ptr 0
		.amdhsa_user_sgpr_kernarg_segment_ptr 1
		.amdhsa_user_sgpr_dispatch_id 0
		.amdhsa_user_sgpr_flat_scratch_init 0
		.amdhsa_user_sgpr_private_segment_size 0
		.amdhsa_wavefront_size32 1
		.amdhsa_uses_dynamic_stack 0
		.amdhsa_system_sgpr_private_segment_wavefront_offset 0
		.amdhsa_system_sgpr_workgroup_id_x 1
		.amdhsa_system_sgpr_workgroup_id_y 0
		.amdhsa_system_sgpr_workgroup_id_z 0
		.amdhsa_system_sgpr_workgroup_info 0
		.amdhsa_system_vgpr_workitem_id 0
		.amdhsa_next_free_vgpr 78
		.amdhsa_next_free_sgpr 91
		.amdhsa_reserve_vcc 1
		.amdhsa_reserve_flat_scratch 0
		.amdhsa_float_round_mode_32 0
		.amdhsa_float_round_mode_16_64 0
		.amdhsa_float_denorm_mode_32 3
		.amdhsa_float_denorm_mode_16_64 3
		.amdhsa_dx10_clamp 1
		.amdhsa_ieee_mode 1
		.amdhsa_fp16_overflow 0
		.amdhsa_workgroup_processor_mode 1
		.amdhsa_memory_ordered 1
		.amdhsa_forward_progress 1
		.amdhsa_shared_vgpr_count 0
		.amdhsa_exception_fp_ieee_invalid_op 0
		.amdhsa_exception_fp_denorm_src 0
		.amdhsa_exception_fp_ieee_div_zero 0
		.amdhsa_exception_fp_ieee_overflow 0
		.amdhsa_exception_fp_ieee_underflow 0
		.amdhsa_exception_fp_ieee_inexact 0
		.amdhsa_exception_int_div_zero 0
	.end_amdhsa_kernel
	.section	.text._ZN2at6native12_GLOBAL__N_125multi_tensor_apply_kernelINS1_28TensorListScalarListMetadataIdLi1EEENS1_25BinaryOpScalarListFunctorIdLi1ELi1ELi0EEEJNS1_13power_functorIdEEEEEvT_T0_DpT1_,"axG",@progbits,_ZN2at6native12_GLOBAL__N_125multi_tensor_apply_kernelINS1_28TensorListScalarListMetadataIdLi1EEENS1_25BinaryOpScalarListFunctorIdLi1ELi1ELi0EEEJNS1_13power_functorIdEEEEEvT_T0_DpT1_,comdat
.Lfunc_end77:
	.size	_ZN2at6native12_GLOBAL__N_125multi_tensor_apply_kernelINS1_28TensorListScalarListMetadataIdLi1EEENS1_25BinaryOpScalarListFunctorIdLi1ELi1ELi0EEEJNS1_13power_functorIdEEEEEvT_T0_DpT1_, .Lfunc_end77-_ZN2at6native12_GLOBAL__N_125multi_tensor_apply_kernelINS1_28TensorListScalarListMetadataIdLi1EEENS1_25BinaryOpScalarListFunctorIdLi1ELi1ELi0EEEJNS1_13power_functorIdEEEEEvT_T0_DpT1_
                                        ; -- End function
	.set _ZN2at6native12_GLOBAL__N_125multi_tensor_apply_kernelINS1_28TensorListScalarListMetadataIdLi1EEENS1_25BinaryOpScalarListFunctorIdLi1ELi1ELi0EEEJNS1_13power_functorIdEEEEEvT_T0_DpT1_.num_vgpr, 78
	.set _ZN2at6native12_GLOBAL__N_125multi_tensor_apply_kernelINS1_28TensorListScalarListMetadataIdLi1EEENS1_25BinaryOpScalarListFunctorIdLi1ELi1ELi0EEEJNS1_13power_functorIdEEEEEvT_T0_DpT1_.num_agpr, 0
	.set _ZN2at6native12_GLOBAL__N_125multi_tensor_apply_kernelINS1_28TensorListScalarListMetadataIdLi1EEENS1_25BinaryOpScalarListFunctorIdLi1ELi1ELi0EEEJNS1_13power_functorIdEEEEEvT_T0_DpT1_.numbered_sgpr, 91
	.set _ZN2at6native12_GLOBAL__N_125multi_tensor_apply_kernelINS1_28TensorListScalarListMetadataIdLi1EEENS1_25BinaryOpScalarListFunctorIdLi1ELi1ELi0EEEJNS1_13power_functorIdEEEEEvT_T0_DpT1_.num_named_barrier, 0
	.set _ZN2at6native12_GLOBAL__N_125multi_tensor_apply_kernelINS1_28TensorListScalarListMetadataIdLi1EEENS1_25BinaryOpScalarListFunctorIdLi1ELi1ELi0EEEJNS1_13power_functorIdEEEEEvT_T0_DpT1_.private_seg_size, 0
	.set _ZN2at6native12_GLOBAL__N_125multi_tensor_apply_kernelINS1_28TensorListScalarListMetadataIdLi1EEENS1_25BinaryOpScalarListFunctorIdLi1ELi1ELi0EEEJNS1_13power_functorIdEEEEEvT_T0_DpT1_.uses_vcc, 1
	.set _ZN2at6native12_GLOBAL__N_125multi_tensor_apply_kernelINS1_28TensorListScalarListMetadataIdLi1EEENS1_25BinaryOpScalarListFunctorIdLi1ELi1ELi0EEEJNS1_13power_functorIdEEEEEvT_T0_DpT1_.uses_flat_scratch, 0
	.set _ZN2at6native12_GLOBAL__N_125multi_tensor_apply_kernelINS1_28TensorListScalarListMetadataIdLi1EEENS1_25BinaryOpScalarListFunctorIdLi1ELi1ELi0EEEJNS1_13power_functorIdEEEEEvT_T0_DpT1_.has_dyn_sized_stack, 0
	.set _ZN2at6native12_GLOBAL__N_125multi_tensor_apply_kernelINS1_28TensorListScalarListMetadataIdLi1EEENS1_25BinaryOpScalarListFunctorIdLi1ELi1ELi0EEEJNS1_13power_functorIdEEEEEvT_T0_DpT1_.has_recursion, 0
	.set _ZN2at6native12_GLOBAL__N_125multi_tensor_apply_kernelINS1_28TensorListScalarListMetadataIdLi1EEENS1_25BinaryOpScalarListFunctorIdLi1ELi1ELi0EEEJNS1_13power_functorIdEEEEEvT_T0_DpT1_.has_indirect_call, 0
	.section	.AMDGPU.csdata,"",@progbits
; Kernel info:
; codeLenInByte = 14208
; TotalNumSgprs: 93
; NumVgprs: 78
; ScratchSize: 0
; MemoryBound: 0
; FloatMode: 240
; IeeeMode: 1
; LDSByteSize: 0 bytes/workgroup (compile time only)
; SGPRBlocks: 0
; VGPRBlocks: 9
; NumSGPRsForWavesPerEU: 93
; NumVGPRsForWavesPerEU: 78
; Occupancy: 12
; WaveLimiterHint : 1
; COMPUTE_PGM_RSRC2:SCRATCH_EN: 0
; COMPUTE_PGM_RSRC2:USER_SGPR: 6
; COMPUTE_PGM_RSRC2:TRAP_HANDLER: 0
; COMPUTE_PGM_RSRC2:TGID_X_EN: 1
; COMPUTE_PGM_RSRC2:TGID_Y_EN: 0
; COMPUTE_PGM_RSRC2:TGID_Z_EN: 0
; COMPUTE_PGM_RSRC2:TIDIG_COMP_CNT: 0
	.section	.text._ZN2at6native12_GLOBAL__N_125multi_tensor_apply_kernelINS1_28TensorListScalarListMetadataIfLi1EEENS1_25BinaryOpScalarListFunctorIfLi1ELi1ELi0EEEJNS1_13power_functorIfEEEEEvT_T0_DpT1_,"axG",@progbits,_ZN2at6native12_GLOBAL__N_125multi_tensor_apply_kernelINS1_28TensorListScalarListMetadataIfLi1EEENS1_25BinaryOpScalarListFunctorIfLi1ELi1ELi0EEEJNS1_13power_functorIfEEEEEvT_T0_DpT1_,comdat
	.globl	_ZN2at6native12_GLOBAL__N_125multi_tensor_apply_kernelINS1_28TensorListScalarListMetadataIfLi1EEENS1_25BinaryOpScalarListFunctorIfLi1ELi1ELi0EEEJNS1_13power_functorIfEEEEEvT_T0_DpT1_ ; -- Begin function _ZN2at6native12_GLOBAL__N_125multi_tensor_apply_kernelINS1_28TensorListScalarListMetadataIfLi1EEENS1_25BinaryOpScalarListFunctorIfLi1ELi1ELi0EEEJNS1_13power_functorIfEEEEEvT_T0_DpT1_
	.p2align	8
	.type	_ZN2at6native12_GLOBAL__N_125multi_tensor_apply_kernelINS1_28TensorListScalarListMetadataIfLi1EEENS1_25BinaryOpScalarListFunctorIfLi1ELi1ELi0EEEJNS1_13power_functorIfEEEEEvT_T0_DpT1_,@function
_ZN2at6native12_GLOBAL__N_125multi_tensor_apply_kernelINS1_28TensorListScalarListMetadataIfLi1EEENS1_25BinaryOpScalarListFunctorIfLi1ELi1ELi0EEEJNS1_13power_functorIfEEEEEvT_T0_DpT1_: ; @_ZN2at6native12_GLOBAL__N_125multi_tensor_apply_kernelINS1_28TensorListScalarListMetadataIfLi1EEENS1_25BinaryOpScalarListFunctorIfLi1ELi1ELi0EEEJNS1_13power_functorIfEEEEEvT_T0_DpT1_
; %bb.0:
	v_mov_b32_e32 v1, s6
	s_add_u32 s0, s4, s6
	s_mul_i32 s1, s6, 3
	s_mul_hi_u32 s2, s6, 3
	s_addc_u32 s3, s5, 0
	global_load_ubyte v1, v1, s[4:5] offset:1920
	s_add_u32 s0, s0, s1
	s_addc_u32 s1, s3, s2
	s_load_dword s0, s[0:1], 0x8c0
	s_waitcnt vmcnt(0)
	v_readfirstlane_b32 s1, v1
	v_lshlrev_b32_e32 v1, 2, v1
	s_lshl_b32 s6, s1, 3
	v_sub_co_u32 v1, s1, 0, v1
	v_sub_co_ci_u32_e64 v2, null, 0, 0, s1
	s_waitcnt lgkmcnt(0)
	s_ashr_i32 s1, s0, 31
	s_clause 0x1
	s_load_dwordx2 s[2:3], s[4:5], s6 offset:0x300
	s_load_dwordx2 s[8:9], s[4:5], s6 offset:0x0
	s_add_u32 s6, s4, s6
	s_addc_u32 s7, s5, 0
	v_add_co_u32 v1, vcc_lo, s6, v1
	v_add_co_ci_u32_e64 v2, null, s7, v2, vcc_lo
	s_lshl_b64 s[10:11], s[0:1], 18
	v_readfirstlane_b32 s6, v1
	s_lshl_b64 s[0:1], s[0:1], 16
	v_readfirstlane_b32 s7, v2
	s_load_dword s20, s[6:7], 0x600
	s_mov_b32 s7, 0
	s_waitcnt lgkmcnt(0)
	s_and_b32 s6, s8, 15
	s_sub_u32 s12, s2, s0
	s_subb_u32 s13, s3, s1
	s_and_b32 s0, s2, 3
	s_mov_b32 s1, s7
	s_or_b64 s[0:1], s[6:7], s[0:1]
	s_cmp_eq_u64 s[0:1], 0
	s_cbranch_scc1 .LBB78_21
; %bb.1:
	v_cmp_lt_i64_e64 s0, s[12:13], 1
	s_and_b32 vcc_lo, exec_lo, s0
	s_cbranch_vccnz .LBB78_20
; %bb.2:
	s_load_dword s0, s[4:5], 0xdd4
	v_cmp_gt_i64_e64 s1, 0x10000, s[12:13]
	v_cmp_gt_u64_e64 s2, 0x10000, s[12:13]
	v_lshlrev_b32_e32 v1, 2, v0
	s_mov_b32 s24, 0x3e76c4e1
	s_and_b32 s1, s1, exec_lo
	s_cselect_b32 s15, s13, 0
	s_cselect_b32 s14, s12, 0x10000
	s_waitcnt lgkmcnt(0)
	s_and_b32 s0, s0, 0xffff
	s_and_b32 s1, s2, exec_lo
	v_add_co_u32 v5, s3, v0, s0
	s_cselect_b32 s17, s13, 0
	s_cselect_b32 s16, s12, 0x10000
	s_lshl_b32 s1, s0, 1
	v_lshlrev_b32_e32 v3, 2, v5
	s_lshl_b32 s7, s0, 2
	s_mul_i32 s2, s0, 3
	s_add_u32 s6, s8, s10
	v_add_co_u32 v9, s1, s1, v0
	s_addc_u32 s18, s9, s11
	v_add_co_u32 v1, s19, s6, v1
	v_add_co_u32 v6, s2, s2, v0
	v_add_co_ci_u32_e64 v10, null, 0, 0, s1
	v_add_co_u32 v3, s1, s6, v3
	v_add_co_ci_u32_e64 v2, null, s18, 0, s19
	v_add_co_ci_u32_e64 v7, null, 0, 0, s2
	;; [unrolled: 1-line block ×4, first 2 shown]
	s_mul_i32 s21, s0, 12
	s_lshl_b32 s22, s0, 4
	s_lshl_b32 s23, s0, 3
	s_mov_b64 s[18:19], 0
	s_branch .LBB78_4
.LBB78_3:                               ;   in Loop: Header=BB78_4 Depth=1
	s_or_b32 exec_lo, exec_lo, s3
	s_add_u32 s18, s18, s7
	s_addc_u32 s19, s19, 0
	v_add_co_u32 v1, vcc_lo, v1, s22
	v_cmp_lt_i64_e64 s0, s[18:19], s[14:15]
	v_add_co_ci_u32_e64 v2, null, 0, v2, vcc_lo
	v_add_co_u32 v3, vcc_lo, v3, s22
	v_add_co_ci_u32_e64 v4, null, 0, v4, vcc_lo
	s_and_b32 vcc_lo, exec_lo, s0
	s_cbranch_vccz .LBB78_20
.LBB78_4:                               ; =>This Inner Loop Header: Depth=1
	s_waitcnt vmcnt(0)
	v_add_co_u32 v11, s0, v0, s18
	v_add_co_ci_u32_e64 v12, null, 0, s19, s0
	v_mov_b32_e32 v14, 0
	v_cmp_gt_u64_e64 s2, s[16:17], v[11:12]
	s_and_saveexec_b32 s0, s2
	s_cbranch_execz .LBB78_6
; %bb.5:                                ;   in Loop: Header=BB78_4 Depth=1
	global_load_dword v14, v[1:2], off
.LBB78_6:                               ;   in Loop: Header=BB78_4 Depth=1
	s_or_b32 exec_lo, exec_lo, s0
	v_add_co_u32 v11, vcc_lo, v5, s18
	v_add_co_ci_u32_e64 v12, null, s19, v8, vcc_lo
	v_mov_b32_e32 v13, 0
	v_cmp_gt_u64_e64 s1, s[16:17], v[11:12]
	v_mov_b32_e32 v12, 0
	s_and_saveexec_b32 s0, s1
	s_cbranch_execz .LBB78_8
; %bb.7:                                ;   in Loop: Header=BB78_4 Depth=1
	global_load_dword v13, v[3:4], off
.LBB78_8:                               ;   in Loop: Header=BB78_4 Depth=1
	s_or_b32 exec_lo, exec_lo, s0
	v_add_co_u32 v15, vcc_lo, v9, s18
	v_add_co_ci_u32_e64 v16, null, s19, v10, vcc_lo
	v_cmp_gt_u64_e64 s0, s[16:17], v[15:16]
	s_and_saveexec_b32 s3, s0
	s_cbranch_execz .LBB78_10
; %bb.9:                                ;   in Loop: Header=BB78_4 Depth=1
	v_add_co_u32 v11, vcc_lo, v1, s23
	v_add_co_ci_u32_e64 v12, null, 0, v2, vcc_lo
	global_load_dword v12, v[11:12], off
.LBB78_10:                              ;   in Loop: Header=BB78_4 Depth=1
	s_or_b32 exec_lo, exec_lo, s3
	v_add_co_u32 v15, vcc_lo, v6, s18
	v_add_co_ci_u32_e64 v16, null, s19, v7, vcc_lo
	v_mov_b32_e32 v11, 0
	v_cmp_gt_u64_e32 vcc_lo, s[16:17], v[15:16]
	s_and_saveexec_b32 s6, vcc_lo
	s_cbranch_execnz .LBB78_15
; %bb.11:                               ;   in Loop: Header=BB78_4 Depth=1
	s_or_b32 exec_lo, exec_lo, s6
	s_and_saveexec_b32 s25, s2
	s_cbranch_execnz .LBB78_16
.LBB78_12:                              ;   in Loop: Header=BB78_4 Depth=1
	s_or_b32 exec_lo, exec_lo, s25
	s_and_saveexec_b32 s25, s1
	s_cbranch_execnz .LBB78_17
.LBB78_13:                              ;   in Loop: Header=BB78_4 Depth=1
	s_or_b32 exec_lo, exec_lo, s25
	s_and_saveexec_b32 s6, s0
	s_cbranch_execnz .LBB78_18
.LBB78_14:                              ;   in Loop: Header=BB78_4 Depth=1
	s_or_b32 exec_lo, exec_lo, s6
	s_and_saveexec_b32 s3, vcc_lo
	s_cbranch_execz .LBB78_3
	s_branch .LBB78_19
.LBB78_15:                              ;   in Loop: Header=BB78_4 Depth=1
	v_add_co_u32 v15, s3, v1, s21
	v_add_co_ci_u32_e64 v16, null, 0, v2, s3
	global_load_dword v11, v[15:16], off
	s_or_b32 exec_lo, exec_lo, s6
	s_and_saveexec_b32 s25, s2
	s_cbranch_execz .LBB78_12
.LBB78_16:                              ;   in Loop: Header=BB78_4 Depth=1
	s_waitcnt vmcnt(0)
	v_cmp_neq_f32_e64 s2, 1.0, v14
	v_cndmask_b32_e64 v16, 1.0, s20, s2
	v_cmp_neq_f32_e64 s2, 0, v16
	v_cmp_neq_f32_e64 s26, v16, |v16|
	v_cndmask_b32_e64 v17, 1.0, v14, s2
	v_cvt_f64_f32_e64 v[14:15], |v17|
	v_cmp_lt_f32_e64 s27, |v17|, 1.0
	v_cmp_eq_f32_e64 s6, 0, v17
	s_xor_b32 s26, s26, s27
	v_frexp_exp_i32_f64_e32 v14, v[14:15]
	v_frexp_mant_f32_e64 v15, |v17|
	v_cmp_gt_f32_e64 s2, 0x3f2aaaab, v15
	v_cndmask_b32_e64 v18, 1.0, 2.0, s2
	v_mul_f32_e32 v15, v15, v18
	v_add_f32_e32 v18, 1.0, v15
	v_add_f32_e32 v20, -1.0, v15
	v_subrev_co_ci_u32_e64 v14, null, 0, v14, s2
	v_rcp_f32_e32 v19, v18
	v_add_f32_e32 v22, -1.0, v18
	v_cvt_f32_i32_e32 v14, v14
	v_sub_f32_e32 v15, v15, v22
	v_mul_f32_e32 v21, v20, v19
	v_mul_f32_e32 v23, v18, v21
	v_fma_f32 v18, v21, v18, -v23
	v_fmac_f32_e32 v18, v21, v15
	v_add_f32_e32 v15, v23, v18
	v_sub_f32_e32 v22, v20, v15
	v_sub_f32_e32 v23, v15, v23
	;; [unrolled: 1-line block ×5, first 2 shown]
	v_add_f32_e32 v15, v18, v15
	v_add_f32_e32 v15, v22, v15
	v_mul_f32_e32 v15, v19, v15
	v_add_f32_e32 v18, v21, v15
	v_sub_f32_e32 v19, v18, v21
	v_mul_f32_e32 v20, v18, v18
	v_sub_f32_e32 v15, v15, v19
	v_fma_f32 v19, v18, v18, -v20
	v_add_f32_e32 v21, v15, v15
	v_fmac_f32_e32 v19, v18, v21
	v_add_f32_e32 v21, v20, v19
	v_fmaak_f32 v22, s24, v21, 0x3e91f4c4
	v_sub_f32_e32 v20, v21, v20
	v_mul_f32_e32 v25, v18, v21
	v_fmaak_f32 v22, v21, v22, 0x3ecccdef
	v_sub_f32_e32 v19, v19, v20
	v_fma_f32 v26, v21, v18, -v25
	v_mul_f32_e32 v23, v21, v22
	v_fmac_f32_e32 v26, v21, v15
	v_ldexp_f32 v15, v15, 1
	v_fma_f32 v20, v21, v22, -v23
	v_fmac_f32_e32 v26, v19, v18
	v_ldexp_f32 v18, v18, 1
	v_fmac_f32_e32 v20, v19, v22
	v_add_f32_e32 v21, v25, v26
	v_add_f32_e32 v22, v23, v20
	v_sub_f32_e32 v23, v22, v23
	v_add_f32_e32 v24, 0x3f2aaaaa, v22
	v_sub_f32_e32 v20, v20, v23
	v_add_f32_e32 v23, 0xbf2aaaaa, v24
	v_add_f32_e32 v20, 0x31739010, v20
	v_sub_f32_e32 v22, v22, v23
	v_add_f32_e32 v20, v20, v22
	v_add_f32_e32 v19, v24, v20
	v_sub_f32_e32 v22, v24, v19
	v_mul_f32_e32 v23, v21, v19
	v_sub_f32_e32 v24, v21, v25
	v_add_f32_e32 v20, v20, v22
	v_fma_f32 v22, v21, v19, -v23
	v_sub_f32_e32 v24, v26, v24
	v_fmac_f32_e32 v22, v21, v20
	v_fmac_f32_e32 v22, v24, v19
	v_add_f32_e32 v19, v23, v22
	v_sub_f32_e32 v20, v19, v23
	v_add_f32_e32 v21, v18, v19
	v_mul_f32_e32 v23, 0x3f317218, v14
	v_sub_f32_e32 v20, v22, v20
	v_sub_f32_e32 v18, v21, v18
	v_fma_f32 v22, 0x3f317218, v14, -v23
	v_add_f32_e32 v15, v15, v20
	v_sub_f32_e32 v18, v19, v18
	v_fmac_f32_e32 v22, 0xb102e308, v14
	v_add_f32_e32 v14, v15, v18
	v_add_f32_e32 v15, v23, v22
	;; [unrolled: 1-line block ×3, first 2 shown]
	v_sub_f32_e32 v23, v15, v23
	v_add_f32_e32 v19, v15, v18
	v_sub_f32_e32 v21, v18, v21
	v_sub_f32_e32 v22, v22, v23
	;; [unrolled: 1-line block ×6, first 2 shown]
	v_add_f32_e32 v20, v22, v14
	v_sub_f32_e32 v15, v15, v24
	v_add_f32_e32 v15, v18, v15
	v_sub_f32_e32 v18, v20, v22
	;; [unrolled: 2-line block ×3, first 2 shown]
	v_sub_f32_e32 v14, v14, v18
	v_add_f32_e32 v21, v19, v15
	v_sub_f32_e32 v18, v22, v20
	v_sub_f32_e32 v19, v21, v19
	v_add_f32_e32 v14, v14, v18
	v_sub_f32_e32 v15, v15, v19
	v_add_f32_e32 v14, v14, v15
	v_add_f32_e32 v15, v21, v14
	v_sub_f32_e32 v18, v15, v21
	v_mul_f32_e32 v19, v16, v15
	v_sub_f32_e32 v14, v14, v18
	v_fma_f32 v15, v16, v15, -v19
	v_cmp_class_f32_e64 s2, v19, 0x204
	v_fmac_f32_e32 v15, v16, v14
	v_add_f32_e32 v14, v19, v15
	v_cndmask_b32_e64 v18, v14, v19, s2
	v_sub_f32_e32 v14, v14, v19
	v_cmp_eq_f32_e64 s2, 0x42b17218, v18
	v_sub_f32_e32 v14, v15, v14
	v_trunc_f32_e32 v15, v16
	v_cndmask_b32_e64 v20, 0, 0x37000000, s2
	v_cmp_neq_f32_e64 s2, 0x7f800000, |v18|
	v_sub_f32_e32 v21, v18, v20
	v_cndmask_b32_e64 v14, 0, v14, s2
	v_mul_f32_e32 v22, 0x3fb8aa3b, v21
	v_cmp_ngt_f32_e64 s2, 0xc2ce8ed0, v21
	v_cmp_nlt_f32_e64 s3, 0x42b17218, v21
	v_add_f32_e32 v14, v20, v14
	v_fma_f32 v23, 0x3fb8aa3b, v21, -v22
	v_rndne_f32_e32 v24, v22
	v_fmac_f32_e32 v23, 0x32a5705f, v21
	v_sub_f32_e32 v22, v22, v24
	v_cvt_i32_f32_e32 v19, v24
	v_add_f32_e32 v22, v22, v23
	v_exp_f32_e32 v22, v22
	v_ldexp_f32 v19, v22, v19
	v_mul_f32_e32 v22, 0.5, v16
	v_cndmask_b32_e64 v18, 0, v19, s2
	v_trunc_f32_e32 v19, v22
	v_cmp_eq_f32_e64 s2, v15, v16
	v_cndmask_b32_e64 v15, 0x7f800000, v18, s3
	v_cmp_neq_f32_e64 s3, v19, v22
	v_fma_f32 v14, v15, v14, v15
	s_and_b32 s3, s2, s3
	v_cndmask_b32_e64 v18, 0, v17, s3
	v_cndmask_b32_e64 v19, 1.0, v17, s3
	v_cmp_class_f32_e64 s3, v15, 0x204
	v_cndmask_b32_e64 v14, v14, v15, s3
	v_cmp_gt_f32_e64 s3, 0, v16
	v_cndmask_b32_e64 v15, 0x7f800000, 0, s26
	v_bfi_b32 v14, 0x7fffffff, v14, v19
	v_cndmask_b32_e64 v19, 0x7fc00000, v14, s2
	s_xor_b32 s2, s3, s6
	v_cmp_class_f32_e64 s3, v17, 0x204
	v_cndmask_b32_e64 v20, 0x7f800000, 0, s2
	v_cmp_neq_f32_e64 s2, |v17|, 1.0
	v_bfi_b32 v18, 0x7fffffff, v20, v18
	v_cndmask_b32_e64 v15, 1.0, v15, s2
	v_cmp_gt_f32_e64 s2, 0, v17
	v_cndmask_b32_e64 v14, v14, v19, s2
	v_cmp_class_f32_e64 s2, v16, 0x204
	v_cndmask_b32_e64 v14, v14, v15, s2
	s_or_b32 s2, s6, s3
	v_cndmask_b32_e64 v14, v14, v18, s2
	v_cmp_o_f32_e64 s2, v17, v16
	v_cndmask_b32_e64 v14, 0x7fc00000, v14, s2
	global_store_dword v[1:2], v14, off
	s_or_b32 exec_lo, exec_lo, s25
	s_and_saveexec_b32 s25, s1
	s_cbranch_execz .LBB78_13
.LBB78_17:                              ;   in Loop: Header=BB78_4 Depth=1
	s_waitcnt vmcnt(0)
	v_cmp_neq_f32_e64 s1, 1.0, v13
	v_cndmask_b32_e64 v15, 1.0, s20, s1
	v_cmp_neq_f32_e64 s1, 0, v15
	v_cmp_neq_f32_e64 s26, v15, |v15|
	v_cndmask_b32_e64 v16, 1.0, v13, s1
	v_frexp_mant_f32_e64 v13, |v16|
	v_cmp_lt_f32_e64 s27, |v16|, 1.0
	v_cmp_eq_f32_e64 s6, 0, v16
	v_cmp_gt_f32_e64 s1, 0x3f2aaaab, v13
	s_xor_b32 s26, s26, s27
	v_cndmask_b32_e64 v14, 1.0, 2.0, s1
	v_mul_f32_e32 v13, v13, v14
	v_add_f32_e32 v14, 1.0, v13
	v_add_f32_e32 v18, -1.0, v13
	v_rcp_f32_e32 v17, v14
	v_add_f32_e32 v20, -1.0, v14
	v_sub_f32_e32 v13, v13, v20
	v_mul_f32_e32 v19, v18, v17
	v_mul_f32_e32 v21, v14, v19
	v_fma_f32 v14, v19, v14, -v21
	v_fmac_f32_e32 v14, v19, v13
	v_add_f32_e32 v13, v21, v14
	v_sub_f32_e32 v20, v18, v13
	v_sub_f32_e32 v21, v13, v21
	;; [unrolled: 1-line block ×5, first 2 shown]
	v_add_f32_e32 v13, v14, v13
	v_add_f32_e32 v13, v20, v13
	v_mul_f32_e32 v13, v17, v13
	v_add_f32_e32 v17, v19, v13
	v_sub_f32_e32 v14, v17, v19
	v_mul_f32_e32 v18, v17, v17
	v_sub_f32_e32 v19, v13, v14
	v_fma_f32 v13, v17, v17, -v18
	v_add_f32_e32 v14, v19, v19
	v_fmac_f32_e32 v13, v17, v14
	v_add_f32_e32 v20, v18, v13
	v_fmaak_f32 v14, s24, v20, 0x3e91f4c4
	v_sub_f32_e32 v18, v20, v18
	v_mul_f32_e32 v25, v17, v20
	v_fmaak_f32 v14, v20, v14, 0x3ecccdef
	v_sub_f32_e32 v18, v13, v18
	v_fma_f32 v26, v20, v17, -v25
	v_mul_f32_e32 v21, v20, v14
	v_fmac_f32_e32 v26, v20, v19
	v_ldexp_f32 v19, v19, 1
	v_fma_f32 v22, v20, v14, -v21
	v_fmac_f32_e32 v26, v18, v17
	v_fmac_f32_e32 v22, v18, v14
	v_cvt_f64_f32_e64 v[13:14], |v16|
	v_add_f32_e32 v23, v21, v22
	v_sub_f32_e32 v21, v23, v21
	v_add_f32_e32 v24, 0x3f2aaaaa, v23
	v_sub_f32_e32 v21, v22, v21
	v_add_f32_e32 v22, 0xbf2aaaaa, v24
	v_add_f32_e32 v21, 0x31739010, v21
	v_sub_f32_e32 v22, v23, v22
	v_frexp_exp_i32_f64_e32 v13, v[13:14]
	v_add_f32_e32 v20, v21, v22
	v_add_f32_e32 v21, v25, v26
	;; [unrolled: 1-line block ×3, first 2 shown]
	v_sub_f32_e32 v23, v21, v25
	v_sub_f32_e32 v14, v24, v18
	v_mul_f32_e32 v22, v21, v18
	v_sub_f32_e32 v23, v26, v23
	v_add_f32_e32 v14, v20, v14
	v_fma_f32 v20, v21, v18, -v22
	v_subrev_co_ci_u32_e64 v13, null, 0, v13, s1
	v_fmac_f32_e32 v20, v21, v14
	v_ldexp_f32 v14, v17, 1
	v_cvt_f32_i32_e32 v13, v13
	v_fmac_f32_e32 v20, v23, v18
	v_add_f32_e32 v17, v22, v20
	v_add_f32_e32 v18, v14, v17
	v_sub_f32_e32 v21, v17, v22
	v_mul_f32_e32 v22, 0x3f317218, v13
	v_sub_f32_e32 v14, v18, v14
	v_sub_f32_e32 v20, v20, v21
	v_fma_f32 v21, 0x3f317218, v13, -v22
	v_sub_f32_e32 v14, v17, v14
	v_add_f32_e32 v17, v19, v20
	v_fmac_f32_e32 v21, 0xb102e308, v13
	v_add_f32_e32 v13, v17, v14
	v_add_f32_e32 v14, v22, v21
	;; [unrolled: 1-line block ×3, first 2 shown]
	v_sub_f32_e32 v22, v14, v22
	v_add_f32_e32 v19, v14, v17
	v_sub_f32_e32 v18, v17, v18
	v_sub_f32_e32 v21, v21, v22
	;; [unrolled: 1-line block ×6, first 2 shown]
	v_add_f32_e32 v18, v21, v13
	v_sub_f32_e32 v14, v14, v23
	v_add_f32_e32 v14, v17, v14
	v_sub_f32_e32 v17, v18, v21
	v_add_f32_e32 v14, v18, v14
	v_sub_f32_e32 v18, v18, v17
	v_sub_f32_e32 v13, v13, v17
	v_add_f32_e32 v20, v19, v14
	v_sub_f32_e32 v17, v21, v18
	v_sub_f32_e32 v18, v20, v19
	v_add_f32_e32 v13, v13, v17
	v_sub_f32_e32 v14, v14, v18
	v_add_f32_e32 v13, v13, v14
	v_add_f32_e32 v14, v20, v13
	v_sub_f32_e32 v17, v14, v20
	v_mul_f32_e32 v18, v15, v14
	v_sub_f32_e32 v13, v13, v17
	v_fma_f32 v14, v15, v14, -v18
	v_cmp_class_f32_e64 s1, v18, 0x204
	v_fmac_f32_e32 v14, v15, v13
	v_add_f32_e32 v13, v18, v14
	v_cndmask_b32_e64 v17, v13, v18, s1
	v_sub_f32_e32 v13, v13, v18
	v_cmp_eq_f32_e64 s1, 0x42b17218, v17
	v_sub_f32_e32 v13, v14, v13
	v_cndmask_b32_e64 v19, 0, 0x37000000, s1
	v_cmp_neq_f32_e64 s1, 0x7f800000, |v17|
	v_sub_f32_e32 v20, v17, v19
	v_cndmask_b32_e64 v13, 0, v13, s1
	v_trunc_f32_e32 v17, v15
	v_mul_f32_e32 v21, 0x3fb8aa3b, v20
	v_cmp_ngt_f32_e64 s1, 0xc2ce8ed0, v20
	v_add_f32_e32 v13, v19, v13
	v_fma_f32 v22, 0x3fb8aa3b, v20, -v21
	v_rndne_f32_e32 v23, v21
	v_fmac_f32_e32 v22, 0x32a5705f, v20
	v_sub_f32_e32 v21, v21, v23
	v_cvt_i32_f32_e32 v18, v23
	v_add_f32_e32 v21, v21, v22
	v_exp_f32_e32 v21, v21
	v_ldexp_f32 v14, v21, v18
	v_mul_f32_e32 v18, 0.5, v15
	v_cndmask_b32_e64 v14, 0, v14, s1
	v_cmp_nlt_f32_e64 s1, 0x42b17218, v20
	v_trunc_f32_e32 v21, v18
	v_cndmask_b32_e64 v14, 0x7f800000, v14, s1
	v_cmp_eq_f32_e64 s1, v17, v15
	v_cmp_neq_f32_e64 s2, v21, v18
	v_fma_f32 v13, v14, v13, v14
	v_cmp_class_f32_e64 s3, v14, 0x204
	s_and_b32 s2, s1, s2
	v_cndmask_b32_e64 v17, 1.0, v16, s2
	v_cndmask_b32_e64 v13, v13, v14, s3
	v_cmp_gt_f32_e64 s3, 0, v15
	v_cndmask_b32_e64 v14, 0x7f800000, 0, s26
	v_bfi_b32 v13, 0x7fffffff, v13, v17
	v_cndmask_b32_e64 v17, 0x7fc00000, v13, s1
	s_xor_b32 s1, s3, s6
	v_cndmask_b32_e64 v18, 0x7f800000, 0, s1
	v_cmp_neq_f32_e64 s1, |v16|, 1.0
	v_cndmask_b32_e64 v14, 1.0, v14, s1
	v_cmp_gt_f32_e64 s1, 0, v16
	v_cndmask_b32_e64 v13, v13, v17, s1
	v_cndmask_b32_e64 v17, 0, v16, s2
	v_cmp_class_f32_e64 s1, v15, 0x204
	v_cmp_class_f32_e64 s2, v16, 0x204
	v_cndmask_b32_e64 v13, v13, v14, s1
	v_bfi_b32 v14, 0x7fffffff, v18, v17
	s_or_b32 s1, s6, s2
	v_cndmask_b32_e64 v13, v13, v14, s1
	v_cmp_o_f32_e64 s1, v16, v15
	v_cndmask_b32_e64 v13, 0x7fc00000, v13, s1
	global_store_dword v[3:4], v13, off
	s_or_b32 exec_lo, exec_lo, s25
	s_and_saveexec_b32 s6, s0
	s_cbranch_execz .LBB78_14
.LBB78_18:                              ;   in Loop: Header=BB78_4 Depth=1
	s_waitcnt vmcnt(0)
	v_cmp_neq_f32_e64 s0, 1.0, v12
	v_cndmask_b32_e64 v14, 1.0, s20, s0
	v_cmp_neq_f32_e64 s0, 0, v14
	v_cmp_neq_f32_e64 s25, v14, |v14|
	v_cndmask_b32_e64 v15, 1.0, v12, s0
	v_frexp_mant_f32_e64 v12, |v15|
	v_cmp_lt_f32_e64 s26, |v15|, 1.0
	v_cmp_eq_f32_e64 s3, 0, v15
	v_cmp_gt_f32_e64 s0, 0x3f2aaaab, v12
	s_xor_b32 s25, s25, s26
	v_cndmask_b32_e64 v13, 1.0, 2.0, s0
	v_mul_f32_e32 v12, v12, v13
	v_add_f32_e32 v13, 1.0, v12
	v_add_f32_e32 v17, -1.0, v12
	v_rcp_f32_e32 v16, v13
	v_add_f32_e32 v19, -1.0, v13
	v_sub_f32_e32 v12, v12, v19
	v_mul_f32_e32 v18, v17, v16
	v_mul_f32_e32 v20, v13, v18
	v_fma_f32 v13, v18, v13, -v20
	v_fmac_f32_e32 v13, v18, v12
	v_add_f32_e32 v12, v20, v13
	v_sub_f32_e32 v19, v17, v12
	v_sub_f32_e32 v20, v12, v20
	;; [unrolled: 1-line block ×5, first 2 shown]
	v_add_f32_e32 v12, v13, v12
	v_add_f32_e32 v12, v19, v12
	v_mul_f32_e32 v12, v16, v12
	v_add_f32_e32 v16, v18, v12
	v_sub_f32_e32 v13, v16, v18
	v_mul_f32_e32 v17, v16, v16
	v_sub_f32_e32 v18, v12, v13
	v_fma_f32 v12, v16, v16, -v17
	v_add_f32_e32 v13, v18, v18
	v_fmac_f32_e32 v12, v16, v13
	v_add_f32_e32 v19, v17, v12
	v_fmaak_f32 v13, s24, v19, 0x3e91f4c4
	v_sub_f32_e32 v17, v19, v17
	v_mul_f32_e32 v24, v16, v19
	v_fmaak_f32 v13, v19, v13, 0x3ecccdef
	v_sub_f32_e32 v17, v12, v17
	v_fma_f32 v25, v19, v16, -v24
	v_mul_f32_e32 v20, v19, v13
	v_fmac_f32_e32 v25, v19, v18
	v_ldexp_f32 v18, v18, 1
	v_fma_f32 v21, v19, v13, -v20
	v_fmac_f32_e32 v25, v17, v16
	v_fmac_f32_e32 v21, v17, v13
	v_cvt_f64_f32_e64 v[12:13], |v15|
	v_add_f32_e32 v22, v20, v21
	v_sub_f32_e32 v20, v22, v20
	v_add_f32_e32 v23, 0x3f2aaaaa, v22
	v_sub_f32_e32 v20, v21, v20
	v_add_f32_e32 v21, 0xbf2aaaaa, v23
	v_add_f32_e32 v20, 0x31739010, v20
	v_sub_f32_e32 v21, v22, v21
	v_frexp_exp_i32_f64_e32 v12, v[12:13]
	v_add_f32_e32 v19, v20, v21
	v_add_f32_e32 v20, v24, v25
	;; [unrolled: 1-line block ×3, first 2 shown]
	v_sub_f32_e32 v22, v20, v24
	v_sub_f32_e32 v13, v23, v17
	v_mul_f32_e32 v21, v20, v17
	v_sub_f32_e32 v22, v25, v22
	v_add_f32_e32 v13, v19, v13
	v_fma_f32 v19, v20, v17, -v21
	v_subrev_co_ci_u32_e64 v12, null, 0, v12, s0
	v_fmac_f32_e32 v19, v20, v13
	v_ldexp_f32 v13, v16, 1
	v_cvt_f32_i32_e32 v12, v12
	v_fmac_f32_e32 v19, v22, v17
	v_add_f32_e32 v16, v21, v19
	v_add_f32_e32 v17, v13, v16
	v_sub_f32_e32 v20, v16, v21
	v_mul_f32_e32 v21, 0x3f317218, v12
	v_sub_f32_e32 v13, v17, v13
	v_sub_f32_e32 v19, v19, v20
	v_fma_f32 v20, 0x3f317218, v12, -v21
	v_sub_f32_e32 v13, v16, v13
	v_add_f32_e32 v16, v18, v19
	v_fmac_f32_e32 v20, 0xb102e308, v12
	v_add_f32_e32 v12, v16, v13
	v_add_f32_e32 v13, v21, v20
	;; [unrolled: 1-line block ×3, first 2 shown]
	v_sub_f32_e32 v21, v13, v21
	v_add_f32_e32 v18, v13, v16
	v_sub_f32_e32 v17, v16, v17
	v_sub_f32_e32 v20, v20, v21
	;; [unrolled: 1-line block ×6, first 2 shown]
	v_add_f32_e32 v17, v20, v12
	v_sub_f32_e32 v13, v13, v22
	v_add_f32_e32 v13, v16, v13
	v_sub_f32_e32 v16, v17, v20
	;; [unrolled: 2-line block ×3, first 2 shown]
	v_sub_f32_e32 v12, v12, v16
	v_add_f32_e32 v19, v18, v13
	v_sub_f32_e32 v16, v20, v17
	v_sub_f32_e32 v17, v19, v18
	v_add_f32_e32 v12, v12, v16
	v_sub_f32_e32 v13, v13, v17
	v_add_f32_e32 v12, v12, v13
	v_add_f32_e32 v13, v19, v12
	v_sub_f32_e32 v16, v13, v19
	v_mul_f32_e32 v17, v14, v13
	v_sub_f32_e32 v12, v12, v16
	v_fma_f32 v13, v14, v13, -v17
	v_cmp_class_f32_e64 s0, v17, 0x204
	v_fmac_f32_e32 v13, v14, v12
	v_add_f32_e32 v12, v17, v13
	v_cndmask_b32_e64 v16, v12, v17, s0
	v_sub_f32_e32 v12, v12, v17
	v_cmp_eq_f32_e64 s0, 0x42b17218, v16
	v_sub_f32_e32 v12, v13, v12
	v_cndmask_b32_e64 v18, 0, 0x37000000, s0
	v_cmp_neq_f32_e64 s0, 0x7f800000, |v16|
	v_sub_f32_e32 v19, v16, v18
	v_cndmask_b32_e64 v12, 0, v12, s0
	v_trunc_f32_e32 v16, v14
	v_mul_f32_e32 v20, 0x3fb8aa3b, v19
	v_cmp_ngt_f32_e64 s0, 0xc2ce8ed0, v19
	v_add_f32_e32 v12, v18, v12
	v_fma_f32 v21, 0x3fb8aa3b, v19, -v20
	v_rndne_f32_e32 v22, v20
	v_fmac_f32_e32 v21, 0x32a5705f, v19
	v_sub_f32_e32 v20, v20, v22
	v_cvt_i32_f32_e32 v17, v22
	v_add_f32_e32 v20, v20, v21
	v_exp_f32_e32 v20, v20
	v_ldexp_f32 v13, v20, v17
	v_mul_f32_e32 v17, 0.5, v14
	v_cndmask_b32_e64 v13, 0, v13, s0
	v_cmp_nlt_f32_e64 s0, 0x42b17218, v19
	v_trunc_f32_e32 v20, v17
	v_cndmask_b32_e64 v13, 0x7f800000, v13, s0
	v_cmp_eq_f32_e64 s0, v16, v14
	v_cmp_neq_f32_e64 s1, v20, v17
	v_fma_f32 v12, v13, v12, v13
	v_cmp_class_f32_e64 s2, v13, 0x204
	s_and_b32 s1, s0, s1
	v_cndmask_b32_e64 v16, 1.0, v15, s1
	v_cndmask_b32_e64 v18, 0, v15, s1
	v_cndmask_b32_e64 v12, v12, v13, s2
	;; [unrolled: 1-line block ×3, first 2 shown]
	v_cmp_gt_f32_e64 s2, 0, v14
	v_cmp_class_f32_e64 s1, v15, 0x204
	v_bfi_b32 v12, 0x7fffffff, v12, v16
	s_xor_b32 s2, s2, s3
	v_cndmask_b32_e64 v16, 0x7f800000, 0, s2
	v_cndmask_b32_e64 v17, 0x7fc00000, v12, s0
	v_cmp_neq_f32_e64 s0, |v15|, 1.0
	v_bfi_b32 v16, 0x7fffffff, v16, v18
	v_cndmask_b32_e64 v13, 1.0, v13, s0
	v_cmp_gt_f32_e64 s0, 0, v15
	v_cndmask_b32_e64 v12, v12, v17, s0
	v_cmp_class_f32_e64 s0, v14, 0x204
	v_cndmask_b32_e64 v12, v12, v13, s0
	s_or_b32 s0, s3, s1
	v_cndmask_b32_e64 v12, v12, v16, s0
	v_cmp_o_f32_e64 s0, v15, v14
	v_cndmask_b32_e64 v14, 0x7fc00000, v12, s0
	v_add_co_u32 v12, s0, v1, s23
	v_add_co_ci_u32_e64 v13, null, 0, v2, s0
	global_store_dword v[12:13], v14, off
	s_or_b32 exec_lo, exec_lo, s6
	s_and_saveexec_b32 s3, vcc_lo
	s_cbranch_execz .LBB78_3
.LBB78_19:                              ;   in Loop: Header=BB78_4 Depth=1
	s_waitcnt vmcnt(0)
	v_cmp_neq_f32_e32 vcc_lo, 1.0, v11
	v_cndmask_b32_e64 v13, 1.0, s20, vcc_lo
	v_cmp_neq_f32_e32 vcc_lo, 0, v13
	v_cmp_neq_f32_e64 s6, v13, |v13|
	v_cndmask_b32_e32 v14, 1.0, v11, vcc_lo
	v_frexp_mant_f32_e64 v11, |v14|
	v_cmp_lt_f32_e64 s25, |v14|, 1.0
	v_cmp_eq_f32_e64 s2, 0, v14
	v_cmp_gt_f32_e32 vcc_lo, 0x3f2aaaab, v11
	s_xor_b32 s6, s6, s25
	v_cndmask_b32_e64 v12, 1.0, 2.0, vcc_lo
	v_mul_f32_e32 v11, v11, v12
	v_add_f32_e32 v12, 1.0, v11
	v_add_f32_e32 v16, -1.0, v11
	v_rcp_f32_e32 v15, v12
	v_add_f32_e32 v18, -1.0, v12
	v_sub_f32_e32 v11, v11, v18
	v_mul_f32_e32 v17, v16, v15
	v_mul_f32_e32 v19, v12, v17
	v_fma_f32 v12, v17, v12, -v19
	v_fmac_f32_e32 v12, v17, v11
	v_add_f32_e32 v11, v19, v12
	v_sub_f32_e32 v18, v16, v11
	v_sub_f32_e32 v19, v11, v19
	;; [unrolled: 1-line block ×5, first 2 shown]
	v_add_f32_e32 v11, v12, v11
	v_add_f32_e32 v11, v18, v11
	v_mul_f32_e32 v11, v15, v11
	v_add_f32_e32 v15, v17, v11
	v_sub_f32_e32 v12, v15, v17
	v_mul_f32_e32 v16, v15, v15
	v_sub_f32_e32 v17, v11, v12
	v_fma_f32 v11, v15, v15, -v16
	v_add_f32_e32 v12, v17, v17
	v_fmac_f32_e32 v11, v15, v12
	v_add_f32_e32 v18, v16, v11
	v_fmaak_f32 v12, s24, v18, 0x3e91f4c4
	v_sub_f32_e32 v16, v18, v16
	v_mul_f32_e32 v23, v15, v18
	v_fmaak_f32 v12, v18, v12, 0x3ecccdef
	v_sub_f32_e32 v16, v11, v16
	v_fma_f32 v24, v18, v15, -v23
	v_mul_f32_e32 v19, v18, v12
	v_fmac_f32_e32 v24, v18, v17
	v_ldexp_f32 v17, v17, 1
	v_fma_f32 v20, v18, v12, -v19
	v_fmac_f32_e32 v24, v16, v15
	v_fmac_f32_e32 v20, v16, v12
	v_cvt_f64_f32_e64 v[11:12], |v14|
	v_add_f32_e32 v21, v19, v20
	v_sub_f32_e32 v19, v21, v19
	v_add_f32_e32 v22, 0x3f2aaaaa, v21
	v_sub_f32_e32 v19, v20, v19
	v_add_f32_e32 v20, 0xbf2aaaaa, v22
	v_add_f32_e32 v19, 0x31739010, v19
	v_sub_f32_e32 v20, v21, v20
	v_frexp_exp_i32_f64_e32 v11, v[11:12]
	v_add_f32_e32 v18, v19, v20
	v_add_f32_e32 v19, v23, v24
	;; [unrolled: 1-line block ×3, first 2 shown]
	v_sub_f32_e32 v21, v19, v23
	v_sub_f32_e32 v12, v22, v16
	v_mul_f32_e32 v20, v19, v16
	v_sub_f32_e32 v21, v24, v21
	v_add_f32_e32 v12, v18, v12
	v_fma_f32 v18, v19, v16, -v20
	v_subrev_co_ci_u32_e64 v11, null, 0, v11, vcc_lo
	v_fmac_f32_e32 v18, v19, v12
	v_ldexp_f32 v12, v15, 1
	v_cvt_f32_i32_e32 v11, v11
	v_fmac_f32_e32 v18, v21, v16
	v_add_f32_e32 v15, v20, v18
	v_add_f32_e32 v16, v12, v15
	v_sub_f32_e32 v19, v15, v20
	v_mul_f32_e32 v20, 0x3f317218, v11
	v_sub_f32_e32 v12, v16, v12
	v_sub_f32_e32 v18, v18, v19
	v_fma_f32 v19, 0x3f317218, v11, -v20
	v_sub_f32_e32 v12, v15, v12
	v_add_f32_e32 v15, v17, v18
	v_fmac_f32_e32 v19, 0xb102e308, v11
	v_add_f32_e32 v11, v15, v12
	v_add_f32_e32 v12, v20, v19
	;; [unrolled: 1-line block ×3, first 2 shown]
	v_sub_f32_e32 v20, v12, v20
	v_add_f32_e32 v17, v12, v15
	v_sub_f32_e32 v16, v15, v16
	v_sub_f32_e32 v19, v19, v20
	;; [unrolled: 1-line block ×6, first 2 shown]
	v_add_f32_e32 v16, v19, v11
	v_sub_f32_e32 v12, v12, v21
	v_add_f32_e32 v12, v15, v12
	v_sub_f32_e32 v15, v16, v19
	;; [unrolled: 2-line block ×3, first 2 shown]
	v_sub_f32_e32 v11, v11, v15
	v_add_f32_e32 v18, v17, v12
	v_sub_f32_e32 v15, v19, v16
	v_sub_f32_e32 v16, v18, v17
	v_add_f32_e32 v11, v11, v15
	v_sub_f32_e32 v12, v12, v16
	v_add_f32_e32 v11, v11, v12
	v_add_f32_e32 v12, v18, v11
	v_sub_f32_e32 v15, v12, v18
	v_mul_f32_e32 v16, v13, v12
	v_sub_f32_e32 v11, v11, v15
	v_fma_f32 v12, v13, v12, -v16
	v_cmp_class_f32_e64 vcc_lo, v16, 0x204
	v_fmac_f32_e32 v12, v13, v11
	v_add_f32_e32 v11, v16, v12
	v_cndmask_b32_e32 v15, v11, v16, vcc_lo
	v_sub_f32_e32 v11, v11, v16
	v_cmp_eq_f32_e32 vcc_lo, 0x42b17218, v15
	v_sub_f32_e32 v11, v12, v11
	v_cndmask_b32_e64 v17, 0, 0x37000000, vcc_lo
	v_cmp_neq_f32_e64 vcc_lo, 0x7f800000, |v15|
	v_sub_f32_e32 v18, v15, v17
	v_cndmask_b32_e32 v11, 0, v11, vcc_lo
	v_trunc_f32_e32 v15, v13
	v_mul_f32_e32 v19, 0x3fb8aa3b, v18
	v_cmp_ngt_f32_e32 vcc_lo, 0xc2ce8ed0, v18
	v_add_f32_e32 v11, v17, v11
	v_fma_f32 v20, 0x3fb8aa3b, v18, -v19
	v_rndne_f32_e32 v21, v19
	v_fmac_f32_e32 v20, 0x32a5705f, v18
	v_sub_f32_e32 v19, v19, v21
	v_cvt_i32_f32_e32 v16, v21
	v_add_f32_e32 v19, v19, v20
	v_exp_f32_e32 v19, v19
	v_ldexp_f32 v12, v19, v16
	v_mul_f32_e32 v16, 0.5, v13
	v_cndmask_b32_e32 v12, 0, v12, vcc_lo
	v_cmp_nlt_f32_e32 vcc_lo, 0x42b17218, v18
	v_trunc_f32_e32 v19, v16
	v_cndmask_b32_e32 v12, 0x7f800000, v12, vcc_lo
	v_cmp_eq_f32_e32 vcc_lo, v15, v13
	v_cmp_neq_f32_e64 s0, v19, v16
	v_fma_f32 v11, v12, v11, v12
	v_cmp_class_f32_e64 s1, v12, 0x204
	s_and_b32 s0, vcc_lo, s0
	v_cndmask_b32_e64 v15, 1.0, v14, s0
	v_cndmask_b32_e64 v17, 0, v14, s0
	v_cndmask_b32_e64 v11, v11, v12, s1
	;; [unrolled: 1-line block ×3, first 2 shown]
	v_cmp_gt_f32_e64 s1, 0, v13
	v_cmp_class_f32_e64 s0, v14, 0x204
	v_bfi_b32 v11, 0x7fffffff, v11, v15
	s_xor_b32 s1, s1, s2
	v_cndmask_b32_e64 v15, 0x7f800000, 0, s1
	v_cndmask_b32_e32 v16, 0x7fc00000, v11, vcc_lo
	v_cmp_neq_f32_e64 vcc_lo, |v14|, 1.0
	v_bfi_b32 v15, 0x7fffffff, v15, v17
	v_cndmask_b32_e32 v12, 1.0, v12, vcc_lo
	v_cmp_gt_f32_e32 vcc_lo, 0, v14
	v_cndmask_b32_e32 v11, v11, v16, vcc_lo
	v_cmp_class_f32_e64 vcc_lo, v13, 0x204
	v_cndmask_b32_e32 v11, v11, v12, vcc_lo
	s_or_b32 vcc_lo, s2, s0
	v_cndmask_b32_e32 v11, v11, v15, vcc_lo
	v_cmp_o_f32_e32 vcc_lo, v14, v13
	v_cndmask_b32_e32 v13, 0x7fc00000, v11, vcc_lo
	v_add_co_u32 v11, vcc_lo, v1, s21
	v_add_co_ci_u32_e64 v12, null, 0, v2, vcc_lo
	global_store_dword v[11:12], v13, off
	s_branch .LBB78_3
.LBB78_20:
	s_cbranch_execz .LBB78_22
	s_branch .LBB78_25
.LBB78_21:
.LBB78_22:
	v_cmp_gt_i64_e64 s0, 0x10000, s[12:13]
	v_mov_b32_e32 v2, 0
	v_lshlrev_b32_e32 v1, 2, v0
	s_mov_b32 s18, 0
	s_and_b32 s0, s0, exec_lo
	s_cselect_b32 s17, s13, 0
	s_cselect_b32 s16, s12, 0x10000
	s_mov_b32 s0, exec_lo
	v_cmpx_gt_i64_e64 s[16:17], v[1:2]
	s_cbranch_execz .LBB78_25
; %bb.23:
	s_load_dword s0, s[4:5], 0xdd4
	v_lshlrev_b32_e32 v1, 4, v0
	s_mov_b32 s22, 0x3e76c4e1
	s_waitcnt lgkmcnt(0)
	s_and_b32 s19, s0, 0xffff
	s_add_u32 s0, s8, s10
	s_addc_u32 s1, s9, s11
	v_add_co_u32 v3, s0, s0, v1
	v_add_co_ci_u32_e64 v4, null, s1, 0, s0
	v_mov_b32_e32 v1, v2
	v_add_co_u32 v6, vcc_lo, v3, 8
	v_add_co_ci_u32_e64 v7, null, 0, v4, vcc_lo
	s_lshl_b32 s21, s19, 4
.LBB78_24:                              ; =>This Inner Loop Header: Depth=1
	global_load_dwordx4 v[2:5], v[6:7], off offset:-8
	v_add_co_u32 v0, vcc_lo, v0, s19
	v_add_co_ci_u32_e64 v1, null, 0, v1, vcc_lo
	v_lshlrev_b64 v[8:9], 2, v[0:1]
	s_waitcnt vmcnt(0)
	v_cmp_neq_f32_e32 vcc_lo, 1.0, v2
	v_cndmask_b32_e64 v10, 1.0, s20, vcc_lo
	v_cmp_neq_f32_e32 vcc_lo, 1.0, v3
	v_trunc_f32_e32 v14, v10
	v_cndmask_b32_e64 v11, 1.0, s20, vcc_lo
	v_cmp_neq_f32_e32 vcc_lo, 1.0, v4
	v_mul_f32_e32 v15, 0.5, v10
	v_cmp_neq_f32_e64 s13, v10, |v10|
	v_cmp_gt_f32_e64 s8, 0, v10
	v_mul_f32_e32 v24, 0.5, v11
	v_cndmask_b32_e64 v12, 1.0, s20, vcc_lo
	v_cmp_neq_f32_e32 vcc_lo, 1.0, v5
	v_trunc_f32_e32 v20, v11
	v_cmp_neq_f32_e64 s14, v11, |v11|
	v_cmp_gt_f32_e64 s9, 0, v11
	v_mul_f32_e32 v25, 0.5, v12
	v_cndmask_b32_e64 v13, 1.0, s20, vcc_lo
	v_cmp_neq_f32_e32 vcc_lo, 0, v10
	v_trunc_f32_e32 v22, v12
	v_cmp_neq_f32_e64 s15, v12, |v12|
	v_cmp_eq_f32_e64 s3, v14, v10
	v_trunc_f32_e32 v14, v15
	v_cndmask_b32_e32 v2, 1.0, v2, vcc_lo
	v_cmp_neq_f32_e32 vcc_lo, 0, v11
	v_trunc_f32_e32 v30, v24
	v_trunc_f32_e32 v32, v25
	v_cmp_eq_f32_e64 s4, v20, v11
	v_frexp_mant_f32_e64 v28, |v2|
	v_cndmask_b32_e32 v3, 1.0, v3, vcc_lo
	v_cmp_neq_f32_e32 vcc_lo, 0, v12
	v_cmp_lt_f32_e64 s29, |v2|, 1.0
	v_cvt_f64_f32_e64 v[16:17], |v2|
	v_cmp_gt_f32_e64 s12, 0x3f2aaaab, v28
	v_cmp_lt_f32_e64 s30, |v3|, 1.0
	v_cndmask_b32_e32 v4, 1.0, v4, vcc_lo
	v_cmp_neq_f32_e32 vcc_lo, 0, v13
	v_cmp_eq_f32_e64 s0, 0, v3
	v_frexp_mant_f32_e64 v29, |v3|
	v_cvt_f64_f32_e64 v[18:19], |v3|
	v_cmp_lt_f32_e64 s31, |v4|, 1.0
	v_cndmask_b32_e32 v5, 1.0, v5, vcc_lo
	v_cmp_eq_f32_e32 vcc_lo, 0, v2
	v_frexp_mant_f32_e64 v31, |v4|
	v_cvt_f64_f32_e64 v[20:21], |v4|
	v_cmp_eq_f32_e64 s5, v22, v12
	v_frexp_mant_f32_e64 v33, |v5|
	v_cvt_f64_f32_e64 v[22:23], |v5|
	s_xor_b32 s13, s13, s29
	s_xor_b32 s8, s8, vcc_lo
	s_xor_b32 s14, s14, s30
	s_xor_b32 s9, s9, s0
	;; [unrolled: 1-line block ×3, first 2 shown]
	v_trunc_f32_e32 v26, v13
	v_mul_f32_e32 v27, 0.5, v13
	v_cndmask_b32_e64 v34, 1.0, 2.0, s12
	v_cmp_neq_f32_e64 s10, v14, v15
	v_cndmask_b32_e64 v35, 0x7f800000, 0, s13
	v_cndmask_b32_e64 v36, 0x7f800000, 0, s8
	v_cmp_gt_f32_e64 s13, 0x3f2aaaab, v29
	v_cmp_neq_f32_e64 s8, v30, v24
	v_cndmask_b32_e64 v24, 0x7f800000, 0, s14
	v_cndmask_b32_e64 v15, 0x7f800000, 0, s9
	v_cmp_gt_f32_e64 s14, 0x3f2aaaab, v31
	v_cmp_neq_f32_e64 s9, v32, v25
	v_cndmask_b32_e64 v25, 0x7f800000, 0, s15
	v_cmp_gt_f32_e64 s15, 0x3f2aaaab, v33
	v_cmp_gt_f32_e64 s11, 0, v12
	v_cmp_eq_f32_e64 s1, 0, v4
	v_cmp_eq_f32_e64 s6, v26, v13
	v_trunc_f32_e32 v26, v27
	v_cndmask_b32_e64 v37, 1.0, 2.0, s13
	v_cndmask_b32_e64 v30, 1.0, 2.0, s14
	;; [unrolled: 1-line block ×3, first 2 shown]
	v_mul_f32_e32 v28, v28, v34
	s_xor_b32 s11, s11, s1
	v_frexp_exp_i32_f64_e32 v16, v[16:17]
	v_cndmask_b32_e64 v14, 0x7f800000, 0, s11
	v_cmp_neq_f32_e64 s11, v26, v27
	v_mul_f32_e32 v26, v29, v37
	v_mul_f32_e32 v27, v31, v30
	;; [unrolled: 1-line block ×3, first 2 shown]
	v_add_f32_e32 v31, 1.0, v28
	v_frexp_exp_i32_f64_e32 v18, v[18:19]
	v_add_f32_e32 v33, 1.0, v26
	v_add_f32_e32 v37, 1.0, v27
	;; [unrolled: 1-line block ×3, first 2 shown]
	v_rcp_f32_e32 v41, v31
	v_frexp_exp_i32_f64_e32 v19, v[20:21]
	v_frexp_exp_i32_f64_e32 v20, v[22:23]
	v_add_f32_e32 v30, -1.0, v28
	v_rcp_f32_e32 v43, v33
	v_rcp_f32_e32 v45, v37
	;; [unrolled: 1-line block ×3, first 2 shown]
	v_add_f32_e32 v32, -1.0, v26
	v_add_f32_e32 v34, -1.0, v27
	v_add_f32_e32 v38, -1.0, v29
	v_add_f32_e32 v40, -1.0, v31
	v_add_f32_e32 v42, -1.0, v33
	v_mul_f32_e32 v23, v30, v41
	v_add_f32_e32 v44, -1.0, v37
	v_add_f32_e32 v17, -1.0, v39
	v_sub_f32_e32 v21, v28, v40
	v_sub_f32_e32 v22, v26, v42
	v_mul_f32_e32 v26, v32, v43
	v_mul_f32_e32 v28, v34, v45
	;; [unrolled: 1-line block ×4, first 2 shown]
	v_sub_f32_e32 v27, v27, v44
	v_mul_f32_e32 v44, v33, v26
	v_mul_f32_e32 v47, v37, v28
	;; [unrolled: 1-line block ×3, first 2 shown]
	v_sub_f32_e32 v17, v29, v17
	v_fma_f32 v29, v23, v31, -v42
	v_fma_f32 v31, v26, v33, -v44
	;; [unrolled: 1-line block ×4, first 2 shown]
	v_subrev_co_ci_u32_e64 v16, null, 0, v16, s12
	v_subrev_co_ci_u32_e64 v18, null, 0, v18, s13
	v_subrev_co_ci_u32_e64 v19, null, 0, v19, s14
	v_subrev_co_ci_u32_e64 v20, null, 0, v20, s15
	v_fmac_f32_e32 v29, v23, v21
	v_fmac_f32_e32 v31, v26, v22
	;; [unrolled: 1-line block ×4, first 2 shown]
	v_cvt_f32_i32_e32 v16, v16
	v_cvt_f32_i32_e32 v17, v18
	;; [unrolled: 1-line block ×4, first 2 shown]
	v_add_f32_e32 v20, v42, v29
	v_add_f32_e32 v21, v44, v31
	;; [unrolled: 1-line block ×4, first 2 shown]
	v_mul_f32_e32 v39, 0x3f317218, v16
	v_sub_f32_e32 v52, v30, v20
	v_mul_f32_e32 v49, 0x3f317218, v17
	v_mul_f32_e32 v50, 0x3f317218, v18
	;; [unrolled: 1-line block ×3, first 2 shown]
	v_sub_f32_e32 v42, v20, v42
	v_sub_f32_e32 v53, v32, v21
	;; [unrolled: 1-line block ×4, first 2 shown]
	v_fma_f32 v56, 0x3f317218, v16, -v39
	v_sub_f32_e32 v30, v30, v52
	v_sub_f32_e32 v44, v21, v44
	v_sub_f32_e32 v47, v22, v47
	v_sub_f32_e32 v48, v27, v48
	v_fma_f32 v57, 0x3f317218, v17, -v49
	v_fma_f32 v58, 0x3f317218, v18, -v50
	;; [unrolled: 1-line block ×3, first 2 shown]
	v_sub_f32_e32 v29, v42, v29
	v_sub_f32_e32 v32, v32, v53
	;; [unrolled: 1-line block ×4, first 2 shown]
	v_fmac_f32_e32 v56, 0xb102e308, v16
	v_sub_f32_e32 v16, v30, v20
	v_sub_f32_e32 v31, v44, v31
	;; [unrolled: 1-line block ×4, first 2 shown]
	v_fmac_f32_e32 v57, 0xb102e308, v17
	v_fmac_f32_e32 v58, 0xb102e308, v18
	;; [unrolled: 1-line block ×3, first 2 shown]
	v_sub_f32_e32 v17, v32, v21
	v_sub_f32_e32 v18, v34, v22
	;; [unrolled: 1-line block ×3, first 2 shown]
	v_add_f32_e32 v16, v29, v16
	v_add_f32_e32 v20, v39, v56
	;; [unrolled: 1-line block ×6, first 2 shown]
	v_sub_f32_e32 v22, v20, v39
	v_add_f32_e32 v17, v53, v17
	v_add_f32_e32 v18, v54, v18
	;; [unrolled: 1-line block ×3, first 2 shown]
	v_mul_f32_e32 v16, v41, v16
	v_add_f32_e32 v21, v49, v57
	v_mul_f32_e32 v17, v43, v17
	v_mul_f32_e32 v18, v45, v18
	;; [unrolled: 1-line block ×3, first 2 shown]
	v_add_f32_e32 v27, v23, v16
	v_sub_f32_e32 v29, v21, v49
	v_add_f32_e32 v30, v26, v17
	v_add_f32_e32 v31, v28, v18
	;; [unrolled: 1-line block ×3, first 2 shown]
	v_sub_f32_e32 v23, v27, v23
	v_mul_f32_e32 v33, v27, v27
	v_sub_f32_e32 v26, v30, v26
	v_sub_f32_e32 v28, v31, v28
	;; [unrolled: 1-line block ×4, first 2 shown]
	v_mul_f32_e32 v34, v30, v30
	v_mul_f32_e32 v37, v31, v31
	;; [unrolled: 1-line block ×3, first 2 shown]
	v_fma_f32 v23, v27, v27, -v33
	v_sub_f32_e32 v17, v17, v26
	v_sub_f32_e32 v18, v18, v28
	v_sub_f32_e32 v19, v19, v38
	v_add_f32_e32 v38, v16, v16
	v_fma_f32 v26, v30, v30, -v34
	v_fma_f32 v28, v31, v31, -v37
	;; [unrolled: 1-line block ×3, first 2 shown]
	v_add_f32_e32 v41, v17, v17
	v_add_f32_e32 v42, v18, v18
	;; [unrolled: 1-line block ×3, first 2 shown]
	v_fmac_f32_e32 v23, v27, v38
	v_sub_f32_e32 v22, v56, v22
	v_fmac_f32_e32 v26, v30, v41
	v_fmac_f32_e32 v28, v31, v42
	;; [unrolled: 1-line block ×3, first 2 shown]
	v_add_f32_e32 v38, v33, v23
	v_sub_f32_e32 v29, v57, v29
	v_add_f32_e32 v41, v34, v26
	v_add_f32_e32 v42, v37, v28
	;; [unrolled: 1-line block ×3, first 2 shown]
	v_fmaak_f32 v44, s22, v38, 0x3e91f4c4
	v_sub_f32_e32 v33, v38, v33
	v_mul_f32_e32 v45, v27, v38
	v_fmaak_f32 v46, s22, v41, 0x3e91f4c4
	v_fmaak_f32 v48, s22, v42, 0x3e91f4c4
	;; [unrolled: 1-line block ×4, first 2 shown]
	v_sub_f32_e32 v34, v41, v34
	v_mul_f32_e32 v47, v30, v41
	v_sub_f32_e32 v37, v42, v37
	v_mul_f32_e32 v49, v31, v42
	;; [unrolled: 2-line block ×3, first 2 shown]
	v_sub_f32_e32 v23, v23, v33
	v_fma_f32 v33, v38, v27, -v45
	v_fmaak_f32 v46, v41, v46, 0x3ecccdef
	v_fmaak_f32 v48, v42, v48, 0x3ecccdef
	;; [unrolled: 1-line block ×3, first 2 shown]
	v_mul_f32_e32 v54, v38, v44
	v_sub_f32_e32 v26, v26, v34
	v_fma_f32 v34, v41, v30, -v47
	v_sub_f32_e32 v28, v28, v37
	v_fma_f32 v37, v42, v31, -v49
	;; [unrolled: 2-line block ×3, first 2 shown]
	v_fmac_f32_e32 v33, v38, v16
	v_mul_f32_e32 v55, v41, v46
	v_mul_f32_e32 v56, v42, v48
	;; [unrolled: 1-line block ×3, first 2 shown]
	v_fma_f32 v38, v38, v44, -v54
	v_fmac_f32_e32 v34, v41, v17
	v_fmac_f32_e32 v37, v42, v18
	v_fmac_f32_e32 v40, v43, v19
	v_fmac_f32_e32 v33, v23, v27
	v_fma_f32 v41, v41, v46, -v55
	v_fma_f32 v42, v42, v48, -v56
	;; [unrolled: 1-line block ×3, first 2 shown]
	v_fmac_f32_e32 v38, v23, v44
	v_fmac_f32_e32 v37, v28, v31
	v_add_f32_e32 v23, v45, v33
	v_fmac_f32_e32 v41, v26, v46
	v_fmac_f32_e32 v42, v28, v48
	v_add_f32_e32 v28, v54, v38
	v_fmac_f32_e32 v43, v39, v52
	v_fmac_f32_e32 v40, v39, v32
	v_sub_f32_e32 v39, v23, v45
	v_add_f32_e32 v45, v55, v41
	v_add_f32_e32 v46, v56, v42
	v_sub_f32_e32 v48, v28, v54
	v_add_f32_e32 v52, v57, v43
	v_add_f32_e32 v54, 0x3f2aaaaa, v28
	v_sub_f32_e32 v55, v45, v55
	v_sub_f32_e32 v56, v46, v56
	;; [unrolled: 1-line block ×3, first 2 shown]
	v_add_f32_e32 v48, 0x3f2aaaaa, v45
	v_sub_f32_e32 v57, v52, v57
	v_sub_f32_e32 v41, v41, v55
	v_add_f32_e32 v55, 0xbf2aaaaa, v54
	v_sub_f32_e32 v42, v42, v56
	v_add_f32_e32 v56, 0xbf2aaaaa, v48
	;; [unrolled: 2-line block ×3, first 2 shown]
	v_add_f32_e32 v38, 0x31739010, v38
	v_sub_f32_e32 v28, v28, v55
	v_add_f32_e32 v55, 0x3f2aaaaa, v52
	v_sub_f32_e32 v45, v45, v56
	v_add_f32_e32 v56, 0xbf2aaaaa, v57
	v_add_f32_e32 v41, 0x31739010, v41
	;; [unrolled: 1-line block ×5, first 2 shown]
	v_sub_f32_e32 v46, v46, v56
	v_add_f32_e32 v41, v41, v45
	v_fmac_f32_e32 v34, v26, v30
	v_add_f32_e32 v45, v54, v28
	v_add_f32_e32 v43, 0x31739010, v43
	v_sub_f32_e32 v38, v52, v38
	v_add_f32_e32 v42, v42, v46
	v_add_f32_e32 v46, v48, v41
	;; [unrolled: 1-line block ×4, first 2 shown]
	v_sub_f32_e32 v52, v54, v45
	v_mul_f32_e32 v54, v23, v45
	v_add_f32_e32 v38, v43, v38
	v_add_f32_e32 v43, v57, v42
	v_sub_f32_e32 v48, v48, v46
	v_add_f32_e32 v28, v28, v52
	v_fma_f32 v52, v23, v45, -v54
	v_mul_f32_e32 v56, v44, v46
	v_sub_f32_e32 v57, v57, v43
	v_add_f32_e32 v41, v41, v48
	v_mul_f32_e32 v48, v26, v43
	v_fmac_f32_e32 v52, v23, v28
	v_fma_f32 v23, v44, v46, -v56
	v_add_f32_e32 v42, v42, v57
	v_sub_f32_e32 v33, v33, v39
	v_fma_f32 v57, v26, v43, -v48
	v_ldexp_f32 v27, v27, 1
	v_fmac_f32_e32 v23, v44, v41
	v_sub_f32_e32 v44, v44, v47
	v_add_f32_e32 v47, v55, v38
	v_fmac_f32_e32 v57, v26, v42
	v_sub_f32_e32 v26, v26, v49
	v_add_f32_e32 v49, v53, v40
	v_fmac_f32_e32 v52, v33, v45
	v_sub_f32_e32 v55, v55, v47
	v_sub_f32_e32 v34, v34, v44
	;; [unrolled: 1-line block ×3, first 2 shown]
	v_mul_f32_e32 v39, v49, v47
	v_ldexp_f32 v30, v30, 1
	v_add_f32_e32 v38, v38, v55
	v_fmac_f32_e32 v23, v34, v46
	v_fmac_f32_e32 v57, v26, v43
	v_fma_f32 v33, v49, v47, -v39
	v_add_f32_e32 v26, v54, v52
	v_ldexp_f32 v31, v31, 1
	v_add_f32_e32 v34, v56, v23
	v_ldexp_f32 v32, v32, 1
	v_fmac_f32_e32 v33, v49, v38
	v_sub_f32_e32 v49, v49, v53
	v_sub_f32_e32 v46, v26, v54
	v_ldexp_f32 v16, v16, 1
	v_add_f32_e32 v54, v30, v34
	v_ldexp_f32 v17, v17, 1
	v_sub_f32_e32 v40, v40, v49
	v_sub_f32_e32 v49, v34, v56
	;; [unrolled: 1-line block ×3, first 2 shown]
	v_ldexp_f32 v18, v18, 1
	v_sub_f32_e32 v30, v54, v30
	v_fmac_f32_e32 v33, v40, v47
	v_add_f32_e32 v40, v48, v57
	v_add_f32_e32 v47, v27, v26
	v_sub_f32_e32 v23, v23, v49
	v_add_f32_e32 v16, v16, v46
	v_add_f32_e32 v43, v39, v33
	v_sub_f32_e32 v48, v40, v48
	v_add_f32_e32 v56, v31, v40
	v_sub_f32_e32 v27, v47, v27
	v_ldexp_f32 v19, v19, 1
	v_sub_f32_e32 v39, v43, v39
	v_add_f32_e32 v52, v32, v43
	v_sub_f32_e32 v48, v57, v48
	v_sub_f32_e32 v31, v56, v31
	;; [unrolled: 1-line block ×6, first 2 shown]
	v_add_f32_e32 v17, v17, v23
	v_sub_f32_e32 v23, v40, v31
	v_add_f32_e32 v18, v18, v48
	v_add_f32_e32 v16, v16, v26
	v_sub_f32_e32 v30, v43, v32
	v_add_f32_e32 v19, v19, v33
	v_add_f32_e32 v17, v17, v27
	;; [unrolled: 1-line block ×8, first 2 shown]
	v_sub_f32_e32 v33, v23, v47
	v_add_f32_e32 v34, v20, v23
	v_add_f32_e32 v31, v56, v18
	;; [unrolled: 1-line block ×3, first 2 shown]
	v_sub_f32_e32 v39, v30, v54
	v_add_f32_e32 v40, v21, v30
	v_sub_f32_e32 v16, v16, v33
	v_sub_f32_e32 v33, v34, v20
	;; [unrolled: 1-line block ×4, first 2 shown]
	v_add_f32_e32 v46, v53, v31
	v_sub_f32_e32 v47, v32, v52
	v_add_f32_e32 v48, v44, v32
	v_sub_f32_e32 v17, v17, v39
	v_sub_f32_e32 v39, v40, v21
	;; [unrolled: 1-line block ×4, first 2 shown]
	v_add_f32_e32 v33, v22, v16
	v_sub_f32_e32 v51, v44, v51
	v_sub_f32_e32 v26, v58, v50
	;; [unrolled: 1-line block ×8, first 2 shown]
	v_add_f32_e32 v39, v29, v17
	v_sub_f32_e32 v20, v20, v49
	v_sub_f32_e32 v49, v33, v22
	;; [unrolled: 1-line block ×5, first 2 shown]
	v_add_f32_e32 v43, v26, v18
	v_sub_f32_e32 v52, v48, v47
	v_sub_f32_e32 v21, v21, v50
	;; [unrolled: 1-line block ×3, first 2 shown]
	v_add_f32_e32 v20, v23, v20
	v_sub_f32_e32 v23, v33, v49
	v_sub_f32_e32 v32, v32, v47
	;; [unrolled: 1-line block ×6, first 2 shown]
	v_add_f32_e32 v21, v30, v21
	v_sub_f32_e32 v30, v39, v50
	v_sub_f32_e32 v22, v22, v23
	v_add_f32_e32 v20, v33, v20
	v_add_f32_e32 v47, v27, v19
	v_sub_f32_e32 v17, v17, v50
	v_add_f32_e32 v31, v31, v51
	v_sub_f32_e32 v49, v43, v53
	;; [unrolled: 2-line block ×3, first 2 shown]
	v_add_f32_e32 v21, v39, v21
	v_add_f32_e32 v16, v16, v22
	;; [unrolled: 1-line block ×3, first 2 shown]
	v_sub_f32_e32 v52, v47, v27
	v_sub_f32_e32 v18, v18, v53
	;; [unrolled: 1-line block ×3, first 2 shown]
	v_add_f32_e32 v29, v43, v31
	v_add_f32_e32 v30, v47, v32
	;; [unrolled: 1-line block ×4, first 2 shown]
	v_sub_f32_e32 v33, v22, v34
	v_sub_f32_e32 v44, v47, v52
	v_add_f32_e32 v31, v46, v29
	v_add_f32_e32 v32, v48, v30
	;; [unrolled: 1-line block ×3, first 2 shown]
	v_sub_f32_e32 v26, v23, v40
	v_sub_f32_e32 v20, v20, v33
	v_sub_f32_e32 v19, v19, v52
	v_sub_f32_e32 v27, v27, v44
	v_sub_f32_e32 v34, v31, v46
	v_sub_f32_e32 v39, v32, v48
	v_sub_f32_e32 v21, v21, v26
	v_add_f32_e32 v16, v16, v20
	v_add_f32_e32 v19, v19, v27
	v_sub_f32_e32 v26, v29, v34
	v_sub_f32_e32 v27, v30, v39
	v_add_f32_e32 v17, v17, v21
	v_add_f32_e32 v21, v22, v16
	v_cmp_gt_f32_e64 s7, 0, v13
	v_add_f32_e32 v18, v18, v26
	v_add_f32_e32 v19, v19, v27
	v_add_f32_e32 v27, v23, v17
	v_sub_f32_e32 v22, v21, v22
	v_mul_f32_e32 v33, v10, v21
	v_add_f32_e32 v29, v31, v18
	v_add_f32_e32 v30, v32, v19
	v_sub_f32_e32 v23, v27, v23
	v_mul_f32_e32 v34, v11, v27
	v_sub_f32_e32 v16, v16, v22
	v_fma_f32 v21, v10, v21, -v33
	v_cmp_eq_f32_e64 s2, 0, v5
	v_sub_f32_e32 v31, v29, v31
	v_mul_f32_e32 v39, v12, v29
	v_sub_f32_e32 v32, v30, v32
	v_mul_f32_e32 v40, v13, v30
	v_sub_f32_e32 v17, v17, v23
	v_fma_f32 v22, v11, v27, -v34
	v_fmac_f32_e32 v21, v10, v16
	s_xor_b32 s7, s7, s2
	v_sub_f32_e32 v18, v18, v31
	v_cndmask_b32_e64 v41, 0x7f800000, 0, s7
	s_and_b32 s7, s3, s10
	v_fma_f32 v23, v12, v29, -v39
	v_cndmask_b32_e64 v42, 1.0, v2, s7
	v_cndmask_b32_e64 v37, 0, v2, s7
	v_sub_f32_e32 v19, v19, v32
	v_fma_f32 v27, v13, v30, -v40
	v_fmac_f32_e32 v22, v11, v17
	v_add_f32_e32 v17, v33, v21
	v_cmp_class_f32_e64 s7, v33, 0x204
	v_fmac_f32_e32 v23, v12, v18
	v_fmac_f32_e32 v27, v13, v19
	v_add_f32_e32 v19, v34, v22
	v_sub_f32_e32 v31, v17, v33
	v_cndmask_b32_e64 v17, v17, v33, s7
	v_cmp_class_f32_e64 s7, v34, 0x204
	v_add_f32_e32 v29, v39, v23
	v_sub_f32_e32 v32, v19, v34
	v_add_f32_e32 v30, v40, v27
	v_sub_f32_e32 v21, v21, v31
	v_cndmask_b32_e64 v19, v19, v34, s7
	v_cmp_class_f32_e64 s7, v39, 0x204
	v_sub_f32_e32 v33, v29, v39
	v_sub_f32_e32 v34, v30, v40
	;; [unrolled: 1-line block ×3, first 2 shown]
	v_bfi_b32 v18, 0x7fffffff, v36, v37
	v_cndmask_b32_e64 v29, v29, v39, s7
	v_cmp_class_f32_e64 s7, v40, 0x204
	v_sub_f32_e32 v23, v23, v33
	v_sub_f32_e32 v27, v27, v34
	s_and_b32 s8, s4, s8
	v_cmp_neq_f32_e64 s10, |v2|, 1.0
	v_cndmask_b32_e64 v30, v30, v40, s7
	v_cmp_eq_f32_e64 s7, 0x42b17218, v17
	v_cndmask_b32_e64 v20, 0, v3, s8
	v_cndmask_b32_e64 v55, 1.0, v3, s8
	v_cndmask_b32_e64 v35, 1.0, v35, s10
	v_cmp_neq_f32_e64 s10, |v3|, 1.0
	v_cndmask_b32_e64 v31, 0, 0x37000000, s7
	v_cmp_eq_f32_e64 s7, 0x42b17218, v19
	v_bfi_b32 v15, 0x7fffffff, v15, v20
	s_and_b32 s9, s5, s9
	v_cndmask_b32_e64 v24, 1.0, v24, s10
	v_cmp_neq_f32_e64 s10, |v4|, 1.0
	v_cndmask_b32_e64 v32, 0, 0x37000000, s7
	v_cmp_eq_f32_e64 s7, 0x42b17218, v29
	v_cndmask_b32_e64 v45, 1.0, v4, s9
	v_cndmask_b32_e64 v26, 0, v4, s9
	v_cndmask_b32_e64 v25, 1.0, v25, s10
	s_and_b32 s10, s6, s11
	v_cndmask_b32_e64 v33, 0, 0x37000000, s7
	v_cmp_eq_f32_e64 s7, 0x42b17218, v30
	v_cndmask_b32_e64 v38, 1.0, v5, s10
	v_bfi_b32 v14, 0x7fffffff, v14, v26
	v_cmp_neq_f32_e64 s27, v13, |v13|
	v_cmp_lt_f32_e64 s28, |v5|, 1.0
	v_cndmask_b32_e64 v34, 0, 0x37000000, s7
	v_cmp_neq_f32_e64 s7, 0x7f800000, |v17|
	v_sub_f32_e32 v17, v17, v31
	v_cmp_neq_f32_e64 s11, |v5|, 1.0
	s_xor_b32 s12, s27, s28
	v_sub_f32_e32 v36, v30, v34
	v_cndmask_b32_e64 v21, 0, v21, s7
	v_cmp_neq_f32_e64 s7, 0x7f800000, |v19|
	v_sub_f32_e32 v19, v19, v32
	v_mul_f32_e32 v37, 0x3fb8aa3b, v17
	v_mul_f32_e32 v40, 0x3fb8aa3b, v36
	v_add_f32_e32 v21, v31, v21
	v_cndmask_b32_e64 v22, 0, v22, s7
	v_cmp_neq_f32_e64 s7, 0x7f800000, |v29|
	v_sub_f32_e32 v29, v29, v33
	v_fma_f32 v43, 0x3fb8aa3b, v17, -v37
	v_rndne_f32_e32 v44, v37
	v_fma_f32 v50, 0x3fb8aa3b, v36, -v40
	v_cndmask_b32_e64 v23, 0, v23, s7
	v_cmp_neq_f32_e64 s7, 0x7f800000, |v30|
	v_mul_f32_e32 v30, 0x3fb8aa3b, v19
	v_mul_f32_e32 v39, 0x3fb8aa3b, v29
	v_fmac_f32_e32 v43, 0x32a5705f, v17
	v_sub_f32_e32 v37, v37, v44
	v_rndne_f32_e32 v51, v40
	v_fma_f32 v46, 0x3fb8aa3b, v19, -v30
	v_rndne_f32_e32 v47, v30
	v_fma_f32 v48, 0x3fb8aa3b, v29, -v39
	v_rndne_f32_e32 v49, v39
	v_add_f32_e32 v31, v37, v43
	v_fmac_f32_e32 v46, 0x32a5705f, v19
	v_sub_f32_e32 v30, v30, v47
	v_fmac_f32_e32 v48, 0x32a5705f, v29
	v_sub_f32_e32 v39, v39, v49
	;; [unrolled: 2-line block ×3, first 2 shown]
	v_add_f32_e32 v30, v30, v46
	v_exp_f32_e32 v31, v31
	v_add_f32_e32 v37, v39, v48
	v_add_f32_e32 v23, v33, v23
	v_add_f32_e32 v39, v40, v50
	v_exp_f32_e32 v30, v30
	v_cvt_i32_f32_e32 v33, v44
	v_cndmask_b32_e64 v27, 0, v27, s7
	v_add_f32_e32 v22, v32, v22
	v_exp_f32_e32 v32, v37
	v_exp_f32_e32 v37, v39
	v_cvt_i32_f32_e32 v39, v47
	v_ldexp_f32 v31, v31, v33
	v_cmp_ngt_f32_e64 s7, 0xc2ce8ed0, v17
	v_cvt_i32_f32_e32 v40, v49
	v_cvt_i32_f32_e32 v43, v51
	v_ldexp_f32 v30, v30, v39
	v_add_f32_e32 v27, v34, v27
	v_cndmask_b32_e64 v31, 0, v31, s7
	v_cmp_ngt_f32_e64 s7, 0xc2ce8ed0, v19
	v_ldexp_f32 v32, v32, v40
	v_ldexp_f32 v33, v37, v43
	v_cndmask_b32_e64 v28, 0x7f800000, 0, s12
	v_cmp_class_f32_e64 s23, v2, 0x204
	v_cndmask_b32_e64 v30, 0, v30, s7
	v_cmp_ngt_f32_e64 s7, 0xc2ce8ed0, v29
	v_cmp_class_f32_e64 s24, v3, 0x204
	v_cndmask_b32_e64 v28, 1.0, v28, s11
	v_cndmask_b32_e64 v16, 0, v5, s10
	v_cmp_class_f32_e64 s25, v4, 0x204
	v_cndmask_b32_e64 v32, 0, v32, s7
	v_cmp_ngt_f32_e64 s7, 0xc2ce8ed0, v36
	s_or_b32 vcc_lo, vcc_lo, s23
	v_cmp_class_f32_e64 s26, v5, 0x204
	v_bfi_b32 v16, 0x7fffffff, v41, v16
	v_cndmask_b32_e64 v33, 0, v33, s7
	v_cmp_nlt_f32_e64 s7, 0x42b17218, v17
	v_cndmask_b32_e64 v17, 0x7f800000, v31, s7
	v_cmp_nlt_f32_e64 s7, 0x42b17218, v19
	v_fma_f32 v20, v17, v21, v17
	v_cndmask_b32_e64 v19, 0x7f800000, v30, s7
	v_cmp_nlt_f32_e64 s7, 0x42b17218, v29
	v_fma_f32 v21, v19, v22, v19
	;; [unrolled: 3-line block ×3, first 2 shown]
	v_cndmask_b32_e64 v30, 0x7f800000, v33, s7
	v_cmp_class_f32_e64 s7, v17, 0x204
	v_fma_f32 v23, v30, v27, v30
	v_cndmask_b32_e64 v17, v20, v17, s7
	v_cmp_class_f32_e64 s7, v19, 0x204
	v_bfi_b32 v17, 0x7fffffff, v17, v42
	v_cndmask_b32_e64 v19, v21, v19, s7
	v_cmp_class_f32_e64 s7, v29, 0x204
	v_bfi_b32 v19, 0x7fffffff, v19, v55
	v_cndmask_b32_e64 v20, v22, v29, s7
	v_cmp_class_f32_e64 s7, v30, 0x204
	v_cndmask_b32_e64 v22, 0x7fc00000, v17, s3
	v_cmp_gt_f32_e64 s3, 0, v2
	v_bfi_b32 v20, 0x7fffffff, v20, v45
	v_cndmask_b32_e64 v21, v23, v30, s7
	v_cndmask_b32_e64 v23, 0x7fc00000, v19, s4
	;; [unrolled: 1-line block ×3, first 2 shown]
	v_cmp_gt_f32_e64 s3, 0, v3
	v_cndmask_b32_e64 v26, 0x7fc00000, v20, s5
	v_bfi_b32 v21, 0x7fffffff, v21, v38
	v_cndmask_b32_e64 v19, v19, v23, s3
	v_cmp_gt_f32_e64 s3, 0, v4
	v_cndmask_b32_e64 v27, 0x7fc00000, v21, s6
	v_cndmask_b32_e64 v20, v20, v26, s3
	v_cmp_gt_f32_e64 s3, 0, v5
	v_cndmask_b32_e64 v21, v21, v27, s3
	v_cmp_class_f32_e64 s3, v10, 0x204
	v_cndmask_b32_e64 v17, v17, v35, s3
	v_cmp_class_f32_e64 s3, v11, 0x204
	v_cndmask_b32_e32 v17, v17, v18, vcc_lo
	v_cndmask_b32_e64 v19, v19, v24, s3
	v_cmp_class_f32_e64 s3, v12, 0x204
	s_or_b32 vcc_lo, s0, s24
	v_cndmask_b32_e32 v15, v19, v15, vcc_lo
	v_cndmask_b32_e64 v20, v20, v25, s3
	v_cmp_class_f32_e64 s3, v13, 0x204
	s_or_b32 vcc_lo, s1, s25
	v_cndmask_b32_e32 v14, v20, v14, vcc_lo
	v_cndmask_b32_e64 v21, v21, v28, s3
	s_or_b32 vcc_lo, s2, s26
	v_cndmask_b32_e32 v16, v21, v16, vcc_lo
	v_cmp_o_f32_e32 vcc_lo, v2, v10
	v_cndmask_b32_e32 v2, 0x7fc00000, v17, vcc_lo
	v_cmp_o_f32_e32 vcc_lo, v3, v11
	;; [unrolled: 2-line block ×4, first 2 shown]
	v_cndmask_b32_e32 v5, 0x7fc00000, v16, vcc_lo
	v_cmp_le_i64_e32 vcc_lo, s[16:17], v[8:9]
	global_store_dwordx4 v[6:7], v[2:5], off offset:-8
	v_add_co_u32 v6, s0, v6, s21
	v_add_co_ci_u32_e64 v7, null, 0, v7, s0
	s_or_b32 s18, vcc_lo, s18
	s_andn2_b32 exec_lo, exec_lo, s18
	s_cbranch_execnz .LBB78_24
.LBB78_25:
	s_endpgm
	.section	.rodata,"a",@progbits
	.p2align	6, 0x0
	.amdhsa_kernel _ZN2at6native12_GLOBAL__N_125multi_tensor_apply_kernelINS1_28TensorListScalarListMetadataIfLi1EEENS1_25BinaryOpScalarListFunctorIfLi1ELi1ELi0EEEJNS1_13power_functorIfEEEEEvT_T0_DpT1_
		.amdhsa_group_segment_fixed_size 0
		.amdhsa_private_segment_fixed_size 0
		.amdhsa_kernarg_size 3784
		.amdhsa_user_sgpr_count 6
		.amdhsa_user_sgpr_private_segment_buffer 1
		.amdhsa_user_sgpr_dispatch_ptr 0
		.amdhsa_user_sgpr_queue_ptr 0
		.amdhsa_user_sgpr_kernarg_segment_ptr 1
		.amdhsa_user_sgpr_dispatch_id 0
		.amdhsa_user_sgpr_flat_scratch_init 0
		.amdhsa_user_sgpr_private_segment_size 0
		.amdhsa_wavefront_size32 1
		.amdhsa_uses_dynamic_stack 0
		.amdhsa_system_sgpr_private_segment_wavefront_offset 0
		.amdhsa_system_sgpr_workgroup_id_x 1
		.amdhsa_system_sgpr_workgroup_id_y 0
		.amdhsa_system_sgpr_workgroup_id_z 0
		.amdhsa_system_sgpr_workgroup_info 0
		.amdhsa_system_vgpr_workitem_id 0
		.amdhsa_next_free_vgpr 60
		.amdhsa_next_free_sgpr 32
		.amdhsa_reserve_vcc 1
		.amdhsa_reserve_flat_scratch 0
		.amdhsa_float_round_mode_32 0
		.amdhsa_float_round_mode_16_64 0
		.amdhsa_float_denorm_mode_32 3
		.amdhsa_float_denorm_mode_16_64 3
		.amdhsa_dx10_clamp 1
		.amdhsa_ieee_mode 1
		.amdhsa_fp16_overflow 0
		.amdhsa_workgroup_processor_mode 1
		.amdhsa_memory_ordered 1
		.amdhsa_forward_progress 1
		.amdhsa_shared_vgpr_count 0
		.amdhsa_exception_fp_ieee_invalid_op 0
		.amdhsa_exception_fp_denorm_src 0
		.amdhsa_exception_fp_ieee_div_zero 0
		.amdhsa_exception_fp_ieee_overflow 0
		.amdhsa_exception_fp_ieee_underflow 0
		.amdhsa_exception_fp_ieee_inexact 0
		.amdhsa_exception_int_div_zero 0
	.end_amdhsa_kernel
	.section	.text._ZN2at6native12_GLOBAL__N_125multi_tensor_apply_kernelINS1_28TensorListScalarListMetadataIfLi1EEENS1_25BinaryOpScalarListFunctorIfLi1ELi1ELi0EEEJNS1_13power_functorIfEEEEEvT_T0_DpT1_,"axG",@progbits,_ZN2at6native12_GLOBAL__N_125multi_tensor_apply_kernelINS1_28TensorListScalarListMetadataIfLi1EEENS1_25BinaryOpScalarListFunctorIfLi1ELi1ELi0EEEJNS1_13power_functorIfEEEEEvT_T0_DpT1_,comdat
.Lfunc_end78:
	.size	_ZN2at6native12_GLOBAL__N_125multi_tensor_apply_kernelINS1_28TensorListScalarListMetadataIfLi1EEENS1_25BinaryOpScalarListFunctorIfLi1ELi1ELi0EEEJNS1_13power_functorIfEEEEEvT_T0_DpT1_, .Lfunc_end78-_ZN2at6native12_GLOBAL__N_125multi_tensor_apply_kernelINS1_28TensorListScalarListMetadataIfLi1EEENS1_25BinaryOpScalarListFunctorIfLi1ELi1ELi0EEEJNS1_13power_functorIfEEEEEvT_T0_DpT1_
                                        ; -- End function
	.set _ZN2at6native12_GLOBAL__N_125multi_tensor_apply_kernelINS1_28TensorListScalarListMetadataIfLi1EEENS1_25BinaryOpScalarListFunctorIfLi1ELi1ELi0EEEJNS1_13power_functorIfEEEEEvT_T0_DpT1_.num_vgpr, 60
	.set _ZN2at6native12_GLOBAL__N_125multi_tensor_apply_kernelINS1_28TensorListScalarListMetadataIfLi1EEENS1_25BinaryOpScalarListFunctorIfLi1ELi1ELi0EEEJNS1_13power_functorIfEEEEEvT_T0_DpT1_.num_agpr, 0
	.set _ZN2at6native12_GLOBAL__N_125multi_tensor_apply_kernelINS1_28TensorListScalarListMetadataIfLi1EEENS1_25BinaryOpScalarListFunctorIfLi1ELi1ELi0EEEJNS1_13power_functorIfEEEEEvT_T0_DpT1_.numbered_sgpr, 32
	.set _ZN2at6native12_GLOBAL__N_125multi_tensor_apply_kernelINS1_28TensorListScalarListMetadataIfLi1EEENS1_25BinaryOpScalarListFunctorIfLi1ELi1ELi0EEEJNS1_13power_functorIfEEEEEvT_T0_DpT1_.num_named_barrier, 0
	.set _ZN2at6native12_GLOBAL__N_125multi_tensor_apply_kernelINS1_28TensorListScalarListMetadataIfLi1EEENS1_25BinaryOpScalarListFunctorIfLi1ELi1ELi0EEEJNS1_13power_functorIfEEEEEvT_T0_DpT1_.private_seg_size, 0
	.set _ZN2at6native12_GLOBAL__N_125multi_tensor_apply_kernelINS1_28TensorListScalarListMetadataIfLi1EEENS1_25BinaryOpScalarListFunctorIfLi1ELi1ELi0EEEJNS1_13power_functorIfEEEEEvT_T0_DpT1_.uses_vcc, 1
	.set _ZN2at6native12_GLOBAL__N_125multi_tensor_apply_kernelINS1_28TensorListScalarListMetadataIfLi1EEENS1_25BinaryOpScalarListFunctorIfLi1ELi1ELi0EEEJNS1_13power_functorIfEEEEEvT_T0_DpT1_.uses_flat_scratch, 0
	.set _ZN2at6native12_GLOBAL__N_125multi_tensor_apply_kernelINS1_28TensorListScalarListMetadataIfLi1EEENS1_25BinaryOpScalarListFunctorIfLi1ELi1ELi0EEEJNS1_13power_functorIfEEEEEvT_T0_DpT1_.has_dyn_sized_stack, 0
	.set _ZN2at6native12_GLOBAL__N_125multi_tensor_apply_kernelINS1_28TensorListScalarListMetadataIfLi1EEENS1_25BinaryOpScalarListFunctorIfLi1ELi1ELi0EEEJNS1_13power_functorIfEEEEEvT_T0_DpT1_.has_recursion, 0
	.set _ZN2at6native12_GLOBAL__N_125multi_tensor_apply_kernelINS1_28TensorListScalarListMetadataIfLi1EEENS1_25BinaryOpScalarListFunctorIfLi1ELi1ELi0EEEJNS1_13power_functorIfEEEEEvT_T0_DpT1_.has_indirect_call, 0
	.section	.AMDGPU.csdata,"",@progbits
; Kernel info:
; codeLenInByte = 8928
; TotalNumSgprs: 34
; NumVgprs: 60
; ScratchSize: 0
; MemoryBound: 0
; FloatMode: 240
; IeeeMode: 1
; LDSByteSize: 0 bytes/workgroup (compile time only)
; SGPRBlocks: 0
; VGPRBlocks: 7
; NumSGPRsForWavesPerEU: 34
; NumVGPRsForWavesPerEU: 60
; Occupancy: 16
; WaveLimiterHint : 0
; COMPUTE_PGM_RSRC2:SCRATCH_EN: 0
; COMPUTE_PGM_RSRC2:USER_SGPR: 6
; COMPUTE_PGM_RSRC2:TRAP_HANDLER: 0
; COMPUTE_PGM_RSRC2:TGID_X_EN: 1
; COMPUTE_PGM_RSRC2:TGID_Y_EN: 0
; COMPUTE_PGM_RSRC2:TGID_Z_EN: 0
; COMPUTE_PGM_RSRC2:TIDIG_COMP_CNT: 0
	.text
	.p2align	2                               ; -- Begin function _ZNK2at6native12_GLOBAL__N_113power_functorIN3c107complexIdEEEclERKS5_S8_
	.type	_ZNK2at6native12_GLOBAL__N_113power_functorIN3c107complexIdEEEclERKS5_S8_,@function
_ZNK2at6native12_GLOBAL__N_113power_functorIN3c107complexIdEEEclERKS5_S8_: ; @_ZNK2at6native12_GLOBAL__N_113power_functorIN3c107complexIdEEEclERKS5_S8_
; %bb.0:
                                        ; implicit-def: $vgpr12_vgpr13
                                        ; implicit-def: $vgpr14_vgpr15
	s_waitcnt vmcnt(0) expcnt(0) lgkmcnt(0)
	s_mov_b32 s4, exec_lo
	v_cmpx_o_f64_e32 v[0:1], v[2:3]
	s_xor_b32 s14, exec_lo, s4
	s_cbranch_execz .LBB79_28
; %bb.1:
	v_cmp_lt_f64_e64 s4, |v[0:1]|, |v[2:3]|
	v_and_b32_e32 v8, 0x7fffffff, v1
	v_and_b32_e32 v9, 0x7fffffff, v3
	v_mov_b32_e32 v16, v2
	s_mov_b32 s6, 0x85ebc8a0
	s_mov_b32 s7, 0x7fd1ccf3
                                        ; implicit-def: $vgpr12_vgpr13
                                        ; implicit-def: $vgpr14_vgpr15
	s_mov_b32 s5, exec_lo
	v_cndmask_b32_e64 v11, v9, v8, s4
	v_cndmask_b32_e64 v10, v2, v0, s4
	v_cmpx_nlt_f64_e32 s[6:7], v[10:11]
	s_xor_b32 s15, exec_lo, s5
	s_cbranch_execz .LBB79_25
; %bb.2:
	v_cndmask_b32_e64 v17, v8, v9, s4
	v_cndmask_b32_e64 v16, v0, v16, s4
                                        ; implicit-def: $vgpr12_vgpr13
                                        ; implicit-def: $vgpr14_vgpr15
	s_mov_b32 s5, exec_lo
	v_cmpx_neq_f64_e32 1.0, v[16:17]
	s_xor_b32 s16, exec_lo, s5
	s_cbranch_execz .LBB79_18
; %bb.3:
	v_max_f64 v[8:9], v[10:11], v[10:11]
	v_max_f64 v[12:13], v[16:17], v[16:17]
	s_mov_b32 s6, 0x4ad4b81f
	s_mov_b32 s8, 0xc57e649a
	;; [unrolled: 1-line block ×4, first 2 shown]
	v_min_f64 v[14:15], v[12:13], v[8:9]
	v_max_f64 v[8:9], v[12:13], v[8:9]
                                        ; implicit-def: $vgpr12_vgpr13
	v_cmp_ngt_f64_e32 vcc_lo, s[6:7], v[14:15]
	v_cmp_nlt_f64_e64 s5, s[8:9], v[8:9]
                                        ; implicit-def: $vgpr14_vgpr15
	s_and_b32 s5, s5, vcc_lo
	s_and_saveexec_b32 s6, s5
	s_xor_b32 s17, exec_lo, s6
	s_cbranch_execz .LBB79_15
; %bb.4:
                                        ; implicit-def: $vgpr12_vgpr13
                                        ; implicit-def: $vgpr14_vgpr15
	s_mov_b32 s5, exec_lo
	v_cmpx_le_f64_e32 1.0, v[16:17]
	s_xor_b32 s8, exec_lo, s5
	s_cbranch_execz .LBB79_6
; %bb.5:
	v_add_f64 v[8:9], v[16:17], -1.0
	v_add_f64 v[12:13], v[16:17], 1.0
	s_mov_b32 s7, 0x3fe55555
	s_mov_b32 s6, 0x55555555
	;; [unrolled: 1-line block ×8, first 2 shown]
	v_cmp_eq_f64_e64 s5, 0, v[2:3]
	v_cmp_class_f64_e64 s9, v[2:3], 0x204
	v_mul_f64 v[8:9], v[8:9], v[12:13]
	v_fma_f64 v[8:9], v[10:11], v[10:11], v[8:9]
	v_add_f64 v[10:11], v[8:9], 1.0
	v_frexp_mant_f64_e32 v[12:13], v[10:11]
	v_frexp_exp_i32_f64_e32 v16, v[10:11]
	v_add_f64 v[14:15], v[10:11], -1.0
	v_cmp_gt_f64_e32 vcc_lo, s[6:7], v[12:13]
	s_mov_b32 s6, 0x55555780
	v_add_f64 v[12:13], v[14:15], -v[10:11]
	v_add_f64 v[14:15], v[8:9], -v[14:15]
	v_subrev_co_ci_u32_e64 v48, null, 0, v16, vcc_lo
	v_add_f64 v[12:13], v[12:13], 1.0
	v_sub_nc_u32_e32 v18, 0, v48
	v_ldexp_f64 v[10:11], v[10:11], v18
	v_add_f64 v[12:13], v[14:15], v[12:13]
	v_add_f64 v[16:17], v[10:11], 1.0
	v_add_f64 v[22:23], v[10:11], -1.0
	v_ldexp_f64 v[12:13], v[12:13], v18
	v_add_f64 v[14:15], v[16:17], -1.0
	v_add_f64 v[24:25], v[22:23], 1.0
	v_add_f64 v[14:15], v[10:11], -v[14:15]
	v_add_f64 v[10:11], v[10:11], -v[24:25]
	v_add_f64 v[14:15], v[12:13], v[14:15]
	v_add_f64 v[10:11], v[12:13], v[10:11]
	;; [unrolled: 1-line block ×4, first 2 shown]
	v_rcp_f64_e32 v[20:21], v[18:19]
	v_add_f64 v[16:17], v[18:19], -v[16:17]
	v_add_f64 v[22:23], v[24:25], -v[22:23]
	;; [unrolled: 1-line block ×3, first 2 shown]
	v_fma_f64 v[26:27], -v[18:19], v[20:21], 1.0
	v_add_f64 v[10:11], v[10:11], -v[22:23]
	v_fma_f64 v[20:21], v[26:27], v[20:21], v[20:21]
	v_fma_f64 v[12:13], -v[18:19], v[20:21], 1.0
	v_fma_f64 v[12:13], v[12:13], v[20:21], v[20:21]
	v_mul_f64 v[20:21], v[24:25], v[12:13]
	v_mul_f64 v[26:27], v[18:19], v[20:21]
	v_fma_f64 v[16:17], v[20:21], v[18:19], -v[26:27]
	v_fma_f64 v[16:17], v[20:21], v[14:15], v[16:17]
	v_add_f64 v[28:29], v[26:27], v[16:17]
	v_add_f64 v[30:31], v[24:25], -v[28:29]
	v_add_f64 v[22:23], v[28:29], -v[26:27]
	v_max_f64 v[26:27], |v[2:3]|, |v[2:3]|
	v_add_f64 v[24:25], v[24:25], -v[30:31]
	v_add_f64 v[16:17], v[22:23], -v[16:17]
	;; [unrolled: 1-line block ×3, first 2 shown]
	v_max_f64 v[28:29], |v[0:1]|, |v[0:1]|
	v_add_f64 v[10:11], v[10:11], v[24:25]
	v_max_f64 v[32:33], v[28:29], v[26:27]
	v_min_f64 v[26:27], v[28:29], v[26:27]
	v_add_f64 v[10:11], v[16:17], v[10:11]
	v_add_f64 v[16:17], v[30:31], v[10:11]
	v_mul_f64 v[22:23], v[12:13], v[16:17]
	v_add_f64 v[30:31], v[30:31], -v[16:17]
	v_mul_f64 v[24:25], v[18:19], v[22:23]
	v_add_f64 v[10:11], v[10:11], v[30:31]
	v_fma_f64 v[18:19], v[22:23], v[18:19], -v[24:25]
	v_fma_f64 v[14:15], v[22:23], v[14:15], v[18:19]
	v_div_scale_f64 v[18:19], null, v[32:33], v[32:33], v[26:27]
	v_add_f64 v[28:29], v[24:25], v[14:15]
	v_rcp_f64_e32 v[34:35], v[18:19]
	v_add_f64 v[36:37], v[16:17], -v[28:29]
	v_add_f64 v[24:25], v[28:29], -v[24:25]
	v_fma_f64 v[38:39], -v[18:19], v[34:35], 1.0
	v_add_f64 v[16:17], v[16:17], -v[36:37]
	v_add_f64 v[14:15], v[24:25], -v[14:15]
	v_fma_f64 v[34:35], v[34:35], v[38:39], v[34:35]
	v_add_f64 v[16:17], v[16:17], -v[28:29]
	v_fma_f64 v[28:29], -v[18:19], v[34:35], 1.0
	v_add_f64 v[10:11], v[10:11], v[16:17]
	v_div_scale_f64 v[16:17], vcc_lo, v[26:27], v[32:33], v[26:27]
	v_fma_f64 v[24:25], v[34:35], v[28:29], v[34:35]
	v_add_f64 v[28:29], v[20:21], v[22:23]
	v_add_f64 v[10:11], v[14:15], v[10:11]
	v_mul_f64 v[14:15], v[16:17], v[24:25]
	v_add_f64 v[20:21], v[28:29], -v[20:21]
	v_add_f64 v[10:11], v[36:37], v[10:11]
	v_fma_f64 v[16:17], -v[18:19], v[14:15], v[16:17]
	v_add_f64 v[18:19], v[22:23], -v[20:21]
	v_mul_f64 v[10:11], v[12:13], v[10:11]
	v_div_fmas_f64 v[12:13], v[16:17], v[24:25], v[14:15]
	v_cmp_gt_i32_e32 vcc_lo, 0, v1
	v_add_f64 v[10:11], v[18:19], v[10:11]
	v_div_fixup_f64 v[12:13], v[12:13], v[32:33], v[26:27]
	v_add_f64 v[14:15], v[28:29], v[10:11]
	v_mul_f64 v[16:17], v[12:13], v[12:13]
	v_mul_f64 v[18:19], v[14:15], v[14:15]
	v_fma_f64 v[20:21], v[16:17], s[12:13], s[10:11]
	s_mov_b32 s10, 0xbf559e2b
	s_mov_b32 s11, 0x3fc3ab76
	v_fma_f64 v[22:23], v[18:19], s[10:11], s[18:19]
	s_mov_b32 s10, 0x69efb384
	s_mov_b32 s11, 0x3f4b2bb0
	v_mul_f64 v[24:25], v[14:15], v[18:19]
	v_fma_f64 v[20:21], v[16:17], v[20:21], s[10:11]
	s_mov_b32 s10, 0xd7f4df2e
	s_mov_b32 s11, 0x3fc7474d
	v_fma_f64 v[22:23], v[18:19], v[22:23], s[10:11]
	s_mov_b32 s10, 0xaf56de9b
	s_mov_b32 s11, 0xbf67952d
	;; [unrolled: 3-line block ×10, first 2 shown]
	v_ldexp_f64 v[22:23], v[14:15], 1
	v_fma_f64 v[20:21], v[16:17], v[20:21], s[6:7]
	s_mov_b32 s6, 0x5711927a
	s_mov_b32 s7, 0x3fa2c15b
	v_add_f64 v[14:15], v[14:15], -v[28:29]
	v_mul_f64 v[18:19], v[24:25], v[18:19]
	v_cvt_f64_i32_e32 v[24:25], v48
	v_fma_f64 v[20:21], v[16:17], v[20:21], s[6:7]
	s_mov_b32 s6, 0xe82d3ff0
	s_mov_b32 s7, 0xbfa59976
	v_add_f64 v[10:11], v[10:11], -v[14:15]
	v_add_f64 v[26:27], v[22:23], v[18:19]
	v_mul_f64 v[28:29], v[24:25], s[10:11]
	v_fma_f64 v[20:21], v[16:17], v[20:21], s[6:7]
	s_mov_b32 s6, 0x6ef28734
	s_mov_b32 s7, 0x3fa82d5d
	v_ldexp_f64 v[10:11], v[10:11], 1
	v_add_f64 v[14:15], v[26:27], -v[22:23]
	v_fma_f64 v[22:23], v[24:25], s[10:11], -v[28:29]
	v_cmp_class_f64_e64 s10, v[0:1], 0x204
	v_mov_b32_e32 v0, 0x4002d97c
	v_fma_f64 v[20:21], v[16:17], v[20:21], s[6:7]
	s_mov_b32 s6, 0x6a214619
	s_mov_b32 s7, 0xbfaae5ce
	v_cndmask_b32_e32 v0, 0x3fe921fb, v0, vcc_lo
	v_bfi_b32 v0, 0x7fffffff, v0, v3
	v_add_f64 v[14:15], v[18:19], -v[14:15]
	v_fma_f64 v[18:19], v[16:17], v[20:21], s[6:7]
	s_mov_b32 s6, 0x3b39803f
	s_mov_b32 s7, 0x3c7abc9e
	v_fma_f64 v[20:21], v[24:25], s[6:7], v[22:23]
	s_mov_b32 s6, 0x8427b883
	s_mov_b32 s7, 0x3fae1bb4
	v_add_f64 v[10:11], v[10:11], v[14:15]
	v_fma_f64 v[14:15], v[16:17], v[18:19], s[6:7]
	s_mov_b32 s6, 0x8b207f05
	s_mov_b32 s7, 0xbfb110e4
	v_add_f64 v[18:19], v[28:29], v[20:21]
	v_add_f64 v[22:23], v[26:27], v[10:11]
	v_fma_f64 v[14:15], v[16:17], v[14:15], s[6:7]
	s_mov_b32 s6, 0x57b87036
	s_mov_b32 s7, 0x3fb3b136
	v_add_f64 v[28:29], v[18:19], -v[28:29]
	v_add_f64 v[24:25], v[18:19], v[22:23]
	v_add_f64 v[26:27], v[22:23], -v[26:27]
	v_fma_f64 v[14:15], v[16:17], v[14:15], s[6:7]
	s_mov_b32 s6, 0x19378e4f
	s_mov_b32 s7, 0xbfb745d1
	v_add_f64 v[20:21], v[20:21], -v[28:29]
	v_add_f64 v[30:31], v[24:25], -v[18:19]
	;; [unrolled: 1-line block ×3, first 2 shown]
	v_fma_f64 v[14:15], v[16:17], v[14:15], s[6:7]
	s_mov_b32 s6, 0x17e1913c
	s_mov_b32 s7, 0x3fbc71c7
	v_add_f64 v[32:33], v[24:25], -v[30:31]
	v_add_f64 v[22:23], v[22:23], -v[30:31]
	v_add_f64 v[26:27], v[20:21], v[10:11]
	v_fma_f64 v[14:15], v[16:17], v[14:15], s[6:7]
	s_mov_b32 s6, 0x92376b7d
	s_mov_b32 s7, 0xbfc24924
	v_add_f64 v[18:19], v[18:19], -v[32:33]
	v_fma_f64 v[14:15], v[16:17], v[14:15], s[6:7]
	s_mov_b32 s6, 0x999952cc
	s_mov_b32 s7, 0x3fc99999
	v_add_f64 v[18:19], v[22:23], v[18:19]
	v_add_f64 v[22:23], v[26:27], -v[20:21]
	v_fma_f64 v[14:15], v[16:17], v[14:15], s[6:7]
	s_mov_b32 s6, 0x55555523
	s_mov_b32 s7, 0xbfd55555
	v_add_f64 v[18:19], v[26:27], v[18:19]
	v_add_f64 v[26:27], v[26:27], -v[22:23]
	v_add_f64 v[10:11], v[10:11], -v[22:23]
	v_fma_f64 v[14:15], v[16:17], v[14:15], s[6:7]
	s_mov_b32 s6, 0x54442d18
	s_mov_b32 s7, 0x3ff921fb
	v_add_f64 v[28:29], v[24:25], v[18:19]
	v_mul_f64 v[14:15], v[16:17], v[14:15]
	v_add_f64 v[16:17], v[20:21], -v[26:27]
	v_add_f64 v[20:21], v[28:29], -v[24:25]
	v_fma_f64 v[12:13], v[12:13], v[14:15], v[12:13]
	v_add_f64 v[10:11], v[10:11], v[16:17]
	v_add_f64 v[14:15], v[18:19], -v[20:21]
	v_add_f64 v[16:17], -v[12:13], s[6:7]
	s_mov_b32 s7, 0x400921fb
	v_add_f64 v[10:11], v[10:11], v[14:15]
	v_cndmask_b32_e64 v13, v13, v17, s4
	v_cndmask_b32_e64 v12, v12, v16, s4
	v_ashrrev_i32_e32 v17, 31, v1
	v_mov_b32_e32 v16, 0x7f3321d2
	v_add_f64 v[14:15], -v[12:13], s[6:7]
	v_cmp_nge_f64_e64 s6, -1.0, v[8:9]
	v_cmp_neq_f64_e64 s7, 0x7ff00000, v[8:9]
	v_and_b32_e32 v18, 0x54442d18, v17
	v_and_b32_e32 v1, 0x400921fb, v17
	v_cndmask_b32_e32 v16, 0x54442d18, v16, vcc_lo
	v_add_f64 v[10:11], v[28:29], v[10:11]
	v_cndmask_b32_e32 v12, v12, v14, vcc_lo
	v_cndmask_b32_e32 v13, v13, v15, vcc_lo
	v_cmp_ngt_f64_e32 vcc_lo, -1.0, v[8:9]
	v_cndmask_b32_e64 v14, v12, v18, s5
	v_cndmask_b32_e64 v1, v13, v1, s5
	s_and_b32 s5, s6, s7
	v_mul_f64 v[10:11], v[10:11], 0.5
	v_cndmask_b32_e64 v12, 0, v10, s5
	v_cmp_neq_f64_e64 s5, -1.0, v[8:9]
	v_cndmask_b32_e64 v11, 0x7ff00000, v11, s7
	v_cndmask_b32_e32 v11, 0x7ff80000, v11, vcc_lo
	s_and_b32 vcc_lo, s10, s9
	v_cndmask_b32_e32 v15, v1, v0, vcc_lo
	v_cndmask_b32_e32 v14, v14, v16, vcc_lo
                                        ; implicit-def: $vgpr0_vgpr1
                                        ; implicit-def: $vgpr16_vgpr17
	v_cndmask_b32_e64 v13, 0xfff00000, v11, s5
                                        ; implicit-def: $vgpr10_vgpr11
.LBB79_6:
	s_andn2_saveexec_b32 s18, s8
	s_cbranch_execz .LBB79_14
; %bb.7:
	v_mul_f64 v[8:9], v[10:11], v[10:11]
	s_mov_b32 s6, 0x66666666
	s_mov_b32 s7, 0x3fe66666
                                        ; implicit-def: $vgpr12_vgpr13
                                        ; implicit-def: $vgpr14_vgpr15
	s_mov_b32 s5, exec_lo
	v_fma_f64 v[8:9], v[16:17], v[16:17], v[8:9]
	v_cmpx_ge_f64_e32 s[6:7], v[8:9]
	s_xor_b32 s8, exec_lo, s5
	s_cbranch_execz .LBB79_9
; %bb.8:
	v_frexp_mant_f64_e32 v[10:11], v[8:9]
	s_mov_b32 s7, 0x3fe55555
	s_mov_b32 s6, 0x55555555
	v_max_f64 v[20:21], |v[0:1]|, |v[0:1]|
	s_mov_b32 s10, 0xbd3237f4
	s_mov_b32 s12, 0xb5e68a13
	;; [unrolled: 1-line block ×4, first 2 shown]
	v_cmp_class_f64_e64 s9, v[0:1], 0x204
	v_cmp_gt_f64_e64 s5, s[6:7], v[10:11]
	s_mov_b32 s6, 0x55555780
	v_cndmask_b32_e64 v12, 0, 1, s5
	v_ldexp_f64 v[10:11], v[10:11], v12
	v_add_f64 v[12:13], v[10:11], 1.0
	v_add_f64 v[18:19], v[10:11], -1.0
	v_rcp_f64_e32 v[14:15], v[12:13]
	v_fma_f64 v[16:17], -v[12:13], v[14:15], 1.0
	v_fma_f64 v[14:15], v[16:17], v[14:15], v[14:15]
	v_fma_f64 v[16:17], -v[12:13], v[14:15], 1.0
	v_fma_f64 v[14:15], v[16:17], v[14:15], v[14:15]
	v_max_f64 v[16:17], |v[2:3]|, |v[2:3]|
	v_mul_f64 v[22:23], v[18:19], v[14:15]
	v_max_f64 v[24:25], v[20:21], v[16:17]
	v_min_f64 v[16:17], v[20:21], v[16:17]
	v_add_f64 v[20:21], v[12:13], -1.0
	v_mul_f64 v[26:27], v[12:13], v[22:23]
	v_div_scale_f64 v[28:29], null, v[24:25], v[24:25], v[16:17]
	v_add_f64 v[10:11], v[10:11], -v[20:21]
	v_div_scale_f64 v[34:35], vcc_lo, v[16:17], v[24:25], v[16:17]
	v_fma_f64 v[12:13], v[22:23], v[12:13], -v[26:27]
	v_rcp_f64_e32 v[20:21], v[28:29]
	v_fma_f64 v[10:11], v[22:23], v[10:11], v[12:13]
	v_fma_f64 v[12:13], -v[28:29], v[20:21], 1.0
	v_add_f64 v[30:31], v[26:27], v[10:11]
	v_fma_f64 v[12:13], v[20:21], v[12:13], v[20:21]
	v_add_f64 v[20:21], v[18:19], -v[30:31]
	v_add_f64 v[26:27], v[30:31], -v[26:27]
	v_fma_f64 v[32:33], -v[28:29], v[12:13], 1.0
	v_add_f64 v[18:19], v[18:19], -v[20:21]
	v_add_f64 v[10:11], v[26:27], -v[10:11]
	v_fma_f64 v[12:13], v[12:13], v[32:33], v[12:13]
	v_add_f64 v[18:19], v[18:19], -v[30:31]
	v_mul_f64 v[26:27], v[34:35], v[12:13]
	v_add_f64 v[10:11], v[10:11], v[18:19]
	v_fma_f64 v[18:19], -v[28:29], v[26:27], v[34:35]
	v_frexp_exp_i32_f64_e32 v28, v[8:9]
	v_add_f64 v[10:11], v[20:21], v[10:11]
	v_div_fmas_f64 v[12:13], v[18:19], v[12:13], v[26:27]
	v_cmp_gt_i32_e32 vcc_lo, 0, v1
	v_mul_f64 v[10:11], v[14:15], v[10:11]
	v_div_fixup_f64 v[12:13], v[12:13], v[24:25], v[16:17]
	v_add_f64 v[14:15], v[22:23], v[10:11]
	v_mul_f64 v[16:17], v[12:13], v[12:13]
	v_mul_f64 v[18:19], v[14:15], v[14:15]
	v_fma_f64 v[20:21], v[16:17], s[12:13], s[10:11]
	s_mov_b32 s10, 0x6b47b09a
	s_mov_b32 s12, 0xbf559e2b
	s_mov_b32 s11, 0x3fc38538
	s_mov_b32 s13, 0x3fc3ab76
	v_fma_f64 v[24:25], v[18:19], s[12:13], s[10:11]
	s_mov_b32 s10, 0x69efb384
	s_mov_b32 s11, 0x3f4b2bb0
	v_mul_f64 v[26:27], v[14:15], v[18:19]
	v_fma_f64 v[20:21], v[16:17], v[20:21], s[10:11]
	s_mov_b32 s10, 0xd7f4df2e
	s_mov_b32 s11, 0x3fc7474d
	v_fma_f64 v[24:25], v[18:19], v[24:25], s[10:11]
	s_mov_b32 s10, 0xaf56de9b
	s_mov_b32 s11, 0xbf67952d
	;; [unrolled: 3-line block ×10, first 2 shown]
	v_ldexp_f64 v[24:25], v[14:15], 1
	v_fma_f64 v[20:21], v[16:17], v[20:21], s[6:7]
	s_mov_b32 s6, 0x5711927a
	s_mov_b32 s7, 0x3fa2c15b
	v_add_f64 v[14:15], v[14:15], -v[22:23]
	v_mul_f64 v[18:19], v[26:27], v[18:19]
	v_subrev_co_ci_u32_e64 v26, null, 0, v28, s5
	v_cmp_eq_f64_e64 s5, 0, v[2:3]
	v_fma_f64 v[20:21], v[16:17], v[20:21], s[6:7]
	s_mov_b32 s6, 0xe82d3ff0
	v_cvt_f64_i32_e32 v[26:27], v26
	s_mov_b32 s7, 0xbfa59976
	v_add_f64 v[10:11], v[10:11], -v[14:15]
	v_add_f64 v[22:23], v[24:25], v[18:19]
	v_fma_f64 v[20:21], v[16:17], v[20:21], s[6:7]
	s_mov_b32 s6, 0xfefa39ef
	s_mov_b32 s7, 0x3fe62e42
	v_mul_f64 v[28:29], v[26:27], s[6:7]
	v_ldexp_f64 v[10:11], v[10:11], 1
	v_add_f64 v[14:15], v[22:23], -v[24:25]
	v_fma_f64 v[20:21], v[16:17], v[20:21], s[10:11]
	v_fma_f64 v[24:25], v[26:27], s[6:7], -v[28:29]
	s_mov_b32 s6, 0x6a214619
	s_mov_b32 s7, 0xbfaae5ce
	v_add_f64 v[14:15], v[18:19], -v[14:15]
	v_fma_f64 v[18:19], v[16:17], v[20:21], s[6:7]
	s_mov_b32 s6, 0x3b39803f
	s_mov_b32 s7, 0x3c7abc9e
	v_fma_f64 v[20:21], v[26:27], s[6:7], v[24:25]
	s_mov_b32 s6, 0x8427b883
	s_mov_b32 s7, 0x3fae1bb4
	v_add_f64 v[10:11], v[10:11], v[14:15]
	v_fma_f64 v[14:15], v[16:17], v[18:19], s[6:7]
	s_mov_b32 s6, 0x8b207f05
	s_mov_b32 s7, 0xbfb110e4
	v_add_f64 v[18:19], v[28:29], v[20:21]
	v_add_f64 v[24:25], v[22:23], v[10:11]
	v_fma_f64 v[14:15], v[16:17], v[14:15], s[6:7]
	s_mov_b32 s6, 0x57b87036
	s_mov_b32 s7, 0x3fb3b136
	v_add_f64 v[28:29], v[18:19], -v[28:29]
	v_add_f64 v[26:27], v[18:19], v[24:25]
	v_add_f64 v[22:23], v[24:25], -v[22:23]
	v_fma_f64 v[14:15], v[16:17], v[14:15], s[6:7]
	s_mov_b32 s6, 0x19378e4f
	s_mov_b32 s7, 0xbfb745d1
	v_add_f64 v[20:21], v[20:21], -v[28:29]
	v_add_f64 v[30:31], v[26:27], -v[18:19]
	;; [unrolled: 1-line block ×3, first 2 shown]
	v_fma_f64 v[14:15], v[16:17], v[14:15], s[6:7]
	s_mov_b32 s6, 0x17e1913c
	s_mov_b32 s7, 0x3fbc71c7
	v_add_f64 v[32:33], v[26:27], -v[30:31]
	v_add_f64 v[22:23], v[24:25], -v[30:31]
	v_add_f64 v[24:25], v[20:21], v[10:11]
	v_fma_f64 v[14:15], v[16:17], v[14:15], s[6:7]
	s_mov_b32 s6, 0x92376b7d
	s_mov_b32 s7, 0xbfc24924
	v_add_f64 v[18:19], v[18:19], -v[32:33]
	v_fma_f64 v[14:15], v[16:17], v[14:15], s[6:7]
	s_mov_b32 s6, 0x999952cc
	s_mov_b32 s7, 0x3fc99999
	v_add_f64 v[18:19], v[22:23], v[18:19]
	v_add_f64 v[22:23], v[24:25], -v[20:21]
	v_fma_f64 v[14:15], v[16:17], v[14:15], s[6:7]
	s_mov_b32 s6, 0x55555523
	s_mov_b32 s7, 0xbfd55555
	v_add_f64 v[18:19], v[24:25], v[18:19]
	v_add_f64 v[24:25], v[24:25], -v[22:23]
	v_add_f64 v[10:11], v[10:11], -v[22:23]
	v_fma_f64 v[14:15], v[16:17], v[14:15], s[6:7]
	s_mov_b32 s6, 0x54442d18
	s_mov_b32 s7, 0x3ff921fb
	v_add_f64 v[28:29], v[26:27], v[18:19]
	v_mul_f64 v[14:15], v[16:17], v[14:15]
	v_add_f64 v[16:17], v[20:21], -v[24:25]
	v_add_f64 v[20:21], v[28:29], -v[26:27]
	v_fma_f64 v[12:13], v[12:13], v[14:15], v[12:13]
	v_add_f64 v[10:11], v[10:11], v[16:17]
	v_add_f64 v[14:15], v[18:19], -v[20:21]
	v_add_f64 v[16:17], -v[12:13], s[6:7]
	s_mov_b32 s7, 0x400921fb
	v_add_f64 v[10:11], v[10:11], v[14:15]
	v_cndmask_b32_e64 v13, v13, v17, s4
	v_cndmask_b32_e64 v12, v12, v16, s4
	v_ashrrev_i32_e32 v17, 31, v1
	v_mov_b32_e32 v16, 0x7f3321d2
	v_add_f64 v[14:15], -v[12:13], s[6:7]
	v_cmp_class_f64_e64 s7, v[2:3], 0x204
	v_cmp_neq_f64_e64 s6, 0, v[8:9]
	v_mov_b32_e32 v8, 0x4002d97c
	v_and_b32_e32 v18, 0x54442d18, v17
	v_and_b32_e32 v9, 0x400921fb, v17
	v_cndmask_b32_e32 v16, 0x54442d18, v16, vcc_lo
	v_cndmask_b32_e32 v8, 0x3fe921fb, v8, vcc_lo
	v_add_f64 v[10:11], v[28:29], v[10:11]
	v_bfi_b32 v8, 0x7fffffff, v8, v3
	v_cndmask_b32_e32 v12, v12, v14, vcc_lo
	v_mul_f64 v[0:1], v[10:11], 0.5
	v_cndmask_b32_e32 v10, v13, v15, vcc_lo
	v_cndmask_b32_e64 v11, v12, v18, s5
	s_and_b32 vcc_lo, s9, s7
	v_cndmask_b32_e64 v9, v10, v9, s5
	v_cndmask_b32_e32 v14, v11, v16, vcc_lo
                                        ; implicit-def: $vgpr16_vgpr17
                                        ; implicit-def: $vgpr10_vgpr11
	v_cndmask_b32_e32 v15, v9, v8, vcc_lo
	v_cndmask_b32_e64 v13, 0xfff00000, v1, s6
	v_cndmask_b32_e64 v12, 0, v0, s6
                                        ; implicit-def: $vgpr0_vgpr1
.LBB79_9:
	s_andn2_saveexec_b32 s19, s8
	s_cbranch_execz .LBB79_13
; %bb.10:
	v_mov_b32_e32 v8, 0
	v_and_b32_e32 v9, 0x7ffffff8, v17
	v_and_b32_e32 v13, 0x7ffffff8, v11
	s_mov_b32 s20, 0
	v_mov_b32_e32 v12, v8
	v_add_f64 v[14:15], v[16:17], -v[8:9]
	v_mov_b32_e32 v18, v8
	v_mov_b32_e32 v22, v8
	v_add_f64 v[26:27], v[8:9], v[8:9]
	v_add_f64 v[10:11], v[10:11], -v[12:13]
	v_add_f64 v[30:31], v[12:13], v[12:13]
	v_mul_f64 v[8:9], v[8:9], v[8:9]
	v_mul_f64 v[16:17], v[12:13], v[12:13]
	v_and_b32_e32 v19, -8, v15
	v_and_b32_e32 v23, -8, v11
	v_add_f64 v[28:29], v[14:15], -v[18:19]
	v_add_f64 v[32:33], v[18:19], v[18:19]
	v_mul_f64 v[24:25], v[26:27], v[18:19]
	v_mul_f64 v[14:15], v[18:19], v[18:19]
	v_add_f64 v[34:35], v[10:11], -v[22:23]
	v_add_f64 v[36:37], v[22:23], v[22:23]
	v_mul_f64 v[20:21], v[30:31], v[22:23]
	v_mul_f64 v[12:13], v[22:23], v[22:23]
	;; [unrolled: 1-line block ×8, first 2 shown]
.LBB79_11:                              ; =>This Inner Loop Header: Depth=1
	v_cmp_nlt_f64_e32 vcc_lo, v[8:9], v[16:17]
	v_cndmask_b32_e32 v33, v9, v17, vcc_lo
	v_cndmask_b32_e32 v32, v8, v16, vcc_lo
	v_cndmask_b32_e32 v9, v17, v9, vcc_lo
	v_cndmask_b32_e32 v8, v16, v8, vcc_lo
	v_cmp_nlt_f64_e64 s5, v[32:33], v[24:25]
	v_cndmask_b32_e64 v35, v33, v25, s5
	v_cndmask_b32_e64 v34, v32, v24, s5
	;; [unrolled: 1-line block ×4, first 2 shown]
	s_and_b32 s5, vcc_lo, s5
	v_cmp_nlt_f64_e64 s6, v[34:35], v[20:21]
	v_cndmask_b32_e64 v37, v35, v21, s6
	v_cndmask_b32_e64 v36, v34, v20, s6
	;; [unrolled: 1-line block ×4, first 2 shown]
	v_cmp_nlt_f64_e64 s7, v[36:37], v[14:15]
	v_cndmask_b32_e64 v39, v37, v15, s7
	v_cndmask_b32_e64 v38, v36, v14, s7
	;; [unrolled: 1-line block ×4, first 2 shown]
	s_and_b32 s6, s6, s7
	v_cmp_nlt_f64_e64 s8, v[38:39], v[12:13]
	v_cndmask_b32_e64 v49, v39, v13, s8
	v_cndmask_b32_e64 v48, v38, v12, s8
	;; [unrolled: 1-line block ×4, first 2 shown]
	v_cmp_nlt_f64_e64 s9, v[48:49], v[18:19]
	v_cndmask_b32_e64 v51, v49, v19, s9
	v_cndmask_b32_e64 v50, v48, v18, s9
	s_and_b32 s7, s8, s9
	v_cndmask_b32_e64 v13, v19, v49, s9
	v_cndmask_b32_e64 v12, v18, v48, s9
	v_cmp_nlt_f64_e64 s10, v[50:51], v[26:27]
	v_cndmask_b32_e64 v53, v51, v27, s10
	v_cndmask_b32_e64 v52, v50, v26, s10
	s_and_b32 s7, s7, s10
	v_cndmask_b32_e64 v19, v27, v51, s10
	v_cndmask_b32_e64 v18, v26, v50, s10
	;; [unrolled: 6-line block ×5, first 2 shown]
	v_cmp_nlt_f64_e32 vcc_lo, v[66:67], v[30:31]
	v_cndmask_b32_e32 v32, v66, v30, vcc_lo
	v_cndmask_b32_e32 v33, v67, v31, vcc_lo
	s_and_b32 s7, s7, vcc_lo
	v_cndmask_b32_e32 v29, v31, v67, vcc_lo
	s_and_b32 s6, s7, s6
	v_cndmask_b32_e32 v28, v30, v66, vcc_lo
	s_and_b32 s5, s6, s5
	v_mov_b32_e32 v30, v32
	v_mov_b32_e32 v31, v33
	s_and_b32 s5, exec_lo, s5
	s_or_b32 s20, s5, s20
	s_andn2_b32 exec_lo, exec_lo, s20
	s_cbranch_execnz .LBB79_11
; %bb.12:
	s_or_b32 exec_lo, exec_lo, s20
	v_add_f64 v[8:9], v[8:9], -1.0
	s_mov_b32 s7, 0x3fe55555
	s_mov_b32 s6, 0x55555555
	s_mov_b32 s8, 0xbd3237f4
	s_mov_b32 s10, 0xb5e68a13
	s_mov_b32 s9, 0xbf23e260
	s_mov_b32 s11, 0x3eeba404
	s_mov_b32 s12, 0x6b47b09a
	s_mov_b32 s13, 0x3fc38538
	v_cmp_eq_f64_e64 s5, 0, v[2:3]
	v_add_f64 v[8:9], v[8:9], v[16:17]
	v_add_f64 v[8:9], v[8:9], v[24:25]
	;; [unrolled: 1-line block ×11, first 2 shown]
	v_add_f64 v[10:11], v[8:9], 1.0
	v_frexp_mant_f64_e32 v[12:13], v[10:11]
	v_frexp_exp_i32_f64_e32 v16, v[10:11]
	v_add_f64 v[14:15], v[10:11], -1.0
	v_cmp_gt_f64_e32 vcc_lo, s[6:7], v[12:13]
	s_mov_b32 s6, 0x55555780
	v_add_f64 v[12:13], v[14:15], -v[10:11]
	v_add_f64 v[14:15], v[8:9], -v[14:15]
	v_subrev_co_ci_u32_e64 v48, null, 0, v16, vcc_lo
	v_add_f64 v[12:13], v[12:13], 1.0
	v_sub_nc_u32_e32 v18, 0, v48
	v_ldexp_f64 v[10:11], v[10:11], v18
	v_add_f64 v[12:13], v[14:15], v[12:13]
	v_add_f64 v[16:17], v[10:11], 1.0
	v_add_f64 v[22:23], v[10:11], -1.0
	v_ldexp_f64 v[12:13], v[12:13], v18
	v_add_f64 v[14:15], v[16:17], -1.0
	v_add_f64 v[24:25], v[22:23], 1.0
	v_add_f64 v[14:15], v[10:11], -v[14:15]
	v_add_f64 v[10:11], v[10:11], -v[24:25]
	v_add_f64 v[14:15], v[12:13], v[14:15]
	v_add_f64 v[10:11], v[12:13], v[10:11]
	;; [unrolled: 1-line block ×4, first 2 shown]
	v_rcp_f64_e32 v[20:21], v[18:19]
	v_add_f64 v[16:17], v[18:19], -v[16:17]
	v_add_f64 v[22:23], v[24:25], -v[22:23]
	;; [unrolled: 1-line block ×3, first 2 shown]
	v_fma_f64 v[26:27], -v[18:19], v[20:21], 1.0
	v_add_f64 v[10:11], v[10:11], -v[22:23]
	v_fma_f64 v[20:21], v[26:27], v[20:21], v[20:21]
	v_fma_f64 v[12:13], -v[18:19], v[20:21], 1.0
	v_fma_f64 v[12:13], v[12:13], v[20:21], v[20:21]
	v_mul_f64 v[20:21], v[24:25], v[12:13]
	v_mul_f64 v[26:27], v[18:19], v[20:21]
	v_fma_f64 v[16:17], v[20:21], v[18:19], -v[26:27]
	v_fma_f64 v[16:17], v[20:21], v[14:15], v[16:17]
	v_add_f64 v[28:29], v[26:27], v[16:17]
	v_add_f64 v[30:31], v[24:25], -v[28:29]
	v_add_f64 v[22:23], v[28:29], -v[26:27]
	v_max_f64 v[26:27], |v[2:3]|, |v[2:3]|
	v_add_f64 v[24:25], v[24:25], -v[30:31]
	v_add_f64 v[16:17], v[22:23], -v[16:17]
	;; [unrolled: 1-line block ×3, first 2 shown]
	v_max_f64 v[28:29], |v[0:1]|, |v[0:1]|
	v_add_f64 v[10:11], v[10:11], v[24:25]
	v_max_f64 v[32:33], v[28:29], v[26:27]
	v_min_f64 v[26:27], v[28:29], v[26:27]
	v_add_f64 v[10:11], v[16:17], v[10:11]
	v_add_f64 v[16:17], v[30:31], v[10:11]
	v_mul_f64 v[22:23], v[12:13], v[16:17]
	v_add_f64 v[30:31], v[30:31], -v[16:17]
	v_mul_f64 v[24:25], v[18:19], v[22:23]
	v_add_f64 v[10:11], v[10:11], v[30:31]
	v_fma_f64 v[18:19], v[22:23], v[18:19], -v[24:25]
	v_fma_f64 v[14:15], v[22:23], v[14:15], v[18:19]
	v_div_scale_f64 v[18:19], null, v[32:33], v[32:33], v[26:27]
	v_add_f64 v[28:29], v[24:25], v[14:15]
	v_rcp_f64_e32 v[34:35], v[18:19]
	v_add_f64 v[36:37], v[16:17], -v[28:29]
	v_add_f64 v[24:25], v[28:29], -v[24:25]
	v_fma_f64 v[38:39], -v[18:19], v[34:35], 1.0
	v_add_f64 v[16:17], v[16:17], -v[36:37]
	v_add_f64 v[14:15], v[24:25], -v[14:15]
	v_fma_f64 v[34:35], v[34:35], v[38:39], v[34:35]
	v_add_f64 v[16:17], v[16:17], -v[28:29]
	v_fma_f64 v[28:29], -v[18:19], v[34:35], 1.0
	v_add_f64 v[10:11], v[10:11], v[16:17]
	v_div_scale_f64 v[16:17], vcc_lo, v[26:27], v[32:33], v[26:27]
	v_fma_f64 v[24:25], v[34:35], v[28:29], v[34:35]
	v_add_f64 v[28:29], v[20:21], v[22:23]
	v_add_f64 v[10:11], v[14:15], v[10:11]
	v_mul_f64 v[14:15], v[16:17], v[24:25]
	v_add_f64 v[20:21], v[28:29], -v[20:21]
	v_add_f64 v[10:11], v[36:37], v[10:11]
	v_fma_f64 v[16:17], -v[18:19], v[14:15], v[16:17]
	v_add_f64 v[18:19], v[22:23], -v[20:21]
	v_mul_f64 v[10:11], v[12:13], v[10:11]
	v_div_fmas_f64 v[12:13], v[16:17], v[24:25], v[14:15]
	v_cmp_gt_i32_e32 vcc_lo, 0, v1
	v_add_f64 v[10:11], v[18:19], v[10:11]
	v_div_fixup_f64 v[12:13], v[12:13], v[32:33], v[26:27]
	v_add_f64 v[14:15], v[28:29], v[10:11]
	v_mul_f64 v[16:17], v[12:13], v[12:13]
	v_mul_f64 v[18:19], v[14:15], v[14:15]
	v_fma_f64 v[20:21], v[16:17], s[10:11], s[8:9]
	s_mov_b32 s8, 0xbf559e2b
	s_mov_b32 s9, 0x3fc3ab76
	v_fma_f64 v[22:23], v[18:19], s[8:9], s[12:13]
	s_mov_b32 s8, 0x69efb384
	s_mov_b32 s9, 0x3f4b2bb0
	v_mul_f64 v[24:25], v[14:15], v[18:19]
	v_fma_f64 v[20:21], v[16:17], v[20:21], s[8:9]
	s_mov_b32 s8, 0xd7f4df2e
	s_mov_b32 s9, 0x3fc7474d
	v_fma_f64 v[22:23], v[18:19], v[22:23], s[8:9]
	s_mov_b32 s8, 0xaf56de9b
	s_mov_b32 s9, 0xbf67952d
	;; [unrolled: 3-line block ×10, first 2 shown]
	v_ldexp_f64 v[22:23], v[14:15], 1
	v_fma_f64 v[20:21], v[16:17], v[20:21], s[6:7]
	s_mov_b32 s6, 0x5711927a
	s_mov_b32 s7, 0x3fa2c15b
	v_add_f64 v[14:15], v[14:15], -v[28:29]
	v_mul_f64 v[18:19], v[24:25], v[18:19]
	v_cvt_f64_i32_e32 v[24:25], v48
	v_fma_f64 v[20:21], v[16:17], v[20:21], s[6:7]
	s_mov_b32 s6, 0xe82d3ff0
	s_mov_b32 s7, 0xbfa59976
	v_add_f64 v[10:11], v[10:11], -v[14:15]
	v_add_f64 v[26:27], v[22:23], v[18:19]
	v_mul_f64 v[28:29], v[24:25], s[8:9]
	v_fma_f64 v[20:21], v[16:17], v[20:21], s[6:7]
	s_mov_b32 s6, 0x6ef28734
	s_mov_b32 s7, 0x3fa82d5d
	v_ldexp_f64 v[10:11], v[10:11], 1
	v_add_f64 v[14:15], v[26:27], -v[22:23]
	v_fma_f64 v[22:23], v[24:25], s[8:9], -v[28:29]
	v_cmp_class_f64_e64 s9, v[0:1], 0x204
	v_mov_b32_e32 v0, 0x4002d97c
	v_fma_f64 v[20:21], v[16:17], v[20:21], s[6:7]
	s_mov_b32 s6, 0x6a214619
	s_mov_b32 s7, 0xbfaae5ce
	v_cmp_class_f64_e64 s8, v[2:3], 0x204
	v_cndmask_b32_e32 v0, 0x3fe921fb, v0, vcc_lo
	v_bfi_b32 v0, 0x7fffffff, v0, v3
	v_add_f64 v[14:15], v[18:19], -v[14:15]
	v_fma_f64 v[18:19], v[16:17], v[20:21], s[6:7]
	s_mov_b32 s6, 0x3b39803f
	s_mov_b32 s7, 0x3c7abc9e
	v_fma_f64 v[20:21], v[24:25], s[6:7], v[22:23]
	s_mov_b32 s6, 0x8427b883
	s_mov_b32 s7, 0x3fae1bb4
	v_add_f64 v[10:11], v[10:11], v[14:15]
	v_fma_f64 v[14:15], v[16:17], v[18:19], s[6:7]
	s_mov_b32 s6, 0x8b207f05
	s_mov_b32 s7, 0xbfb110e4
	v_add_f64 v[18:19], v[28:29], v[20:21]
	v_add_f64 v[22:23], v[26:27], v[10:11]
	v_fma_f64 v[14:15], v[16:17], v[14:15], s[6:7]
	s_mov_b32 s6, 0x57b87036
	s_mov_b32 s7, 0x3fb3b136
	v_add_f64 v[28:29], v[18:19], -v[28:29]
	v_add_f64 v[24:25], v[18:19], v[22:23]
	v_add_f64 v[26:27], v[22:23], -v[26:27]
	v_fma_f64 v[14:15], v[16:17], v[14:15], s[6:7]
	s_mov_b32 s6, 0x19378e4f
	s_mov_b32 s7, 0xbfb745d1
	v_add_f64 v[20:21], v[20:21], -v[28:29]
	v_add_f64 v[30:31], v[24:25], -v[18:19]
	;; [unrolled: 1-line block ×3, first 2 shown]
	v_fma_f64 v[14:15], v[16:17], v[14:15], s[6:7]
	s_mov_b32 s6, 0x17e1913c
	s_mov_b32 s7, 0x3fbc71c7
	v_add_f64 v[32:33], v[24:25], -v[30:31]
	v_add_f64 v[22:23], v[22:23], -v[30:31]
	v_add_f64 v[26:27], v[20:21], v[10:11]
	v_fma_f64 v[14:15], v[16:17], v[14:15], s[6:7]
	s_mov_b32 s6, 0x92376b7d
	s_mov_b32 s7, 0xbfc24924
	v_add_f64 v[18:19], v[18:19], -v[32:33]
	v_fma_f64 v[14:15], v[16:17], v[14:15], s[6:7]
	s_mov_b32 s6, 0x999952cc
	s_mov_b32 s7, 0x3fc99999
	v_add_f64 v[18:19], v[22:23], v[18:19]
	v_add_f64 v[22:23], v[26:27], -v[20:21]
	v_fma_f64 v[14:15], v[16:17], v[14:15], s[6:7]
	s_mov_b32 s6, 0x55555523
	s_mov_b32 s7, 0xbfd55555
	v_add_f64 v[18:19], v[26:27], v[18:19]
	v_add_f64 v[26:27], v[26:27], -v[22:23]
	v_add_f64 v[10:11], v[10:11], -v[22:23]
	v_fma_f64 v[14:15], v[16:17], v[14:15], s[6:7]
	s_mov_b32 s6, 0x54442d18
	s_mov_b32 s7, 0x3ff921fb
	v_add_f64 v[28:29], v[24:25], v[18:19]
	v_mul_f64 v[14:15], v[16:17], v[14:15]
	v_add_f64 v[16:17], v[20:21], -v[26:27]
	v_add_f64 v[20:21], v[28:29], -v[24:25]
	v_fma_f64 v[12:13], v[12:13], v[14:15], v[12:13]
	v_add_f64 v[10:11], v[10:11], v[16:17]
	v_add_f64 v[14:15], v[18:19], -v[20:21]
	v_add_f64 v[16:17], -v[12:13], s[6:7]
	s_mov_b32 s7, 0x400921fb
	v_add_f64 v[10:11], v[10:11], v[14:15]
	v_cndmask_b32_e64 v13, v13, v17, s4
	v_cndmask_b32_e64 v12, v12, v16, s4
	v_ashrrev_i32_e32 v17, 31, v1
	v_mov_b32_e32 v16, 0x7f3321d2
	v_add_f64 v[14:15], -v[12:13], s[6:7]
	v_cmp_nge_f64_e64 s6, -1.0, v[8:9]
	v_cmp_neq_f64_e64 s7, 0x7ff00000, v[8:9]
	v_and_b32_e32 v18, 0x54442d18, v17
	v_and_b32_e32 v1, 0x400921fb, v17
	v_cndmask_b32_e32 v16, 0x54442d18, v16, vcc_lo
	v_add_f64 v[10:11], v[28:29], v[10:11]
	v_cndmask_b32_e32 v12, v12, v14, vcc_lo
	v_cndmask_b32_e32 v13, v13, v15, vcc_lo
	v_cmp_ngt_f64_e32 vcc_lo, -1.0, v[8:9]
	v_cndmask_b32_e64 v14, v12, v18, s5
	v_cndmask_b32_e64 v1, v13, v1, s5
	s_and_b32 s5, s6, s7
	v_mul_f64 v[10:11], v[10:11], 0.5
	v_cndmask_b32_e64 v12, 0, v10, s5
	v_cmp_neq_f64_e64 s5, -1.0, v[8:9]
	v_cndmask_b32_e64 v11, 0x7ff00000, v11, s7
	v_cndmask_b32_e32 v11, 0x7ff80000, v11, vcc_lo
	s_and_b32 vcc_lo, s9, s8
	v_cndmask_b32_e32 v15, v1, v0, vcc_lo
	v_cndmask_b32_e32 v14, v14, v16, vcc_lo
	v_cndmask_b32_e64 v13, 0xfff00000, v11, s5
.LBB79_13:
	s_or_b32 exec_lo, exec_lo, s19
.LBB79_14:
	s_or_b32 exec_lo, exec_lo, s18
                                        ; implicit-def: $vgpr0_vgpr1
.LBB79_15:
	s_andn2_saveexec_b32 s8, s17
	s_cbranch_execz .LBB79_17
; %bb.16:
	v_max_f64 v[8:9], |v[2:3]|, |v[2:3]|
	v_max_f64 v[10:11], |v[0:1]|, |v[0:1]|
	v_cmp_class_f64_e64 s9, v[0:1], 0x204
	v_cmp_class_f64_e64 s10, v[2:3], 0x204
	s_mov_b32 s7, 0x3fe55555
	s_mov_b32 s6, 0x55555555
	;; [unrolled: 1-line block ×6, first 2 shown]
	v_max_f64 v[12:13], v[10:11], v[8:9]
	v_min_f64 v[8:9], v[10:11], v[8:9]
	s_or_b32 s5, s9, s10
	v_frexp_exp_i32_f64_e32 v22, v[12:13]
	v_sub_nc_u32_e32 v16, 0, v22
	v_ldexp_f64 v[14:15], |v[2:3]|, v16
	v_ldexp_f64 v[16:17], |v[0:1]|, v16
	v_mul_f64 v[14:15], v[14:15], v[14:15]
	v_fma_f64 v[14:15], v[16:17], v[16:17], v[14:15]
	v_rsq_f64_e32 v[16:17], v[14:15]
	v_cmp_eq_f64_e32 vcc_lo, 0, v[14:15]
	v_mul_f64 v[18:19], v[14:15], v[16:17]
	v_mul_f64 v[16:17], v[16:17], 0.5
	v_fma_f64 v[20:21], -v[16:17], v[18:19], 0.5
	v_fma_f64 v[18:19], v[18:19], v[20:21], v[18:19]
	v_fma_f64 v[16:17], v[16:17], v[20:21], v[16:17]
	v_fma_f64 v[20:21], -v[18:19], v[18:19], v[14:15]
	v_fma_f64 v[16:17], v[20:21], v[16:17], v[18:19]
	v_cndmask_b32_e32 v15, v17, v15, vcc_lo
	v_cndmask_b32_e32 v14, v16, v14, vcc_lo
	v_div_scale_f64 v[34:35], vcc_lo, v[8:9], v[12:13], v[8:9]
	v_ldexp_f64 v[14:15], v[14:15], v22
	v_cndmask_b32_e64 v17, v15, 0x7ff00000, s5
	v_cndmask_b32_e64 v16, v14, 0, s5
	v_frexp_mant_f64_e32 v[14:15], v[16:17]
	v_cmp_gt_f64_e64 s5, s[6:7], v[14:15]
	s_mov_b32 s6, 0x55555780
	v_cndmask_b32_e64 v0, 0, 1, s5
	v_ldexp_f64 v[14:15], v[14:15], v0
	v_frexp_exp_i32_f64_e32 v0, v[16:17]
	v_add_f64 v[18:19], v[14:15], 1.0
	v_add_f64 v[24:25], v[14:15], -1.0
	v_subrev_co_ci_u32_e64 v0, null, 0, v0, s5
	v_cmp_class_f64_e64 s5, v[16:17], 0x204
	v_rcp_f64_e32 v[20:21], v[18:19]
	v_add_f64 v[26:27], v[18:19], -1.0
	v_add_f64 v[14:15], v[14:15], -v[26:27]
	v_fma_f64 v[22:23], -v[18:19], v[20:21], 1.0
	v_fma_f64 v[20:21], v[22:23], v[20:21], v[20:21]
	v_fma_f64 v[22:23], -v[18:19], v[20:21], 1.0
	v_fma_f64 v[20:21], v[22:23], v[20:21], v[20:21]
	v_div_scale_f64 v[22:23], null, v[12:13], v[12:13], v[8:9]
	v_mul_f64 v[10:11], v[24:25], v[20:21]
	v_rcp_f64_e32 v[30:31], v[22:23]
	v_mul_f64 v[28:29], v[18:19], v[10:11]
	v_fma_f64 v[26:27], -v[22:23], v[30:31], 1.0
	v_fma_f64 v[18:19], v[10:11], v[18:19], -v[28:29]
	v_fma_f64 v[14:15], v[10:11], v[14:15], v[18:19]
	v_fma_f64 v[18:19], v[30:31], v[26:27], v[30:31]
	v_add_f64 v[26:27], v[28:29], v[14:15]
	v_fma_f64 v[30:31], -v[22:23], v[18:19], 1.0
	v_add_f64 v[32:33], v[24:25], -v[26:27]
	v_fma_f64 v[18:19], v[18:19], v[30:31], v[18:19]
	v_add_f64 v[28:29], v[26:27], -v[28:29]
	v_add_f64 v[24:25], v[24:25], -v[32:33]
	v_mul_f64 v[30:31], v[34:35], v[18:19]
	v_add_f64 v[14:15], v[28:29], -v[14:15]
	v_add_f64 v[24:25], v[24:25], -v[26:27]
	v_fma_f64 v[22:23], -v[22:23], v[30:31], v[34:35]
	v_add_f64 v[14:15], v[14:15], v[24:25]
	v_div_fmas_f64 v[18:19], v[22:23], v[18:19], v[30:31]
	v_cmp_gt_i32_e32 vcc_lo, 0, v1
	v_add_f64 v[14:15], v[32:33], v[14:15]
	v_div_fixup_f64 v[8:9], v[18:19], v[12:13], v[8:9]
	v_mul_f64 v[12:13], v[20:21], v[14:15]
	v_mul_f64 v[14:15], v[8:9], v[8:9]
	v_add_f64 v[18:19], v[10:11], v[12:13]
	v_fma_f64 v[20:21], v[14:15], s[18:19], s[12:13]
	s_mov_b32 s18, 0x69efb384
	s_mov_b32 s19, 0x3f4b2bb0
	;; [unrolled: 1-line block ×4, first 2 shown]
	v_mul_f64 v[22:23], v[18:19], v[18:19]
	v_fma_f64 v[20:21], v[14:15], v[20:21], s[18:19]
	s_mov_b32 s18, 0xbf559e2b
	s_mov_b32 s19, 0x3fc3ab76
	v_add_f64 v[10:11], v[18:19], -v[10:11]
	v_fma_f64 v[24:25], v[22:23], s[18:19], s[12:13]
	s_mov_b32 s12, 0xaf56de9b
	s_mov_b32 s13, 0xbf67952d
	v_mul_f64 v[26:27], v[18:19], v[22:23]
	v_fma_f64 v[20:21], v[14:15], v[20:21], s[12:13]
	s_mov_b32 s12, 0xd7f4df2e
	s_mov_b32 s13, 0x3fc7474d
	v_add_f64 v[10:11], v[12:13], -v[10:11]
	v_fma_f64 v[24:25], v[22:23], v[24:25], s[12:13]
	s_mov_b32 s12, 0xa595c56f
	s_mov_b32 s13, 0x3f7d6d43
	v_fma_f64 v[20:21], v[14:15], v[20:21], s[12:13]
	s_mov_b32 s12, 0x16291751
	s_mov_b32 s13, 0x3fcc71c0
	v_ldexp_f64 v[10:11], v[10:11], 1
	v_fma_f64 v[24:25], v[22:23], v[24:25], s[12:13]
	s_mov_b32 s12, 0xa57d9582
	s_mov_b32 s13, 0xbf8c6ea4
	v_fma_f64 v[20:21], v[14:15], v[20:21], s[12:13]
	s_mov_b32 s12, 0x9b27acf1
	s_mov_b32 s13, 0x3fd24924
	;; [unrolled: 3-line block ×7, first 2 shown]
	v_ldexp_f64 v[24:25], v[18:19], 1
	v_fma_f64 v[20:21], v[14:15], v[20:21], s[6:7]
	s_mov_b32 s6, 0xe82d3ff0
	s_mov_b32 s7, 0xbfa59976
	v_mul_f64 v[22:23], v[26:27], v[22:23]
	v_cvt_f64_i32_e32 v[26:27], v0
	v_mov_b32_e32 v0, 0x7f3321d2
	v_fma_f64 v[20:21], v[14:15], v[20:21], s[6:7]
	s_mov_b32 s6, 0xfefa39ef
	s_mov_b32 s7, 0x3fe62e42
	v_add_f64 v[18:19], v[24:25], v[22:23]
	v_mul_f64 v[28:29], v[26:27], s[6:7]
	v_fma_f64 v[20:21], v[14:15], v[20:21], s[12:13]
	s_mov_b32 s12, 0x6a214619
	s_mov_b32 s13, 0xbfaae5ce
	v_add_f64 v[12:13], v[18:19], -v[24:25]
	v_fma_f64 v[24:25], v[26:27], s[6:7], -v[28:29]
	s_mov_b32 s6, 0x8427b883
	s_mov_b32 s7, 0x3fae1bb4
	v_fma_f64 v[20:21], v[14:15], v[20:21], s[12:13]
	s_mov_b32 s12, 0x3b39803f
	s_mov_b32 s13, 0x3c7abc9e
	v_add_f64 v[12:13], v[22:23], -v[12:13]
	v_fma_f64 v[22:23], v[26:27], s[12:13], v[24:25]
	v_fma_f64 v[20:21], v[14:15], v[20:21], s[6:7]
	s_mov_b32 s6, 0x8b207f05
	s_mov_b32 s7, 0xbfb110e4
	v_add_f64 v[10:11], v[10:11], v[12:13]
	v_fma_f64 v[12:13], v[14:15], v[20:21], s[6:7]
	v_add_f64 v[20:21], v[28:29], v[22:23]
	s_mov_b32 s6, 0x57b87036
	s_mov_b32 s7, 0x3fb3b136
	v_add_f64 v[24:25], v[18:19], v[10:11]
	v_fma_f64 v[12:13], v[14:15], v[12:13], s[6:7]
	s_mov_b32 s6, 0x19378e4f
	s_mov_b32 s7, 0xbfb745d1
	v_add_f64 v[28:29], v[20:21], -v[28:29]
	v_add_f64 v[26:27], v[20:21], v[24:25]
	v_add_f64 v[18:19], v[24:25], -v[18:19]
	v_fma_f64 v[12:13], v[14:15], v[12:13], s[6:7]
	s_mov_b32 s6, 0x17e1913c
	s_mov_b32 s7, 0x3fbc71c7
	v_add_f64 v[22:23], v[22:23], -v[28:29]
	v_add_f64 v[30:31], v[26:27], -v[20:21]
	;; [unrolled: 1-line block ×3, first 2 shown]
	v_fma_f64 v[12:13], v[14:15], v[12:13], s[6:7]
	s_mov_b32 s6, 0x92376b7d
	s_mov_b32 s7, 0xbfc24924
	v_add_f64 v[32:33], v[26:27], -v[30:31]
	v_add_f64 v[18:19], v[24:25], -v[30:31]
	v_add_f64 v[24:25], v[22:23], v[10:11]
	v_fma_f64 v[12:13], v[14:15], v[12:13], s[6:7]
	s_mov_b32 s6, 0x999952cc
	s_mov_b32 s7, 0x3fc99999
	v_add_f64 v[20:21], v[20:21], -v[32:33]
	v_fma_f64 v[12:13], v[14:15], v[12:13], s[6:7]
	s_mov_b32 s6, 0x55555523
	s_mov_b32 s7, 0xbfd55555
	v_add_f64 v[18:19], v[18:19], v[20:21]
	v_add_f64 v[20:21], v[24:25], -v[22:23]
	v_fma_f64 v[12:13], v[14:15], v[12:13], s[6:7]
	s_mov_b32 s6, 0x54442d18
	s_mov_b32 s7, 0x3ff921fb
	v_add_f64 v[18:19], v[24:25], v[18:19]
	v_add_f64 v[10:11], v[10:11], -v[20:21]
	v_mul_f64 v[12:13], v[14:15], v[12:13]
	v_add_f64 v[14:15], v[24:25], -v[20:21]
	v_add_f64 v[24:25], v[26:27], v[18:19]
	v_fma_f64 v[8:9], v[8:9], v[12:13], v[8:9]
	v_add_f64 v[12:13], v[22:23], -v[14:15]
	v_add_f64 v[14:15], v[24:25], -v[26:27]
	v_add_f64 v[20:21], -v[8:9], s[6:7]
	v_add_f64 v[10:11], v[10:11], v[12:13]
	s_mov_b32 s7, 0x400921fb
	v_add_f64 v[12:13], v[18:19], -v[14:15]
	v_ashrrev_i32_e32 v14, 31, v1
	v_cndmask_b32_e32 v18, 0x54442d18, v0, vcc_lo
	v_cndmask_b32_e64 v9, v9, v21, s4
	v_cndmask_b32_e64 v8, v8, v20, s4
	v_and_b32_e32 v15, 0x54442d18, v14
	v_add_f64 v[10:11], v[10:11], v[12:13]
	v_add_f64 v[12:13], -v[8:9], s[6:7]
	v_cmp_eq_f64_e64 s6, 0, v[2:3]
	v_add_f64 v[0:1], v[24:25], v[10:11]
	v_mov_b32_e32 v10, 0x4002d97c
	v_cndmask_b32_e32 v8, v8, v12, vcc_lo
	v_cndmask_b32_e32 v9, v9, v13, vcc_lo
	v_and_b32_e32 v11, 0x400921fb, v14
	v_cndmask_b32_e32 v10, 0x3fe921fb, v10, vcc_lo
	v_cmp_ngt_f64_e32 vcc_lo, 0, v[16:17]
	v_cndmask_b32_e64 v8, v8, v15, s6
	v_cndmask_b32_e64 v9, v9, v11, s6
	v_bfi_b32 v10, 0x7fffffff, v10, v3
	v_cndmask_b32_e64 v0, v0, v16, s5
	v_cndmask_b32_e64 v1, v1, v17, s5
	v_cmp_nge_f64_e64 s5, 0, v[16:17]
	v_cndmask_b32_e32 v1, 0x7ff80000, v1, vcc_lo
	s_and_b32 vcc_lo, s9, s10
	v_cndmask_b32_e32 v15, v9, v10, vcc_lo
	v_cndmask_b32_e32 v14, v8, v18, vcc_lo
	v_cndmask_b32_e64 v12, 0, v0, s5
	v_cmp_neq_f64_e64 s5, 0, v[16:17]
	v_cndmask_b32_e64 v13, 0xfff00000, v1, s5
.LBB79_17:
	s_or_b32 exec_lo, exec_lo, s8
                                        ; implicit-def: $vgpr10_vgpr11
                                        ; implicit-def: $vgpr0_vgpr1
.LBB79_18:
	s_andn2_saveexec_b32 s8, s16
	s_cbranch_execz .LBB79_24
; %bb.19:
	s_mov_b32 s6, 0x6a3f9475
	s_mov_b32 s7, 0x20ca2fe7
                                        ; implicit-def: $vgpr12_vgpr13
                                        ; implicit-def: $vgpr14_vgpr15
	s_mov_b32 s5, exec_lo
	v_cmpx_ngt_f64_e32 s[6:7], v[10:11]
	s_xor_b32 s9, exec_lo, s5
	s_cbranch_execz .LBB79_21
; %bb.20:
	v_mul_f64 v[8:9], v[10:11], v[10:11]
	s_mov_b32 s7, 0x3fe55555
	s_mov_b32 s6, 0x55555555
	s_mov_b32 s10, 0xbd3237f4
	s_mov_b32 s12, 0xb5e68a13
	s_mov_b32 s11, 0xbf23e260
	s_mov_b32 s13, 0x3eeba404
	v_cmp_eq_f64_e64 s5, 0, v[2:3]
	v_add_f64 v[10:11], v[8:9], 1.0
	v_frexp_mant_f64_e32 v[12:13], v[10:11]
	v_frexp_exp_i32_f64_e32 v16, v[10:11]
	v_add_f64 v[14:15], v[10:11], -1.0
	v_cmp_gt_f64_e32 vcc_lo, s[6:7], v[12:13]
	s_mov_b32 s6, 0x55555780
	v_add_f64 v[12:13], v[14:15], -v[10:11]
	v_add_f64 v[14:15], v[8:9], -v[14:15]
	v_subrev_co_ci_u32_e64 v48, null, 0, v16, vcc_lo
	v_add_f64 v[12:13], v[12:13], 1.0
	v_sub_nc_u32_e32 v18, 0, v48
	v_ldexp_f64 v[10:11], v[10:11], v18
	v_add_f64 v[12:13], v[14:15], v[12:13]
	v_add_f64 v[16:17], v[10:11], 1.0
	v_add_f64 v[22:23], v[10:11], -1.0
	v_ldexp_f64 v[12:13], v[12:13], v18
	v_add_f64 v[14:15], v[16:17], -1.0
	v_add_f64 v[24:25], v[22:23], 1.0
	v_add_f64 v[14:15], v[10:11], -v[14:15]
	v_add_f64 v[10:11], v[10:11], -v[24:25]
	v_add_f64 v[14:15], v[12:13], v[14:15]
	v_add_f64 v[10:11], v[12:13], v[10:11]
	;; [unrolled: 1-line block ×4, first 2 shown]
	v_rcp_f64_e32 v[20:21], v[18:19]
	v_add_f64 v[16:17], v[16:17], -v[18:19]
	v_add_f64 v[22:23], v[22:23], -v[24:25]
	v_add_f64 v[14:15], v[14:15], v[16:17]
	v_fma_f64 v[26:27], -v[18:19], v[20:21], 1.0
	v_add_f64 v[10:11], v[10:11], v[22:23]
	v_fma_f64 v[20:21], v[26:27], v[20:21], v[20:21]
	v_fma_f64 v[12:13], -v[18:19], v[20:21], 1.0
	v_fma_f64 v[12:13], v[12:13], v[20:21], v[20:21]
	v_mul_f64 v[20:21], v[24:25], v[12:13]
	v_mul_f64 v[26:27], v[18:19], v[20:21]
	v_fma_f64 v[16:17], v[20:21], v[18:19], -v[26:27]
	v_fma_f64 v[16:17], v[20:21], v[14:15], v[16:17]
	v_add_f64 v[28:29], v[26:27], v[16:17]
	v_add_f64 v[30:31], v[24:25], -v[28:29]
	v_add_f64 v[22:23], v[28:29], -v[26:27]
	v_max_f64 v[26:27], |v[2:3]|, |v[2:3]|
	v_add_f64 v[24:25], v[24:25], -v[30:31]
	v_add_f64 v[16:17], v[22:23], -v[16:17]
	;; [unrolled: 1-line block ×3, first 2 shown]
	v_max_f64 v[28:29], |v[0:1]|, |v[0:1]|
	v_add_f64 v[10:11], v[10:11], v[24:25]
	v_max_f64 v[32:33], v[28:29], v[26:27]
	v_min_f64 v[26:27], v[28:29], v[26:27]
	v_add_f64 v[10:11], v[16:17], v[10:11]
	v_add_f64 v[16:17], v[30:31], v[10:11]
	v_mul_f64 v[22:23], v[12:13], v[16:17]
	v_add_f64 v[30:31], v[30:31], -v[16:17]
	v_mul_f64 v[24:25], v[18:19], v[22:23]
	v_add_f64 v[10:11], v[10:11], v[30:31]
	v_fma_f64 v[18:19], v[22:23], v[18:19], -v[24:25]
	v_fma_f64 v[14:15], v[22:23], v[14:15], v[18:19]
	v_div_scale_f64 v[18:19], null, v[32:33], v[32:33], v[26:27]
	v_add_f64 v[28:29], v[24:25], v[14:15]
	v_rcp_f64_e32 v[34:35], v[18:19]
	v_add_f64 v[36:37], v[16:17], -v[28:29]
	v_add_f64 v[24:25], v[28:29], -v[24:25]
	v_fma_f64 v[38:39], -v[18:19], v[34:35], 1.0
	v_add_f64 v[16:17], v[16:17], -v[36:37]
	v_add_f64 v[14:15], v[24:25], -v[14:15]
	v_fma_f64 v[34:35], v[34:35], v[38:39], v[34:35]
	v_add_f64 v[16:17], v[16:17], -v[28:29]
	v_fma_f64 v[28:29], -v[18:19], v[34:35], 1.0
	v_add_f64 v[10:11], v[10:11], v[16:17]
	v_div_scale_f64 v[16:17], vcc_lo, v[26:27], v[32:33], v[26:27]
	v_fma_f64 v[24:25], v[34:35], v[28:29], v[34:35]
	v_add_f64 v[28:29], v[20:21], v[22:23]
	v_add_f64 v[10:11], v[14:15], v[10:11]
	v_mul_f64 v[14:15], v[16:17], v[24:25]
	v_add_f64 v[20:21], v[28:29], -v[20:21]
	v_add_f64 v[10:11], v[36:37], v[10:11]
	v_fma_f64 v[16:17], -v[18:19], v[14:15], v[16:17]
	v_add_f64 v[18:19], v[22:23], -v[20:21]
	v_mul_f64 v[10:11], v[12:13], v[10:11]
	v_div_fmas_f64 v[12:13], v[16:17], v[24:25], v[14:15]
	v_cmp_gt_i32_e32 vcc_lo, 0, v1
	v_add_f64 v[10:11], v[18:19], v[10:11]
	v_div_fixup_f64 v[12:13], v[12:13], v[32:33], v[26:27]
	v_add_f64 v[14:15], v[28:29], v[10:11]
	v_mul_f64 v[16:17], v[12:13], v[12:13]
	v_mul_f64 v[18:19], v[14:15], v[14:15]
	v_fma_f64 v[20:21], v[16:17], s[12:13], s[10:11]
	s_mov_b32 s10, 0x6b47b09a
	s_mov_b32 s12, 0xbf559e2b
	;; [unrolled: 1-line block ×4, first 2 shown]
	v_fma_f64 v[22:23], v[18:19], s[12:13], s[10:11]
	s_mov_b32 s10, 0x69efb384
	s_mov_b32 s11, 0x3f4b2bb0
	v_mul_f64 v[24:25], v[14:15], v[18:19]
	v_fma_f64 v[20:21], v[16:17], v[20:21], s[10:11]
	s_mov_b32 s10, 0xd7f4df2e
	s_mov_b32 s11, 0x3fc7474d
	v_fma_f64 v[22:23], v[18:19], v[22:23], s[10:11]
	s_mov_b32 s10, 0xaf56de9b
	s_mov_b32 s11, 0xbf67952d
	;; [unrolled: 3-line block ×10, first 2 shown]
	v_ldexp_f64 v[22:23], v[14:15], 1
	v_fma_f64 v[20:21], v[16:17], v[20:21], s[6:7]
	s_mov_b32 s6, 0x5711927a
	s_mov_b32 s7, 0x3fa2c15b
	v_add_f64 v[14:15], v[14:15], -v[28:29]
	v_mul_f64 v[18:19], v[24:25], v[18:19]
	v_cvt_f64_i32_e32 v[24:25], v48
	v_fma_f64 v[20:21], v[16:17], v[20:21], s[6:7]
	s_mov_b32 s6, 0xe82d3ff0
	s_mov_b32 s7, 0xbfa59976
	v_add_f64 v[10:11], v[10:11], -v[14:15]
	v_add_f64 v[26:27], v[22:23], v[18:19]
	v_fma_f64 v[20:21], v[16:17], v[20:21], s[6:7]
	s_mov_b32 s6, 0xfefa39ef
	s_mov_b32 s7, 0x3fe62e42
	v_ldexp_f64 v[10:11], v[10:11], 1
	v_mul_f64 v[28:29], v[24:25], s[6:7]
	v_add_f64 v[14:15], v[26:27], -v[22:23]
	v_fma_f64 v[20:21], v[16:17], v[20:21], s[10:11]
	v_cmp_class_f64_e64 s10, v[0:1], 0x204
	v_fma_f64 v[22:23], v[24:25], s[6:7], -v[28:29]
	s_mov_b32 s6, 0x6a214619
	s_mov_b32 s7, 0xbfaae5ce
	v_add_f64 v[14:15], v[18:19], -v[14:15]
	v_fma_f64 v[18:19], v[16:17], v[20:21], s[6:7]
	s_mov_b32 s6, 0x3b39803f
	s_mov_b32 s7, 0x3c7abc9e
	v_fma_f64 v[20:21], v[24:25], s[6:7], v[22:23]
	s_mov_b32 s6, 0x8427b883
	s_mov_b32 s7, 0x3fae1bb4
	v_add_f64 v[10:11], v[10:11], v[14:15]
	v_fma_f64 v[14:15], v[16:17], v[18:19], s[6:7]
	s_mov_b32 s6, 0x8b207f05
	s_mov_b32 s7, 0xbfb110e4
	v_add_f64 v[18:19], v[28:29], v[20:21]
	v_add_f64 v[22:23], v[26:27], v[10:11]
	v_fma_f64 v[14:15], v[16:17], v[14:15], s[6:7]
	s_mov_b32 s6, 0x57b87036
	s_mov_b32 s7, 0x3fb3b136
	v_add_f64 v[28:29], v[18:19], -v[28:29]
	v_add_f64 v[24:25], v[18:19], v[22:23]
	v_add_f64 v[26:27], v[22:23], -v[26:27]
	v_fma_f64 v[14:15], v[16:17], v[14:15], s[6:7]
	s_mov_b32 s6, 0x19378e4f
	s_mov_b32 s7, 0xbfb745d1
	v_add_f64 v[20:21], v[20:21], -v[28:29]
	v_add_f64 v[30:31], v[24:25], -v[18:19]
	;; [unrolled: 1-line block ×3, first 2 shown]
	v_fma_f64 v[14:15], v[16:17], v[14:15], s[6:7]
	s_mov_b32 s6, 0x17e1913c
	s_mov_b32 s7, 0x3fbc71c7
	v_add_f64 v[32:33], v[24:25], -v[30:31]
	v_add_f64 v[22:23], v[22:23], -v[30:31]
	v_add_f64 v[26:27], v[20:21], v[10:11]
	v_fma_f64 v[14:15], v[16:17], v[14:15], s[6:7]
	s_mov_b32 s6, 0x92376b7d
	s_mov_b32 s7, 0xbfc24924
	v_add_f64 v[18:19], v[18:19], -v[32:33]
	v_fma_f64 v[14:15], v[16:17], v[14:15], s[6:7]
	s_mov_b32 s6, 0x999952cc
	s_mov_b32 s7, 0x3fc99999
	v_add_f64 v[18:19], v[22:23], v[18:19]
	v_add_f64 v[22:23], v[26:27], -v[20:21]
	v_fma_f64 v[14:15], v[16:17], v[14:15], s[6:7]
	s_mov_b32 s6, 0x55555523
	s_mov_b32 s7, 0xbfd55555
	v_add_f64 v[18:19], v[26:27], v[18:19]
	v_add_f64 v[26:27], v[26:27], -v[22:23]
	v_add_f64 v[10:11], v[10:11], -v[22:23]
	v_fma_f64 v[14:15], v[16:17], v[14:15], s[6:7]
	s_mov_b32 s6, 0x54442d18
	s_mov_b32 s7, 0x3ff921fb
	v_add_f64 v[28:29], v[24:25], v[18:19]
	v_mul_f64 v[14:15], v[16:17], v[14:15]
	v_add_f64 v[16:17], v[20:21], -v[26:27]
	v_add_f64 v[20:21], v[28:29], -v[24:25]
	v_fma_f64 v[12:13], v[12:13], v[14:15], v[12:13]
	v_add_f64 v[10:11], v[10:11], v[16:17]
	v_add_f64 v[14:15], v[18:19], -v[20:21]
	v_add_f64 v[16:17], -v[12:13], s[6:7]
	s_mov_b32 s7, 0x400921fb
	v_add_f64 v[10:11], v[10:11], v[14:15]
	v_cndmask_b32_e64 v13, v13, v17, s4
	v_cndmask_b32_e64 v12, v12, v16, s4
	v_ashrrev_i32_e32 v17, 31, v1
	v_mov_b32_e32 v16, 0x7f3321d2
	v_add_f64 v[14:15], -v[12:13], s[6:7]
	v_cmp_class_f64_e64 s7, v[2:3], 0x204
	v_cmp_neq_f64_e64 s6, 0x7ff00000, v[8:9]
	v_mov_b32_e32 v8, 0x4002d97c
	v_and_b32_e32 v18, 0x54442d18, v17
	v_and_b32_e32 v9, 0x400921fb, v17
	v_cndmask_b32_e32 v16, 0x54442d18, v16, vcc_lo
	v_cndmask_b32_e32 v8, 0x3fe921fb, v8, vcc_lo
	v_add_f64 v[10:11], v[28:29], v[10:11]
	v_bfi_b32 v8, 0x7fffffff, v8, v3
	v_cndmask_b32_e32 v12, v12, v14, vcc_lo
	v_mul_f64 v[0:1], v[10:11], 0.5
	v_cndmask_b32_e32 v10, v13, v15, vcc_lo
	v_cndmask_b32_e64 v11, v12, v18, s5
	s_and_b32 vcc_lo, s10, s7
	v_cndmask_b32_e64 v9, v10, v9, s5
	v_cndmask_b32_e32 v14, v11, v16, vcc_lo
                                        ; implicit-def: $vgpr10_vgpr11
	v_cndmask_b32_e32 v15, v9, v8, vcc_lo
	v_cndmask_b32_e64 v13, 0x7ff00000, v1, s6
	v_cndmask_b32_e64 v12, 0, v0, s6
                                        ; implicit-def: $vgpr0_vgpr1
.LBB79_21:
	s_andn2_saveexec_b32 s6, s9
	s_cbranch_execz .LBB79_23
; %bb.22:
	v_max_f64 v[8:9], |v[2:3]|, |v[2:3]|
	v_max_f64 v[12:13], |v[0:1]|, |v[0:1]|
	s_mov_b32 s10, 0xbd3237f4
	s_mov_b32 s12, 0xb5e68a13
	s_mov_b32 s11, 0xbf23e260
	s_mov_b32 s13, 0x3eeba404
	v_cmp_eq_f64_e64 s5, 0, v[2:3]
	v_cmp_class_f64_e64 s7, v[2:3], 0x204
	v_cmp_class_f64_e64 s9, v[0:1], 0x204
	v_mov_b32_e32 v0, 0x4002d97c
	v_max_f64 v[14:15], v[12:13], v[8:9]
	v_min_f64 v[8:9], v[12:13], v[8:9]
	v_div_scale_f64 v[12:13], null, v[14:15], v[14:15], v[8:9]
	v_div_scale_f64 v[20:21], vcc_lo, v[8:9], v[14:15], v[8:9]
	v_rcp_f64_e32 v[16:17], v[12:13]
	v_fma_f64 v[18:19], -v[12:13], v[16:17], 1.0
	v_fma_f64 v[16:17], v[16:17], v[18:19], v[16:17]
	v_fma_f64 v[18:19], -v[12:13], v[16:17], 1.0
	v_fma_f64 v[16:17], v[16:17], v[18:19], v[16:17]
	v_mul_f64 v[18:19], v[20:21], v[16:17]
	v_fma_f64 v[12:13], -v[12:13], v[18:19], v[20:21]
	v_div_fmas_f64 v[12:13], v[12:13], v[16:17], v[18:19]
	v_cmp_gt_i32_e32 vcc_lo, 0, v1
	v_ashrrev_i32_e32 v17, 31, v1
	v_cndmask_b32_e32 v0, 0x3fe921fb, v0, vcc_lo
	v_and_b32_e32 v19, 0x54442d18, v17
	v_and_b32_e32 v1, 0x400921fb, v17
	v_bfi_b32 v0, 0x7fffffff, v0, v3
	v_div_fixup_f64 v[8:9], v[12:13], v[14:15], v[8:9]
	v_mul_f64 v[12:13], v[8:9], v[8:9]
	v_fma_f64 v[14:15], v[12:13], s[12:13], s[10:11]
	s_mov_b32 s10, 0x69efb384
	s_mov_b32 s11, 0x3f4b2bb0
	v_fma_f64 v[14:15], v[12:13], v[14:15], s[10:11]
	s_mov_b32 s10, 0xaf56de9b
	s_mov_b32 s11, 0xbf67952d
	;; [unrolled: 3-line block ×19, first 2 shown]
	v_mul_f64 v[12:13], v[12:13], v[14:15]
	v_mul_f64 v[15:16], v[10:11], 0.5
	v_fma_f64 v[8:9], v[8:9], v[12:13], v[8:9]
	v_add_f64 v[12:13], -v[8:9], s[10:11]
	s_mov_b32 s11, 0x400921fb
	v_cndmask_b32_e64 v9, v9, v13, s4
	v_cndmask_b32_e64 v8, v8, v12, s4
	v_mov_b32_e32 v12, 0x7f3321d2
	v_add_f64 v[13:14], -v[8:9], s[10:11]
	v_cndmask_b32_e32 v18, 0x54442d18, v12, vcc_lo
	v_cndmask_b32_e32 v8, v8, v13, vcc_lo
	v_mul_f64 v[12:13], v[10:11], v[15:16]
	v_cndmask_b32_e32 v9, v9, v14, vcc_lo
	s_and_b32 vcc_lo, s9, s7
	v_cndmask_b32_e64 v8, v8, v19, s5
	v_cndmask_b32_e64 v1, v9, v1, s5
	v_cndmask_b32_e32 v14, v8, v18, vcc_lo
	v_cndmask_b32_e32 v15, v1, v0, vcc_lo
.LBB79_23:
	s_or_b32 exec_lo, exec_lo, s6
.LBB79_24:
	s_or_b32 exec_lo, exec_lo, s8
                                        ; implicit-def: $vgpr0_vgpr1
.LBB79_25:
	s_andn2_saveexec_b32 s8, s15
	s_cbranch_execz .LBB79_27
; %bb.26:
	s_mov_b32 s6, 0x8b145769
	s_mov_b32 s7, 0x4005bf0a
	;; [unrolled: 1-line block ×3, first 2 shown]
	v_div_scale_f64 v[8:9], null, s[6:7], s[6:7], v[0:1]
	v_div_scale_f64 v[10:11], null, s[6:7], s[6:7], v[2:3]
	v_div_scale_f64 v[20:21], vcc_lo, v[0:1], s[6:7], v[0:1]
	s_mov_b32 s16, 0xb5e68a13
	s_mov_b32 s13, 0xbf23e260
	s_mov_b32 s17, 0x3eeba404
	s_mov_b32 s10, 0x6b47b09a
	s_mov_b32 s11, 0x3fc38538
	v_rcp_f64_e32 v[12:13], v[8:9]
	v_rcp_f64_e32 v[14:15], v[10:11]
	v_fma_f64 v[16:17], -v[8:9], v[12:13], 1.0
	v_fma_f64 v[18:19], -v[10:11], v[14:15], 1.0
	v_fma_f64 v[12:13], v[12:13], v[16:17], v[12:13]
	v_fma_f64 v[14:15], v[14:15], v[18:19], v[14:15]
	v_fma_f64 v[16:17], -v[8:9], v[12:13], 1.0
	v_fma_f64 v[18:19], -v[10:11], v[14:15], 1.0
	v_fma_f64 v[12:13], v[12:13], v[16:17], v[12:13]
	v_div_scale_f64 v[16:17], s5, v[2:3], s[6:7], v[2:3]
	v_fma_f64 v[14:15], v[14:15], v[18:19], v[14:15]
	v_mul_f64 v[18:19], v[20:21], v[12:13]
	v_mul_f64 v[22:23], v[16:17], v[14:15]
	v_fma_f64 v[8:9], -v[8:9], v[18:19], v[20:21]
	v_fma_f64 v[10:11], -v[10:11], v[22:23], v[16:17]
	v_div_fmas_f64 v[8:9], v[8:9], v[12:13], v[18:19]
	s_mov_b32 vcc_lo, s5
	v_div_fmas_f64 v[10:11], v[10:11], v[14:15], v[22:23]
	v_div_fixup_f64 v[8:9], v[8:9], s[6:7], v[0:1]
	v_div_fixup_f64 v[10:11], v[10:11], s[6:7], v[2:3]
	s_mov_b32 s7, 0x3fe55555
	v_cmp_class_f64_e64 s5, v[8:9], 0x204
	v_max_f64 v[12:13], |v[8:9]|, |v[10:11]|
	v_cmp_class_f64_e64 s6, v[10:11], 0x204
	v_frexp_exp_i32_f64_e32 v20, v[12:13]
	s_or_b32 s5, s5, s6
	s_mov_b32 s6, 0x55555555
	v_sub_nc_u32_e32 v14, 0, v20
	v_ldexp_f64 v[12:13], |v[10:11]|, v14
	v_ldexp_f64 v[14:15], |v[8:9]|, v14
	v_mul_f64 v[12:13], v[12:13], v[12:13]
	v_fma_f64 v[12:13], v[14:15], v[14:15], v[12:13]
	v_rsq_f64_e32 v[14:15], v[12:13]
	v_cmp_eq_f64_e32 vcc_lo, 0, v[12:13]
	v_mul_f64 v[16:17], v[12:13], v[14:15]
	v_mul_f64 v[14:15], v[14:15], 0.5
	v_fma_f64 v[18:19], -v[14:15], v[16:17], 0.5
	v_fma_f64 v[16:17], v[16:17], v[18:19], v[16:17]
	v_fma_f64 v[14:15], v[14:15], v[18:19], v[14:15]
	v_fma_f64 v[18:19], -v[16:17], v[16:17], v[12:13]
	v_fma_f64 v[14:15], v[18:19], v[14:15], v[16:17]
	v_cndmask_b32_e32 v13, v15, v13, vcc_lo
	v_cndmask_b32_e32 v12, v14, v12, vcc_lo
	v_cmp_o_f64_e32 vcc_lo, v[8:9], v[10:11]
	v_ldexp_f64 v[12:13], v[12:13], v20
	v_max_f64 v[20:21], |v[0:1]|, |v[0:1]|
	v_cndmask_b32_e32 v8, 0, v12, vcc_lo
	v_cndmask_b32_e32 v9, 0x7ff80000, v13, vcc_lo
	v_cndmask_b32_e64 v8, v8, 0, s5
	v_cndmask_b32_e64 v9, v9, 0x7ff00000, s5
	v_frexp_mant_f64_e32 v[10:11], v[8:9]
	v_cmp_gt_f64_e64 s5, s[6:7], v[10:11]
	s_mov_b32 s6, 0x55555780
	v_cndmask_b32_e64 v12, 0, 1, s5
	v_ldexp_f64 v[10:11], v[10:11], v12
	v_add_f64 v[12:13], v[10:11], 1.0
	v_add_f64 v[18:19], v[10:11], -1.0
	v_rcp_f64_e32 v[14:15], v[12:13]
	v_fma_f64 v[16:17], -v[12:13], v[14:15], 1.0
	v_fma_f64 v[14:15], v[16:17], v[14:15], v[14:15]
	v_fma_f64 v[16:17], -v[12:13], v[14:15], 1.0
	v_fma_f64 v[14:15], v[16:17], v[14:15], v[14:15]
	v_max_f64 v[16:17], |v[2:3]|, |v[2:3]|
	v_mul_f64 v[22:23], v[18:19], v[14:15]
	v_max_f64 v[24:25], v[20:21], v[16:17]
	v_min_f64 v[16:17], v[20:21], v[16:17]
	v_add_f64 v[20:21], v[12:13], -1.0
	v_mul_f64 v[26:27], v[12:13], v[22:23]
	v_div_scale_f64 v[28:29], null, v[24:25], v[24:25], v[16:17]
	v_add_f64 v[10:11], v[10:11], -v[20:21]
	v_div_scale_f64 v[34:35], vcc_lo, v[16:17], v[24:25], v[16:17]
	v_fma_f64 v[12:13], v[22:23], v[12:13], -v[26:27]
	v_rcp_f64_e32 v[20:21], v[28:29]
	v_fma_f64 v[10:11], v[22:23], v[10:11], v[12:13]
	v_fma_f64 v[12:13], -v[28:29], v[20:21], 1.0
	v_add_f64 v[30:31], v[26:27], v[10:11]
	v_fma_f64 v[12:13], v[20:21], v[12:13], v[20:21]
	v_add_f64 v[20:21], v[18:19], -v[30:31]
	v_add_f64 v[26:27], v[30:31], -v[26:27]
	v_fma_f64 v[32:33], -v[28:29], v[12:13], 1.0
	v_add_f64 v[18:19], v[18:19], -v[20:21]
	v_add_f64 v[10:11], v[26:27], -v[10:11]
	v_fma_f64 v[12:13], v[12:13], v[32:33], v[12:13]
	v_add_f64 v[18:19], v[18:19], -v[30:31]
	v_mul_f64 v[26:27], v[34:35], v[12:13]
	v_add_f64 v[10:11], v[10:11], v[18:19]
	v_fma_f64 v[18:19], -v[28:29], v[26:27], v[34:35]
	v_frexp_exp_i32_f64_e32 v28, v[8:9]
	v_add_f64 v[10:11], v[20:21], v[10:11]
	v_div_fmas_f64 v[12:13], v[18:19], v[12:13], v[26:27]
	v_cmp_class_f64_e64 vcc_lo, v[8:9], 0x204
	v_mul_f64 v[10:11], v[14:15], v[10:11]
	v_div_fixup_f64 v[12:13], v[12:13], v[24:25], v[16:17]
	v_add_f64 v[14:15], v[22:23], v[10:11]
	v_mul_f64 v[16:17], v[12:13], v[12:13]
	v_mul_f64 v[18:19], v[14:15], v[14:15]
	v_fma_f64 v[20:21], v[16:17], s[16:17], s[12:13]
	s_mov_b32 s12, 0xbf559e2b
	s_mov_b32 s13, 0x3fc3ab76
	v_fma_f64 v[24:25], v[18:19], s[12:13], s[10:11]
	s_mov_b32 s10, 0x69efb384
	s_mov_b32 s11, 0x3f4b2bb0
	v_mul_f64 v[26:27], v[14:15], v[18:19]
	v_fma_f64 v[20:21], v[16:17], v[20:21], s[10:11]
	s_mov_b32 s10, 0xd7f4df2e
	s_mov_b32 s11, 0x3fc7474d
	v_fma_f64 v[24:25], v[18:19], v[24:25], s[10:11]
	s_mov_b32 s10, 0xaf56de9b
	s_mov_b32 s11, 0xbf67952d
	;; [unrolled: 3-line block ×10, first 2 shown]
	v_ldexp_f64 v[24:25], v[14:15], 1
	v_fma_f64 v[20:21], v[16:17], v[20:21], s[6:7]
	s_mov_b32 s6, 0x5711927a
	s_mov_b32 s7, 0x3fa2c15b
	v_add_f64 v[14:15], v[14:15], -v[22:23]
	v_mul_f64 v[18:19], v[26:27], v[18:19]
	v_subrev_co_ci_u32_e64 v26, null, 0, v28, s5
	v_cmp_class_f64_e64 s5, v[2:3], 0x204
	v_fma_f64 v[20:21], v[16:17], v[20:21], s[6:7]
	s_mov_b32 s6, 0xfefa39ef
	v_cvt_f64_i32_e32 v[26:27], v26
	s_mov_b32 s7, 0x3fe62e42
	v_add_f64 v[10:11], v[10:11], -v[14:15]
	v_add_f64 v[22:23], v[24:25], v[18:19]
	v_fma_f64 v[20:21], v[16:17], v[20:21], s[10:11]
	s_mov_b32 s10, 0x6ef28734
	v_mul_f64 v[28:29], v[26:27], s[6:7]
	s_mov_b32 s11, 0x3fa82d5d
	v_ldexp_f64 v[10:11], v[10:11], 1
	v_add_f64 v[14:15], v[22:23], -v[24:25]
	v_fma_f64 v[20:21], v[16:17], v[20:21], s[10:11]
	s_mov_b32 s10, 0x3b39803f
	v_fma_f64 v[24:25], v[26:27], s[6:7], -v[28:29]
	s_mov_b32 s6, 0x6a214619
	s_mov_b32 s7, 0xbfaae5ce
	;; [unrolled: 1-line block ×3, first 2 shown]
	v_add_f64 v[14:15], v[18:19], -v[14:15]
	v_fma_f64 v[18:19], v[16:17], v[20:21], s[6:7]
	s_mov_b32 s6, 0x8427b883
	v_fma_f64 v[20:21], v[26:27], s[10:11], v[24:25]
	s_mov_b32 s7, 0x3fae1bb4
	v_add_f64 v[10:11], v[10:11], v[14:15]
	v_fma_f64 v[14:15], v[16:17], v[18:19], s[6:7]
	s_mov_b32 s6, 0x8b207f05
	v_add_f64 v[18:19], v[28:29], v[20:21]
	s_mov_b32 s7, 0xbfb110e4
	v_add_f64 v[24:25], v[22:23], v[10:11]
	v_fma_f64 v[14:15], v[16:17], v[14:15], s[6:7]
	s_mov_b32 s6, 0x57b87036
	s_mov_b32 s7, 0x3fb3b136
	v_add_f64 v[28:29], v[18:19], -v[28:29]
	v_add_f64 v[26:27], v[18:19], v[24:25]
	v_add_f64 v[22:23], v[24:25], -v[22:23]
	v_fma_f64 v[14:15], v[16:17], v[14:15], s[6:7]
	s_mov_b32 s6, 0x19378e4f
	s_mov_b32 s7, 0xbfb745d1
	v_add_f64 v[20:21], v[20:21], -v[28:29]
	v_add_f64 v[30:31], v[26:27], -v[18:19]
	;; [unrolled: 1-line block ×3, first 2 shown]
	v_fma_f64 v[14:15], v[16:17], v[14:15], s[6:7]
	s_mov_b32 s6, 0x17e1913c
	s_mov_b32 s7, 0x3fbc71c7
	v_add_f64 v[32:33], v[26:27], -v[30:31]
	v_add_f64 v[22:23], v[24:25], -v[30:31]
	v_add_f64 v[24:25], v[20:21], v[10:11]
	v_fma_f64 v[14:15], v[16:17], v[14:15], s[6:7]
	s_mov_b32 s6, 0x92376b7d
	s_mov_b32 s7, 0xbfc24924
	v_add_f64 v[18:19], v[18:19], -v[32:33]
	v_fma_f64 v[14:15], v[16:17], v[14:15], s[6:7]
	s_mov_b32 s6, 0x999952cc
	s_mov_b32 s7, 0x3fc99999
	v_add_f64 v[18:19], v[22:23], v[18:19]
	v_add_f64 v[22:23], v[24:25], -v[20:21]
	v_fma_f64 v[14:15], v[16:17], v[14:15], s[6:7]
	s_mov_b32 s6, 0x55555523
	s_mov_b32 s7, 0xbfd55555
	v_add_f64 v[18:19], v[24:25], v[18:19]
	v_add_f64 v[24:25], v[24:25], -v[22:23]
	v_add_f64 v[10:11], v[10:11], -v[22:23]
	v_fma_f64 v[14:15], v[16:17], v[14:15], s[6:7]
	s_mov_b32 s6, 0x54442d18
	s_mov_b32 s7, 0x3ff921fb
	v_add_f64 v[28:29], v[26:27], v[18:19]
	v_mul_f64 v[14:15], v[16:17], v[14:15]
	v_add_f64 v[16:17], v[20:21], -v[24:25]
	v_add_f64 v[20:21], v[28:29], -v[26:27]
	v_fma_f64 v[12:13], v[12:13], v[14:15], v[12:13]
	v_add_f64 v[10:11], v[10:11], v[16:17]
	v_add_f64 v[14:15], v[18:19], -v[20:21]
	v_add_f64 v[16:17], -v[12:13], s[6:7]
	s_mov_b32 s7, 0x400921fb
	v_add_f64 v[10:11], v[10:11], v[14:15]
	v_cndmask_b32_e64 v13, v13, v17, s4
	v_cndmask_b32_e64 v12, v12, v16, s4
	v_mov_b32_e32 v16, 0x7f3321d2
	v_cmp_gt_i32_e64 s4, 0, v1
	v_ashrrev_i32_e32 v17, 31, v1
	v_add_f64 v[14:15], -v[12:13], s[6:7]
	v_cmp_class_f64_e64 s6, v[0:1], 0x204
	v_mov_b32_e32 v0, 0x4002d97c
	v_cndmask_b32_e64 v16, 0x54442d18, v16, s4
	v_and_b32_e32 v18, 0x54442d18, v17
	v_and_b32_e32 v1, 0x400921fb, v17
	v_cndmask_b32_e64 v0, 0x3fe921fb, v0, s4
	v_add_f64 v[10:11], v[28:29], v[10:11]
	v_bfi_b32 v0, 0x7fffffff, v0, v3
	v_cndmask_b32_e64 v12, v12, v14, s4
	v_cndmask_b32_e64 v13, v13, v15, s4
	v_cmp_nge_f64_e64 s4, 0, v[8:9]
	v_cndmask_b32_e32 v11, v11, v9, vcc_lo
	v_cndmask_b32_e32 v10, v10, v8, vcc_lo
	v_cmp_eq_f64_e32 vcc_lo, 0, v[2:3]
	v_add_f64 v[10:11], v[10:11], 1.0
	v_cndmask_b32_e32 v14, v12, v18, vcc_lo
	v_cndmask_b32_e32 v1, v13, v1, vcc_lo
	v_cmp_ngt_f64_e32 vcc_lo, 0, v[8:9]
	v_cndmask_b32_e64 v12, 0, v10, s4
	v_cmp_neq_f64_e64 s4, 0, v[8:9]
	v_cndmask_b32_e32 v11, 0x7ff80000, v11, vcc_lo
	s_and_b32 vcc_lo, s6, s5
	v_cndmask_b32_e32 v15, v1, v0, vcc_lo
	v_cndmask_b32_e32 v14, v14, v16, vcc_lo
	v_cndmask_b32_e64 v13, 0xfff00000, v11, s4
.LBB79_27:
	s_or_b32 exec_lo, exec_lo, s8
                                        ; implicit-def: $vgpr0_vgpr1
.LBB79_28:
	s_andn2_saveexec_b32 s4, s14
	s_cbranch_execz .LBB79_34
; %bb.29:
	v_cmp_ngt_f64_e64 s5, 0x20000000, |v[0:1]|
	v_cmp_ngt_f64_e64 s6, 0x20000000, |v[2:3]|
                                        ; implicit-def: $vgpr8_vgpr9
	s_or_b32 s5, s5, s6
	s_and_saveexec_b32 s6, s5
	s_xor_b32 s5, exec_lo, s6
	s_cbranch_execz .LBB79_31
; %bb.30:
	v_mul_f64 v[8:9], v[2:3], v[2:3]
	v_fma_f64 v[8:9], v[0:1], v[0:1], v[8:9]
                                        ; implicit-def: $vgpr0_vgpr1
.LBB79_31:
	s_andn2_saveexec_b32 s5, s5
	s_cbranch_execz .LBB79_33
; %bb.32:
	v_mul_f64 v[8:9], v[2:3], 4.0
	v_mul_f64 v[0:1], v[0:1], 4.0
	v_mul_f64 v[8:9], v[8:9], v[8:9]
	v_fma_f64 v[0:1], v[0:1], v[0:1], v[8:9]
	v_ldexp_f64 v[8:9], v[0:1], -4
.LBB79_33:
	s_or_b32 exec_lo, exec_lo, s5
	v_frexp_mant_f64_e32 v[0:1], v[8:9]
	s_mov_b32 s7, 0x3fe55555
	s_mov_b32 s6, 0x55555555
	;; [unrolled: 1-line block ×6, first 2 shown]
	v_cmp_gt_f64_e32 vcc_lo, s[6:7], v[0:1]
	s_mov_b32 s6, 0x55555780
	v_cndmask_b32_e64 v2, 0, 1, vcc_lo
	v_ldexp_f64 v[0:1], v[0:1], v2
	v_frexp_exp_i32_f64_e32 v2, v[8:9]
	v_add_f64 v[10:11], v[0:1], 1.0
	v_add_f64 v[16:17], v[0:1], -1.0
	v_subrev_co_ci_u32_e64 v2, null, 0, v2, vcc_lo
	v_cmp_class_f64_e64 vcc_lo, v[8:9], 0x204
	v_rcp_f64_e32 v[12:13], v[10:11]
	v_add_f64 v[18:19], v[10:11], -1.0
	v_add_f64 v[0:1], v[0:1], -v[18:19]
	v_fma_f64 v[14:15], -v[10:11], v[12:13], 1.0
	v_fma_f64 v[12:13], v[14:15], v[12:13], v[12:13]
	v_fma_f64 v[14:15], -v[10:11], v[12:13], 1.0
	v_fma_f64 v[12:13], v[14:15], v[12:13], v[12:13]
	v_mul_f64 v[14:15], v[16:17], v[12:13]
	v_mul_f64 v[20:21], v[10:11], v[14:15]
	v_fma_f64 v[10:11], v[14:15], v[10:11], -v[20:21]
	v_fma_f64 v[0:1], v[14:15], v[0:1], v[10:11]
	v_add_f64 v[10:11], v[20:21], v[0:1]
	v_add_f64 v[18:19], v[16:17], -v[10:11]
	v_add_f64 v[20:21], v[10:11], -v[20:21]
	;; [unrolled: 1-line block ×5, first 2 shown]
	v_add_f64 v[0:1], v[0:1], v[10:11]
	v_add_f64 v[0:1], v[18:19], v[0:1]
	v_mul_f64 v[0:1], v[12:13], v[0:1]
	v_add_f64 v[10:11], v[14:15], v[0:1]
	v_mul_f64 v[12:13], v[10:11], v[10:11]
	v_fma_f64 v[16:17], v[12:13], s[10:11], s[8:9]
	s_mov_b32 s8, 0xd7f4df2e
	s_mov_b32 s9, 0x3fc7474d
	v_mul_f64 v[18:19], v[10:11], v[12:13]
	v_fma_f64 v[16:17], v[12:13], v[16:17], s[8:9]
	s_mov_b32 s8, 0x16291751
	s_mov_b32 s9, 0x3fcc71c0
	v_fma_f64 v[16:17], v[12:13], v[16:17], s[8:9]
	s_mov_b32 s8, 0x9b27acf1
	s_mov_b32 s9, 0x3fd24924
	;; [unrolled: 3-line block ×3, first 2 shown]
	v_fma_f64 v[16:17], v[12:13], v[16:17], s[8:9]
	v_fma_f64 v[12:13], v[12:13], v[16:17], s[6:7]
	v_ldexp_f64 v[16:17], v[10:11], 1
	v_add_f64 v[10:11], v[10:11], -v[14:15]
	s_mov_b32 s6, 0xfefa39ef
	s_mov_b32 s7, 0x3fe62e42
	v_mul_f64 v[12:13], v[18:19], v[12:13]
	v_cvt_f64_i32_e32 v[18:19], v2
	v_add_f64 v[0:1], v[0:1], -v[10:11]
	v_add_f64 v[14:15], v[16:17], v[12:13]
	v_mul_f64 v[20:21], v[18:19], s[6:7]
	v_ldexp_f64 v[0:1], v[0:1], 1
	v_add_f64 v[10:11], v[14:15], -v[16:17]
	v_fma_f64 v[16:17], v[18:19], s[6:7], -v[20:21]
	s_mov_b32 s6, 0x3b39803f
	s_mov_b32 s7, 0x3c7abc9e
	v_add_f64 v[10:11], v[12:13], -v[10:11]
	v_fma_f64 v[12:13], v[18:19], s[6:7], v[16:17]
	v_add_f64 v[0:1], v[0:1], v[10:11]
	v_add_f64 v[10:11], v[20:21], v[12:13]
	;; [unrolled: 1-line block ×3, first 2 shown]
	v_add_f64 v[20:21], v[10:11], -v[20:21]
	v_add_f64 v[18:19], v[10:11], v[16:17]
	v_add_f64 v[14:15], v[16:17], -v[14:15]
	v_add_f64 v[12:13], v[12:13], -v[20:21]
	;; [unrolled: 1-line block ×6, first 2 shown]
	v_add_f64 v[16:17], v[12:13], v[0:1]
	v_add_f64 v[10:11], v[10:11], -v[24:25]
	v_add_f64 v[10:11], v[14:15], v[10:11]
	v_add_f64 v[14:15], v[16:17], -v[12:13]
	;; [unrolled: 2-line block ×3, first 2 shown]
	v_add_f64 v[0:1], v[0:1], -v[14:15]
	v_add_f64 v[20:21], v[18:19], v[10:11]
	v_add_f64 v[12:13], v[12:13], -v[16:17]
	v_add_f64 v[14:15], v[20:21], -v[18:19]
	v_add_f64 v[0:1], v[0:1], v[12:13]
	v_add_f64 v[10:11], v[10:11], -v[14:15]
	v_mov_b32_e32 v14, 0
	v_mov_b32_e32 v15, 0x7ff80000
	v_add_f64 v[0:1], v[0:1], v[10:11]
	v_add_f64 v[0:1], v[20:21], v[0:1]
	v_cndmask_b32_e32 v0, v0, v8, vcc_lo
	v_cndmask_b32_e32 v1, v1, v9, vcc_lo
	v_cmp_ngt_f64_e32 vcc_lo, 0, v[8:9]
	v_cndmask_b32_e32 v1, 0x7ff80000, v1, vcc_lo
	v_cmp_nge_f64_e32 vcc_lo, 0, v[8:9]
	v_cndmask_b32_e32 v12, 0, v0, vcc_lo
	v_cmp_neq_f64_e32 vcc_lo, 0, v[8:9]
	v_cndmask_b32_e32 v13, 0xfff00000, v1, vcc_lo
.LBB79_34:
	s_or_b32 exec_lo, exec_lo, s4
	v_mul_f64 v[0:1], v[6:7], v[12:13]
	v_bfi_b32 v15, 0x7fffffff, v15, v3
	v_mul_f64 v[6:7], v[6:7], v[14:15]
	v_fma_f64 v[2:3], v[4:5], v[14:15], v[0:1]
	v_fma_f64 v[4:5], v[4:5], v[12:13], -v[6:7]
	v_and_b32_e32 v18, 0x7fffffff, v3
	v_or_b32_e32 v0, v18, v2
	v_cmp_ne_u32_e32 vcc_lo, 0, v0
                                        ; implicit-def: $vgpr0_vgpr1
	s_and_saveexec_b32 s4, vcc_lo
	s_xor_b32 s8, exec_lo, s4
	s_cbranch_execz .LBB79_40
; %bb.35:
	v_and_b32_e32 v6, 0x7fffffff, v5
	v_or_b32_e32 v0, v6, v4
	v_cmp_ne_u32_e32 vcc_lo, 0, v0
                                        ; implicit-def: $vgpr0_vgpr1
	s_and_saveexec_b32 s4, vcc_lo
	s_xor_b32 s9, exec_lo, s4
	s_cbranch_execz .LBB79_67
; %bb.36:
                                        ; implicit-def: $vgpr0_vgpr1
	s_mov_b32 s4, exec_lo
	v_cmpx_gt_u32_e32 0x7ff00000, v18
	s_xor_b32 s10, exec_lo, s4
	s_cbranch_execz .LBB79_60
; %bb.37:
	v_add_nc_u32_e32 v0, 0xbf79d1be, v5
	v_cmp_lt_u32_e32 vcc_lo, 0x108aa2, v0
                                        ; implicit-def: $vgpr0_vgpr1
	s_and_saveexec_b32 s4, vcc_lo
	s_xor_b32 s11, exec_lo, s4
	s_cbranch_execz .LBB79_49
; %bb.38:
	v_cmp_ngt_f64_e64 s4, 0x41d00000, |v[2:3]|
                                        ; implicit-def: $vgpr12
                                        ; implicit-def: $vgpr0_vgpr1
                                        ; implicit-def: $vgpr6_vgpr7
	s_and_saveexec_b32 s5, s4
	s_xor_b32 s5, exec_lo, s5
	s_cbranch_execz .LBB79_42
; %bb.39:
	v_ldexp_f64 v[0:1], |v[2:3]|, 0xffffff80
	v_cmp_le_f64_e64 vcc_lo, 0x7b000000, |v[2:3]|
	v_trig_preop_f64 v[6:7], |v[2:3]|, 0
	v_trig_preop_f64 v[8:9], |v[2:3]|, 1
	;; [unrolled: 1-line block ×3, first 2 shown]
	v_mov_b32_e32 v27, 0
	s_mov_b32 s6, 0x54442d18
	s_mov_b32 s7, 0x3ff921fb
	s_mov_b32 s12, 0x33145c07
	s_mov_b32 s13, 0x3c91a626
	v_cndmask_b32_e32 v1, v18, v1, vcc_lo
	v_cndmask_b32_e32 v0, v2, v0, vcc_lo
	v_mul_f64 v[10:11], v[6:7], v[0:1]
	v_mul_f64 v[12:13], v[8:9], v[0:1]
	;; [unrolled: 1-line block ×3, first 2 shown]
	v_fma_f64 v[6:7], v[6:7], v[0:1], -v[10:11]
	v_fma_f64 v[8:9], v[8:9], v[0:1], -v[12:13]
	;; [unrolled: 1-line block ×3, first 2 shown]
	v_add_f64 v[14:15], v[12:13], v[6:7]
	v_add_f64 v[16:17], v[14:15], -v[12:13]
	v_add_f64 v[23:24], v[10:11], v[14:15]
	v_add_f64 v[21:22], v[14:15], -v[16:17]
	v_add_f64 v[6:7], v[6:7], -v[16:17]
	v_ldexp_f64 v[16:17], v[23:24], -2
	v_add_f64 v[10:11], v[23:24], -v[10:11]
	v_add_f64 v[12:13], v[12:13], -v[21:22]
	v_add_f64 v[21:22], v[25:26], v[8:9]
	v_cmp_neq_f64_e64 vcc_lo, 0x7ff00000, |v[16:17]|
	v_add_f64 v[10:11], v[14:15], -v[10:11]
	v_add_f64 v[6:7], v[6:7], v[12:13]
	v_fract_f64_e32 v[12:13], v[16:17]
	v_add_f64 v[14:15], v[21:22], v[6:7]
	v_ldexp_f64 v[12:13], v[12:13], 2
	v_add_f64 v[16:17], v[10:11], v[14:15]
	v_cndmask_b32_e32 v13, 0, v13, vcc_lo
	v_cndmask_b32_e32 v12, 0, v12, vcc_lo
	v_add_f64 v[23:24], v[16:17], v[12:13]
	v_add_f64 v[10:11], v[16:17], -v[10:11]
	v_cmp_gt_f64_e32 vcc_lo, 0, v[23:24]
	v_add_f64 v[23:24], v[21:22], -v[25:26]
	v_add_f64 v[10:11], v[14:15], -v[10:11]
	v_cndmask_b32_e64 v28, 0, 0x40100000, vcc_lo
	v_add_f64 v[32:33], v[21:22], -v[23:24]
	v_add_f64 v[8:9], v[8:9], -v[23:24]
	v_add_f64 v[12:13], v[12:13], v[27:28]
	v_add_f64 v[28:29], v[14:15], -v[21:22]
	v_add_f64 v[23:24], v[25:26], -v[32:33]
	v_add_f64 v[30:31], v[16:17], v[12:13]
	;; [unrolled: 3-line block ×3, first 2 shown]
	v_cvt_i32_f64_e32 v30, v[30:31]
	v_add_f64 v[21:22], v[21:22], -v[34:35]
	v_cvt_f64_i32_e32 v[28:29], v30
	v_add_f64 v[6:7], v[6:7], v[21:22]
	v_add_f64 v[12:13], v[12:13], -v[28:29]
	v_add_f64 v[6:7], v[8:9], v[6:7]
	v_add_f64 v[8:9], v[16:17], v[12:13]
	;; [unrolled: 1-line block ×3, first 2 shown]
	v_add_f64 v[6:7], v[8:9], -v[12:13]
	v_cmp_le_f64_e32 vcc_lo, 0.5, v[8:9]
	v_add_f64 v[0:1], v[10:11], v[0:1]
	v_add_f64 v[6:7], v[16:17], -v[6:7]
	v_cndmask_b32_e64 v28, 0, 0x3ff00000, vcc_lo
	v_add_co_ci_u32_e64 v12, null, 0, v30, vcc_lo
	v_add_f64 v[0:1], v[0:1], v[6:7]
	v_add_f64 v[6:7], v[8:9], -v[27:28]
	v_add_f64 v[8:9], v[6:7], v[0:1]
	v_mul_f64 v[10:11], v[8:9], s[6:7]
	v_add_f64 v[6:7], v[8:9], -v[6:7]
	v_fma_f64 v[13:14], v[8:9], s[6:7], -v[10:11]
	v_add_f64 v[0:1], v[0:1], -v[6:7]
	v_fma_f64 v[6:7], v[8:9], s[12:13], v[13:14]
	v_fma_f64 v[6:7], v[0:1], s[6:7], v[6:7]
	v_add_f64 v[0:1], v[10:11], v[6:7]
	v_add_f64 v[8:9], v[0:1], -v[10:11]
	v_add_f64 v[6:7], v[6:7], -v[8:9]
	s_andn2_saveexec_b32 s5, s5
	s_cbranch_execz .LBB79_44
	s_branch .LBB79_43
.LBB79_40:
	s_andn2_saveexec_b32 s5, s8
	s_cbranch_execz .LBB79_78
.LBB79_41:
	s_mov_b32 s6, 0x652b82fe
	s_mov_b32 s7, 0x3ff71547
	;; [unrolled: 1-line block ×3, first 2 shown]
	v_mul_f64 v[0:1], v[4:5], s[6:7]
	s_mov_b32 s6, 0xfefa39ef
	s_mov_b32 s7, 0xbfe62e42
	;; [unrolled: 1-line block ×3, first 2 shown]
	v_cmp_nlt_f64_e32 vcc_lo, 0x40900000, v[4:5]
	v_cmp_ngt_f64_e64 s4, 0xc090cc00, v[4:5]
	v_rndne_f64_e32 v[0:1], v[0:1]
	v_fma_f64 v[6:7], v[0:1], s[6:7], v[4:5]
	s_mov_b32 s6, 0x3b39803f
	s_mov_b32 s7, 0xbc7abc9e
	v_cvt_i32_f64_e32 v10, v[0:1]
	v_fma_f64 v[6:7], v[0:1], s[6:7], v[6:7]
	s_mov_b32 s6, 0xfca7ab0c
	s_mov_b32 s7, 0x3e928af3
	v_fma_f64 v[8:9], v[6:7], s[8:9], s[6:7]
	s_mov_b32 s6, 0x623fde64
	s_mov_b32 s7, 0x3ec71dee
	;; [unrolled: 3-line block ×9, first 2 shown]
	v_fma_f64 v[8:9], v[6:7], v[8:9], s[6:7]
	v_fma_f64 v[8:9], v[6:7], v[8:9], 1.0
	v_fma_f64 v[0:1], v[6:7], v[8:9], 1.0
	v_ldexp_f64 v[0:1], v[0:1], v10
	v_cndmask_b32_e32 v1, 0x7ff00000, v1, vcc_lo
	s_and_b32 vcc_lo, s4, vcc_lo
	v_cndmask_b32_e32 v0, 0, v0, vcc_lo
	v_cndmask_b32_e64 v1, 0, v1, s4
	s_or_b32 exec_lo, exec_lo, s5
	s_setpc_b64 s[30:31]
.LBB79_42:
	s_andn2_saveexec_b32 s5, s5
	s_cbranch_execz .LBB79_44
.LBB79_43:
	s_mov_b32 s6, 0x6dc9c883
	s_mov_b32 s7, 0x3fe45f30
	;; [unrolled: 1-line block ×3, first 2 shown]
	v_mul_f64 v[0:1], |v[2:3]|, s[6:7]
	s_mov_b32 s6, 0x54442d18
	s_mov_b32 s7, 0xbff921fb
	;; [unrolled: 1-line block ×3, first 2 shown]
	v_rndne_f64_e32 v[8:9], v[0:1]
	v_fma_f64 v[0:1], v[8:9], s[6:7], |v[2:3]|
	v_mul_f64 v[6:7], v[8:9], s[12:13]
	s_mov_b32 s6, 0x252049c0
	s_mov_b32 s7, 0xb97b839a
	v_fma_f64 v[12:13], v[8:9], s[12:13], v[0:1]
	v_add_f64 v[10:11], v[0:1], v[6:7]
	s_mov_b32 s13, 0x3c91a626
	v_add_f64 v[0:1], v[0:1], -v[10:11]
	v_add_f64 v[10:11], v[10:11], -v[12:13]
	v_add_f64 v[0:1], v[0:1], v[6:7]
	v_fma_f64 v[6:7], v[8:9], s[12:13], v[6:7]
	v_add_f64 v[0:1], v[10:11], v[0:1]
	v_add_f64 v[0:1], v[0:1], -v[6:7]
	v_fma_f64 v[6:7], v[8:9], s[6:7], v[0:1]
	v_add_f64 v[0:1], v[12:13], v[6:7]
	v_add_f64 v[10:11], v[0:1], -v[12:13]
	v_cvt_i32_f64_e32 v12, v[8:9]
	v_add_f64 v[6:7], v[6:7], -v[10:11]
.LBB79_44:
	s_or_b32 exec_lo, exec_lo, s5
                                        ; implicit-def: $vgpr13
                                        ; implicit-def: $vgpr8_vgpr9
                                        ; implicit-def: $vgpr10_vgpr11
	s_and_saveexec_b32 s5, s4
	s_xor_b32 s4, exec_lo, s5
	s_cbranch_execz .LBB79_46
; %bb.45:
	v_ldexp_f64 v[8:9], |v[2:3]|, 0xffffff80
	v_cmp_le_f64_e64 vcc_lo, 0x7b000000, |v[2:3]|
	v_trig_preop_f64 v[10:11], |v[2:3]|, 0
	v_trig_preop_f64 v[13:14], |v[2:3]|, 1
	;; [unrolled: 1-line block ×3, first 2 shown]
	v_mov_b32_e32 v31, 0
	s_mov_b32 s6, 0x54442d18
	s_mov_b32 s7, 0x3ff921fb
	;; [unrolled: 1-line block ×4, first 2 shown]
	v_cndmask_b32_e32 v9, v18, v9, vcc_lo
	v_cndmask_b32_e32 v8, v2, v8, vcc_lo
	v_mul_f64 v[15:16], v[10:11], v[8:9]
	v_mul_f64 v[17:18], v[13:14], v[8:9]
	;; [unrolled: 1-line block ×3, first 2 shown]
	v_fma_f64 v[10:11], v[10:11], v[8:9], -v[15:16]
	v_fma_f64 v[13:14], v[13:14], v[8:9], -v[17:18]
	;; [unrolled: 1-line block ×3, first 2 shown]
	v_add_f64 v[19:20], v[17:18], v[10:11]
	v_add_f64 v[21:22], v[19:20], -v[17:18]
	v_add_f64 v[27:28], v[15:16], v[19:20]
	v_add_f64 v[25:26], v[19:20], -v[21:22]
	v_add_f64 v[10:11], v[10:11], -v[21:22]
	v_ldexp_f64 v[21:22], v[27:28], -2
	v_add_f64 v[15:16], v[27:28], -v[15:16]
	v_add_f64 v[17:18], v[17:18], -v[25:26]
	v_add_f64 v[25:26], v[29:30], v[13:14]
	v_cmp_neq_f64_e64 vcc_lo, 0x7ff00000, |v[21:22]|
	v_add_f64 v[15:16], v[19:20], -v[15:16]
	v_add_f64 v[10:11], v[10:11], v[17:18]
	v_fract_f64_e32 v[17:18], v[21:22]
	v_add_f64 v[19:20], v[25:26], v[10:11]
	v_ldexp_f64 v[17:18], v[17:18], 2
	v_add_f64 v[21:22], v[15:16], v[19:20]
	v_cndmask_b32_e32 v18, 0, v18, vcc_lo
	v_cndmask_b32_e32 v17, 0, v17, vcc_lo
	v_add_f64 v[27:28], v[21:22], v[17:18]
	v_add_f64 v[15:16], v[21:22], -v[15:16]
	v_cmp_gt_f64_e32 vcc_lo, 0, v[27:28]
	v_add_f64 v[27:28], v[25:26], -v[29:30]
	v_cndmask_b32_e64 v32, 0, 0x40100000, vcc_lo
	v_add_f64 v[36:37], v[25:26], -v[27:28]
	v_add_f64 v[13:14], v[13:14], -v[27:28]
	v_add_f64 v[17:18], v[17:18], v[31:32]
	v_add_f64 v[32:33], v[19:20], -v[25:26]
	v_add_f64 v[27:28], v[29:30], -v[36:37]
	v_add_f64 v[34:35], v[21:22], v[17:18]
	;; [unrolled: 3-line block ×3, first 2 shown]
	v_cvt_i32_f64_e32 v34, v[34:35]
	v_add_f64 v[25:26], v[25:26], -v[38:39]
	v_cvt_f64_i32_e32 v[32:33], v34
	v_add_f64 v[10:11], v[10:11], v[25:26]
	v_add_f64 v[17:18], v[17:18], -v[32:33]
	v_add_f64 v[10:11], v[13:14], v[10:11]
	v_add_f64 v[13:14], v[19:20], -v[15:16]
	v_add_f64 v[23:24], v[21:22], v[17:18]
	v_add_f64 v[8:9], v[8:9], v[10:11]
	v_add_f64 v[10:11], v[23:24], -v[17:18]
	v_cmp_le_f64_e32 vcc_lo, 0.5, v[23:24]
	v_add_f64 v[8:9], v[13:14], v[8:9]
	v_add_f64 v[10:11], v[21:22], -v[10:11]
	v_cndmask_b32_e64 v32, 0, 0x3ff00000, vcc_lo
	v_add_co_ci_u32_e64 v13, null, 0, v34, vcc_lo
	v_add_f64 v[8:9], v[8:9], v[10:11]
	v_add_f64 v[10:11], v[23:24], -v[31:32]
	v_add_f64 v[14:15], v[10:11], v[8:9]
	v_mul_f64 v[16:17], v[14:15], s[6:7]
	v_add_f64 v[10:11], v[14:15], -v[10:11]
	v_fma_f64 v[18:19], v[14:15], s[6:7], -v[16:17]
	v_add_f64 v[8:9], v[8:9], -v[10:11]
	v_fma_f64 v[10:11], v[14:15], s[12:13], v[18:19]
	v_fma_f64 v[10:11], v[8:9], s[6:7], v[10:11]
	v_add_f64 v[8:9], v[16:17], v[10:11]
	v_add_f64 v[14:15], v[8:9], -v[16:17]
	v_add_f64 v[10:11], v[10:11], -v[14:15]
	s_andn2_saveexec_b32 s4, s4
	s_cbranch_execnz .LBB79_47
	s_branch .LBB79_48
.LBB79_46:
	s_andn2_saveexec_b32 s4, s4
	s_cbranch_execz .LBB79_48
.LBB79_47:
	s_mov_b32 s6, 0x6dc9c883
	s_mov_b32 s7, 0x3fe45f30
	s_mov_b32 s13, 0xbc91a626
	v_mul_f64 v[8:9], |v[2:3]|, s[6:7]
	s_mov_b32 s6, 0x54442d18
	s_mov_b32 s7, 0xbff921fb
	;; [unrolled: 1-line block ×3, first 2 shown]
	v_rndne_f64_e32 v[13:14], v[8:9]
	v_fma_f64 v[8:9], v[13:14], s[6:7], |v[2:3]|
	v_mul_f64 v[10:11], v[13:14], s[12:13]
	s_mov_b32 s6, 0x252049c0
	s_mov_b32 s7, 0xb97b839a
	v_fma_f64 v[17:18], v[13:14], s[12:13], v[8:9]
	v_add_f64 v[15:16], v[8:9], v[10:11]
	s_mov_b32 s13, 0x3c91a626
	v_add_f64 v[8:9], v[8:9], -v[15:16]
	v_add_f64 v[15:16], v[15:16], -v[17:18]
	v_add_f64 v[8:9], v[8:9], v[10:11]
	v_fma_f64 v[10:11], v[13:14], s[12:13], v[10:11]
	v_add_f64 v[8:9], v[15:16], v[8:9]
	v_add_f64 v[8:9], v[8:9], -v[10:11]
	v_fma_f64 v[10:11], v[13:14], s[6:7], v[8:9]
	v_cvt_i32_f64_e32 v13, v[13:14]
	v_add_f64 v[8:9], v[17:18], v[10:11]
	v_add_f64 v[15:16], v[8:9], -v[17:18]
	v_add_f64 v[10:11], v[10:11], -v[15:16]
.LBB79_48:
	s_or_b32 exec_lo, exec_lo, s4
	s_mov_b32 s4, 0x652b82fe
	s_mov_b32 s5, 0x3ff71547
	s_mov_b32 s6, 0x6a5dcb37
	v_mul_f64 v[14:15], v[4:5], s[4:5]
	s_mov_b32 s4, 0xfefa39ef
	s_mov_b32 s5, 0xbfe62e42
	;; [unrolled: 1-line block ×3, first 2 shown]
	v_mul_f64 v[20:21], v[0:1], v[0:1]
	v_mul_f64 v[22:23], v[8:9], v[8:9]
	s_mov_b32 s12, 0x1852b7b0
	s_mov_b32 s13, 0x3f56c16c
	;; [unrolled: 1-line block ×6, first 2 shown]
	v_mul_f64 v[48:49], v[6:7], 0.5
	s_mov_b32 s18, 0x19f4ec90
	s_mov_b32 s19, 0x3efa01a0
	v_mul_f64 v[54:55], v[10:11], 0.5
	v_rndne_f64_e32 v[14:15], v[14:15]
	v_mul_f64 v[28:29], v[20:21], 0.5
	v_mul_f64 v[32:33], v[22:23], 0.5
	v_mul_f64 v[50:51], v[0:1], -v[20:21]
	v_mul_f64 v[64:65], v[8:9], -v[22:23]
	v_fma_f64 v[16:17], v[14:15], s[4:5], v[4:5]
	s_mov_b32 s4, 0x3b39803f
	s_mov_b32 s5, 0xbc7abc9e
	v_add_f64 v[36:37], -v[28:29], 1.0
	v_add_f64 v[38:39], -v[32:33], 1.0
	v_fma_f64 v[16:17], v[14:15], s[4:5], v[16:17]
	s_mov_b32 s4, 0xfca7ab0c
	s_mov_b32 s5, 0x3e928af3
	v_add_f64 v[52:53], -v[36:37], 1.0
	v_add_f64 v[66:67], -v[38:39], 1.0
	v_fma_f64 v[18:19], v[16:17], s[6:7], s[4:5]
	s_mov_b32 s4, 0x623fde64
	s_mov_b32 s5, 0x3ec71dee
	;; [unrolled: 1-line block ×4, first 2 shown]
	v_add_f64 v[28:29], v[52:53], -v[28:29]
	v_add_f64 v[32:33], v[66:67], -v[32:33]
	v_fma_f64 v[18:19], v[16:17], v[18:19], s[4:5]
	s_mov_b32 s4, 0x7c89e6b0
	s_mov_b32 s5, 0x3efa0199
	v_fma_f64 v[28:29], v[0:1], -v[6:7], v[28:29]
	v_fma_f64 v[18:19], v[16:17], v[18:19], s[4:5]
	s_mov_b32 s4, 0x14761f6e
	s_mov_b32 s5, 0x3f2a01a0
	v_fma_f64 v[18:19], v[16:17], v[18:19], s[4:5]
	s_mov_b32 s4, 0xb42fdfa7
	s_mov_b32 s5, 0xbe5ae600
	v_fma_f64 v[24:25], v[20:21], s[6:7], s[4:5]
	v_fma_f64 v[26:27], v[22:23], s[6:7], s[4:5]
	s_mov_b32 s6, 0x796cde01
	s_mov_b32 s7, 0x3ec71de3
	s_mov_b32 s4, 0x46cc5e42
	s_mov_b32 s5, 0xbda907db
	v_fma_f64 v[30:31], v[20:21], s[4:5], s[14:15]
	v_fma_f64 v[34:35], v[22:23], s[4:5], s[14:15]
	s_mov_b32 s4, 0xa17f65f6
	s_mov_b32 s5, 0xbe927e4f
	;; [unrolled: 1-line block ×4, first 2 shown]
	v_fma_f64 v[18:19], v[16:17], v[18:19], s[12:13]
	s_mov_b32 s13, 0x3f811111
	s_mov_b32 s12, 0x11122322
	v_fma_f64 v[24:25], v[20:21], v[24:25], s[6:7]
	v_fma_f64 v[26:27], v[22:23], v[26:27], s[6:7]
	s_mov_b32 s6, 0x19e83e5c
	s_mov_b32 s7, 0xbf2a01a0
	v_fma_f64 v[30:31], v[20:21], v[30:31], s[4:5]
	;; [unrolled: 4-line block ×3, first 2 shown]
	s_mov_b32 s12, 0x11110bb3
	v_fma_f64 v[24:25], v[20:21], v[24:25], s[6:7]
	v_fma_f64 v[26:27], v[22:23], v[26:27], s[6:7]
	s_mov_b32 s6, 0x16c16967
	s_mov_b32 s7, 0xbf56c16c
	v_fma_f64 v[30:31], v[20:21], v[30:31], s[18:19]
	v_fma_f64 v[34:35], v[22:23], v[34:35], s[18:19]
	;; [unrolled: 1-line block ×3, first 2 shown]
	s_mov_b32 s16, 0x55555555
	v_fma_f64 v[24:25], v[20:21], v[24:25], s[12:13]
	v_fma_f64 v[26:27], v[22:23], v[26:27], s[12:13]
	;; [unrolled: 1-line block ×4, first 2 shown]
	v_cmp_ngt_f64_e64 s6, 0xc090cc00, v[4:5]
	v_fma_f64 v[18:19], v[16:17], v[18:19], s[14:15]
	v_fma_f64 v[24:25], v[50:51], v[24:25], v[48:49]
	;; [unrolled: 1-line block ×3, first 2 shown]
	v_mul_f64 v[48:49], v[20:21], v[20:21]
	v_fma_f64 v[30:31], v[20:21], v[30:31], s[16:17]
	v_fma_f64 v[18:19], v[16:17], v[18:19], s[4:5]
	v_cmp_nlt_f64_e64 s5, 0x40900000, v[4:5]
	v_cmp_class_f64_e64 s4, v[2:3], 0x1f8
	v_lshlrev_b32_e32 v2, 30, v13
	v_fma_f64 v[6:7], v[20:21], v[24:25], -v[6:7]
	v_mul_f64 v[20:21], v[22:23], v[22:23]
	v_fma_f64 v[24:25], v[8:9], -v[10:11], v[32:33]
	v_fma_f64 v[32:33], v[22:23], v[34:35], s[16:17]
	v_fma_f64 v[10:11], v[22:23], v[26:27], -v[10:11]
	s_mov_b32 s17, 0xbfc55555
	v_cvt_i32_f64_e32 v26, v[14:15]
	v_fma_f64 v[22:23], v[48:49], v[30:31], v[28:29]
	v_and_b32_e32 v5, 1, v13
	v_lshlrev_b32_e32 v4, 30, v12
	v_xor_b32_e32 v2, v2, v3
	v_cmp_eq_u32_e64 s7, 0, v5
	v_and_b32_e32 v3, 0x80000000, v4
	v_and_b32_e32 v2, 0x80000000, v2
	v_fma_f64 v[18:19], v[16:17], v[18:19], 1.0
	v_fma_f64 v[6:7], v[50:51], s[16:17], v[6:7]
	v_fma_f64 v[10:11], v[64:65], s[16:17], v[10:11]
	v_fma_f64 v[14:15], v[16:17], v[18:19], 1.0
	v_fma_f64 v[16:17], v[20:21], v[32:33], v[24:25]
	v_add_f64 v[18:19], v[36:37], v[22:23]
	v_add_f64 v[0:1], v[0:1], -v[6:7]
	v_add_f64 v[8:9], v[8:9], -v[10:11]
	v_and_b32_e32 v10, 1, v12
	v_cmp_eq_u32_e32 vcc_lo, 0, v10
	v_ldexp_f64 v[6:7], v[14:15], v26
	v_add_f64 v[14:15], v[38:39], v[16:17]
	v_xor_b32_e32 v1, 0x80000000, v1
	v_cndmask_b32_e32 v0, v0, v18, vcc_lo
                                        ; implicit-def: $vgpr18
	v_cndmask_b32_e32 v1, v1, v19, vcc_lo
	s_and_b32 vcc_lo, s6, s5
	v_cndmask_b32_e64 v0, 0, v0, s4
	v_xor_b32_e32 v1, v1, v3
	v_cndmask_b32_e64 v1, 0x7ff80000, v1, s4
	v_cndmask_b32_e64 v7, 0x7ff00000, v7, s5
	;; [unrolled: 1-line block ×4, first 2 shown]
	v_xor_b32_e32 v3, v5, v2
	v_cndmask_b32_e64 v2, 0, v4, s4
	v_cndmask_b32_e64 v5, 0, v7, s6
	v_cndmask_b32_e32 v4, 0, v6, vcc_lo
	v_cndmask_b32_e64 v3, 0x7ff80000, v3, s4
	v_mul_f64 v[0:1], v[4:5], v[0:1]
	v_mul_f64 v[2:3], v[4:5], v[2:3]
                                        ; implicit-def: $vgpr4_vgpr5
.LBB79_49:
	s_andn2_saveexec_b32 s11, s11
	s_cbranch_execz .LBB79_52
; %bb.50:
	v_cmp_ngt_f64_e64 s4, 0x41d00000, |v[2:3]|
                                        ; implicit-def: $vgpr12
                                        ; implicit-def: $vgpr0_vgpr1
                                        ; implicit-def: $vgpr6_vgpr7
	s_and_saveexec_b32 s5, s4
	s_xor_b32 s5, exec_lo, s5
	s_cbranch_execz .LBB79_53
; %bb.51:
	v_ldexp_f64 v[0:1], |v[2:3]|, 0xffffff80
	v_cmp_le_f64_e64 vcc_lo, 0x7b000000, |v[2:3]|
	v_trig_preop_f64 v[6:7], |v[2:3]|, 0
	v_trig_preop_f64 v[8:9], |v[2:3]|, 1
	v_trig_preop_f64 v[19:20], |v[2:3]|, 2
	v_mov_b32_e32 v27, 0
	s_mov_b32 s6, 0x54442d18
	s_mov_b32 s7, 0x3ff921fb
	;; [unrolled: 1-line block ×4, first 2 shown]
	v_cndmask_b32_e32 v1, v18, v1, vcc_lo
	v_cndmask_b32_e32 v0, v2, v0, vcc_lo
	v_mul_f64 v[10:11], v[6:7], v[0:1]
	v_mul_f64 v[12:13], v[8:9], v[0:1]
	;; [unrolled: 1-line block ×3, first 2 shown]
	v_fma_f64 v[6:7], v[6:7], v[0:1], -v[10:11]
	v_fma_f64 v[8:9], v[8:9], v[0:1], -v[12:13]
	;; [unrolled: 1-line block ×3, first 2 shown]
	v_add_f64 v[14:15], v[12:13], v[6:7]
	v_add_f64 v[16:17], v[14:15], -v[12:13]
	v_add_f64 v[23:24], v[10:11], v[14:15]
	v_add_f64 v[21:22], v[14:15], -v[16:17]
	v_add_f64 v[6:7], v[6:7], -v[16:17]
	v_ldexp_f64 v[16:17], v[23:24], -2
	v_add_f64 v[10:11], v[23:24], -v[10:11]
	v_add_f64 v[12:13], v[12:13], -v[21:22]
	v_add_f64 v[21:22], v[25:26], v[8:9]
	v_cmp_neq_f64_e64 vcc_lo, 0x7ff00000, |v[16:17]|
	v_add_f64 v[10:11], v[14:15], -v[10:11]
	v_add_f64 v[6:7], v[6:7], v[12:13]
	v_fract_f64_e32 v[12:13], v[16:17]
	v_add_f64 v[14:15], v[21:22], v[6:7]
	v_ldexp_f64 v[12:13], v[12:13], 2
	v_add_f64 v[16:17], v[10:11], v[14:15]
	v_cndmask_b32_e32 v13, 0, v13, vcc_lo
	v_cndmask_b32_e32 v12, 0, v12, vcc_lo
	v_add_f64 v[23:24], v[16:17], v[12:13]
	v_add_f64 v[10:11], v[16:17], -v[10:11]
	v_cmp_gt_f64_e32 vcc_lo, 0, v[23:24]
	v_add_f64 v[23:24], v[21:22], -v[25:26]
	v_add_f64 v[10:11], v[14:15], -v[10:11]
	v_cndmask_b32_e64 v28, 0, 0x40100000, vcc_lo
	v_add_f64 v[32:33], v[21:22], -v[23:24]
	v_add_f64 v[8:9], v[8:9], -v[23:24]
	v_add_f64 v[12:13], v[12:13], v[27:28]
	v_add_f64 v[28:29], v[14:15], -v[21:22]
	v_add_f64 v[23:24], v[25:26], -v[32:33]
	v_add_f64 v[30:31], v[16:17], v[12:13]
	;; [unrolled: 3-line block ×3, first 2 shown]
	v_cvt_i32_f64_e32 v30, v[30:31]
	v_add_f64 v[21:22], v[21:22], -v[34:35]
	v_cvt_f64_i32_e32 v[28:29], v30
	v_add_f64 v[6:7], v[6:7], v[21:22]
	v_add_f64 v[12:13], v[12:13], -v[28:29]
	v_add_f64 v[6:7], v[8:9], v[6:7]
	v_add_f64 v[8:9], v[16:17], v[12:13]
	v_add_f64 v[0:1], v[0:1], v[6:7]
	v_add_f64 v[6:7], v[8:9], -v[12:13]
	v_cmp_le_f64_e32 vcc_lo, 0.5, v[8:9]
	v_add_f64 v[0:1], v[10:11], v[0:1]
	v_add_f64 v[6:7], v[16:17], -v[6:7]
	v_cndmask_b32_e64 v28, 0, 0x3ff00000, vcc_lo
	v_add_co_ci_u32_e64 v12, null, 0, v30, vcc_lo
	v_add_f64 v[0:1], v[0:1], v[6:7]
	v_add_f64 v[6:7], v[8:9], -v[27:28]
	v_add_f64 v[8:9], v[6:7], v[0:1]
	v_mul_f64 v[10:11], v[8:9], s[6:7]
	v_add_f64 v[6:7], v[8:9], -v[6:7]
	v_fma_f64 v[13:14], v[8:9], s[6:7], -v[10:11]
	v_add_f64 v[0:1], v[0:1], -v[6:7]
	v_fma_f64 v[6:7], v[8:9], s[12:13], v[13:14]
	v_fma_f64 v[6:7], v[0:1], s[6:7], v[6:7]
	v_add_f64 v[0:1], v[10:11], v[6:7]
	v_add_f64 v[8:9], v[0:1], -v[10:11]
	v_add_f64 v[6:7], v[6:7], -v[8:9]
	s_andn2_saveexec_b32 s5, s5
	s_cbranch_execz .LBB79_55
	s_branch .LBB79_54
.LBB79_52:
	s_or_b32 exec_lo, exec_lo, s11
                                        ; implicit-def: $vgpr4_vgpr5
                                        ; implicit-def: $vgpr6
	s_andn2_saveexec_b32 s5, s10
	s_cbranch_execnz .LBB79_61
	s_branch .LBB79_66
.LBB79_53:
	s_andn2_saveexec_b32 s5, s5
	s_cbranch_execz .LBB79_55
.LBB79_54:
	s_mov_b32 s6, 0x6dc9c883
	s_mov_b32 s7, 0x3fe45f30
	;; [unrolled: 1-line block ×3, first 2 shown]
	v_mul_f64 v[0:1], |v[2:3]|, s[6:7]
	s_mov_b32 s6, 0x54442d18
	s_mov_b32 s7, 0xbff921fb
	;; [unrolled: 1-line block ×3, first 2 shown]
	v_rndne_f64_e32 v[8:9], v[0:1]
	v_fma_f64 v[0:1], v[8:9], s[6:7], |v[2:3]|
	v_mul_f64 v[6:7], v[8:9], s[12:13]
	s_mov_b32 s6, 0x252049c0
	s_mov_b32 s7, 0xb97b839a
	v_fma_f64 v[12:13], v[8:9], s[12:13], v[0:1]
	v_add_f64 v[10:11], v[0:1], v[6:7]
	s_mov_b32 s13, 0x3c91a626
	v_add_f64 v[0:1], v[0:1], -v[10:11]
	v_add_f64 v[10:11], v[10:11], -v[12:13]
	v_add_f64 v[0:1], v[0:1], v[6:7]
	v_fma_f64 v[6:7], v[8:9], s[12:13], v[6:7]
	v_add_f64 v[0:1], v[10:11], v[0:1]
	v_add_f64 v[0:1], v[0:1], -v[6:7]
	v_fma_f64 v[6:7], v[8:9], s[6:7], v[0:1]
	v_add_f64 v[0:1], v[12:13], v[6:7]
	v_add_f64 v[10:11], v[0:1], -v[12:13]
	v_cvt_i32_f64_e32 v12, v[8:9]
	v_add_f64 v[6:7], v[6:7], -v[10:11]
.LBB79_55:
	s_or_b32 exec_lo, exec_lo, s5
                                        ; implicit-def: $vgpr13
                                        ; implicit-def: $vgpr8_vgpr9
                                        ; implicit-def: $vgpr10_vgpr11
	s_and_saveexec_b32 s5, s4
	s_xor_b32 s4, exec_lo, s5
	s_cbranch_execz .LBB79_57
; %bb.56:
	v_ldexp_f64 v[8:9], |v[2:3]|, 0xffffff80
	v_cmp_le_f64_e64 vcc_lo, 0x7b000000, |v[2:3]|
	v_trig_preop_f64 v[10:11], |v[2:3]|, 0
	v_trig_preop_f64 v[13:14], |v[2:3]|, 1
	;; [unrolled: 1-line block ×3, first 2 shown]
	v_mov_b32_e32 v31, 0
	s_mov_b32 s6, 0x54442d18
	s_mov_b32 s7, 0x3ff921fb
	;; [unrolled: 1-line block ×4, first 2 shown]
	v_cndmask_b32_e32 v9, v18, v9, vcc_lo
	v_cndmask_b32_e32 v8, v2, v8, vcc_lo
	v_mul_f64 v[15:16], v[10:11], v[8:9]
	v_mul_f64 v[17:18], v[13:14], v[8:9]
	;; [unrolled: 1-line block ×3, first 2 shown]
	v_fma_f64 v[10:11], v[10:11], v[8:9], -v[15:16]
	v_fma_f64 v[13:14], v[13:14], v[8:9], -v[17:18]
	;; [unrolled: 1-line block ×3, first 2 shown]
	v_add_f64 v[19:20], v[17:18], v[10:11]
	v_add_f64 v[21:22], v[19:20], -v[17:18]
	v_add_f64 v[27:28], v[15:16], v[19:20]
	v_add_f64 v[25:26], v[19:20], -v[21:22]
	v_add_f64 v[10:11], v[10:11], -v[21:22]
	v_ldexp_f64 v[21:22], v[27:28], -2
	v_add_f64 v[15:16], v[27:28], -v[15:16]
	v_add_f64 v[17:18], v[17:18], -v[25:26]
	v_add_f64 v[25:26], v[29:30], v[13:14]
	v_cmp_neq_f64_e64 vcc_lo, 0x7ff00000, |v[21:22]|
	v_add_f64 v[15:16], v[19:20], -v[15:16]
	v_add_f64 v[10:11], v[10:11], v[17:18]
	v_fract_f64_e32 v[17:18], v[21:22]
	v_add_f64 v[19:20], v[25:26], v[10:11]
	v_ldexp_f64 v[17:18], v[17:18], 2
	v_add_f64 v[21:22], v[15:16], v[19:20]
	v_cndmask_b32_e32 v18, 0, v18, vcc_lo
	v_cndmask_b32_e32 v17, 0, v17, vcc_lo
	v_add_f64 v[27:28], v[21:22], v[17:18]
	v_add_f64 v[15:16], v[21:22], -v[15:16]
	v_cmp_gt_f64_e32 vcc_lo, 0, v[27:28]
	v_add_f64 v[27:28], v[25:26], -v[29:30]
	v_cndmask_b32_e64 v32, 0, 0x40100000, vcc_lo
	v_add_f64 v[36:37], v[25:26], -v[27:28]
	v_add_f64 v[13:14], v[13:14], -v[27:28]
	v_add_f64 v[17:18], v[17:18], v[31:32]
	v_add_f64 v[32:33], v[19:20], -v[25:26]
	v_add_f64 v[27:28], v[29:30], -v[36:37]
	v_add_f64 v[34:35], v[21:22], v[17:18]
	;; [unrolled: 3-line block ×3, first 2 shown]
	v_cvt_i32_f64_e32 v34, v[34:35]
	v_add_f64 v[25:26], v[25:26], -v[38:39]
	v_cvt_f64_i32_e32 v[32:33], v34
	v_add_f64 v[10:11], v[10:11], v[25:26]
	v_add_f64 v[17:18], v[17:18], -v[32:33]
	v_add_f64 v[10:11], v[13:14], v[10:11]
	v_add_f64 v[13:14], v[19:20], -v[15:16]
	v_add_f64 v[23:24], v[21:22], v[17:18]
	v_add_f64 v[8:9], v[8:9], v[10:11]
	v_add_f64 v[10:11], v[23:24], -v[17:18]
	v_cmp_le_f64_e32 vcc_lo, 0.5, v[23:24]
	v_add_f64 v[8:9], v[13:14], v[8:9]
	v_add_f64 v[10:11], v[21:22], -v[10:11]
	v_cndmask_b32_e64 v32, 0, 0x3ff00000, vcc_lo
	v_add_co_ci_u32_e64 v13, null, 0, v34, vcc_lo
	v_add_f64 v[8:9], v[8:9], v[10:11]
	v_add_f64 v[10:11], v[23:24], -v[31:32]
	v_add_f64 v[14:15], v[10:11], v[8:9]
	v_mul_f64 v[16:17], v[14:15], s[6:7]
	v_add_f64 v[10:11], v[14:15], -v[10:11]
	v_fma_f64 v[18:19], v[14:15], s[6:7], -v[16:17]
	v_add_f64 v[8:9], v[8:9], -v[10:11]
	v_fma_f64 v[10:11], v[14:15], s[12:13], v[18:19]
	v_fma_f64 v[10:11], v[8:9], s[6:7], v[10:11]
	v_add_f64 v[8:9], v[16:17], v[10:11]
	v_add_f64 v[14:15], v[8:9], -v[16:17]
	v_add_f64 v[10:11], v[10:11], -v[14:15]
	s_andn2_saveexec_b32 s4, s4
	s_cbranch_execnz .LBB79_58
	s_branch .LBB79_59
.LBB79_57:
	s_andn2_saveexec_b32 s4, s4
	s_cbranch_execz .LBB79_59
.LBB79_58:
	s_mov_b32 s6, 0x6dc9c883
	s_mov_b32 s7, 0x3fe45f30
	;; [unrolled: 1-line block ×3, first 2 shown]
	v_mul_f64 v[8:9], |v[2:3]|, s[6:7]
	s_mov_b32 s6, 0x54442d18
	s_mov_b32 s7, 0xbff921fb
	;; [unrolled: 1-line block ×3, first 2 shown]
	v_rndne_f64_e32 v[13:14], v[8:9]
	v_fma_f64 v[8:9], v[13:14], s[6:7], |v[2:3]|
	v_mul_f64 v[10:11], v[13:14], s[12:13]
	s_mov_b32 s6, 0x252049c0
	s_mov_b32 s7, 0xb97b839a
	v_fma_f64 v[17:18], v[13:14], s[12:13], v[8:9]
	v_add_f64 v[15:16], v[8:9], v[10:11]
	s_mov_b32 s13, 0x3c91a626
	v_add_f64 v[8:9], v[8:9], -v[15:16]
	v_add_f64 v[15:16], v[15:16], -v[17:18]
	v_add_f64 v[8:9], v[8:9], v[10:11]
	v_fma_f64 v[10:11], v[13:14], s[12:13], v[10:11]
	v_add_f64 v[8:9], v[15:16], v[8:9]
	v_add_f64 v[8:9], v[8:9], -v[10:11]
	v_fma_f64 v[10:11], v[13:14], s[6:7], v[8:9]
	v_cvt_i32_f64_e32 v13, v[13:14]
	v_add_f64 v[8:9], v[17:18], v[10:11]
	v_add_f64 v[15:16], v[8:9], -v[17:18]
	v_add_f64 v[10:11], v[10:11], -v[15:16]
.LBB79_59:
	s_or_b32 exec_lo, exec_lo, s4
	s_mov_b32 s4, 0x19ba0da4
	s_mov_b32 s5, 0xc0937be3
	;; [unrolled: 1-line block ×3, first 2 shown]
	v_add_f64 v[4:5], v[4:5], s[4:5]
	s_mov_b32 s4, 0x652b82fe
	s_mov_b32 s5, 0x3ff71547
	;; [unrolled: 1-line block ×3, first 2 shown]
	v_mul_f64 v[20:21], v[0:1], v[0:1]
	v_mul_f64 v[22:23], v[8:9], v[8:9]
	s_mov_b32 s12, 0x1852b7b0
	s_mov_b32 s13, 0x3f56c16c
	;; [unrolled: 1-line block ×5, first 2 shown]
	v_mul_f64 v[48:49], v[6:7], 0.5
	v_mul_f64 v[54:55], v[10:11], 0.5
	v_mul_f64 v[14:15], v[4:5], s[4:5]
	s_mov_b32 s4, 0xfefa39ef
	s_mov_b32 s5, 0xbfe62e42
	v_mul_f64 v[30:31], v[20:21], 0.5
	v_mul_f64 v[34:35], v[22:23], 0.5
	v_mul_f64 v[50:51], v[0:1], -v[20:21]
	v_mul_f64 v[64:65], v[8:9], -v[22:23]
	v_rndne_f64_e32 v[14:15], v[14:15]
	v_add_f64 v[36:37], -v[30:31], 1.0
	v_add_f64 v[38:39], -v[34:35], 1.0
	v_fma_f64 v[16:17], v[14:15], s[4:5], v[4:5]
	s_mov_b32 s4, 0x3b39803f
	s_mov_b32 s5, 0xbc7abc9e
	v_add_f64 v[52:53], -v[36:37], 1.0
	v_add_f64 v[66:67], -v[38:39], 1.0
	v_fma_f64 v[16:17], v[14:15], s[4:5], v[16:17]
	s_mov_b32 s4, 0xfca7ab0c
	s_mov_b32 s5, 0x3e928af3
	v_add_f64 v[30:31], v[52:53], -v[30:31]
	v_add_f64 v[34:35], v[66:67], -v[34:35]
	v_fma_f64 v[18:19], v[16:17], s[6:7], s[4:5]
	s_mov_b32 s4, 0x623fde64
	s_mov_b32 s5, 0x3ec71dee
	;; [unrolled: 1-line block ×4, first 2 shown]
	v_fma_f64 v[30:31], v[0:1], -v[6:7], v[30:31]
	v_fma_f64 v[18:19], v[16:17], v[18:19], s[4:5]
	s_mov_b32 s4, 0x7c89e6b0
	s_mov_b32 s5, 0x3efa0199
	v_fma_f64 v[18:19], v[16:17], v[18:19], s[4:5]
	s_mov_b32 s4, 0x14761f6e
	s_mov_b32 s5, 0x3f2a01a0
	;; [unrolled: 3-line block ×3, first 2 shown]
	v_fma_f64 v[24:25], v[20:21], s[6:7], s[4:5]
	v_fma_f64 v[26:27], v[22:23], s[6:7], s[4:5]
	s_mov_b32 s6, 0x11110bb3
	s_mov_b32 s7, 0x3f811111
	;; [unrolled: 1-line block ×5, first 2 shown]
	v_fma_f64 v[18:19], v[16:17], v[18:19], s[12:13]
	s_mov_b32 s12, 0x9037ab78
	s_mov_b32 s13, 0x3e21eeb6
	v_fma_f64 v[24:25], v[20:21], v[24:25], s[4:5]
	v_fma_f64 v[28:29], v[20:21], s[14:15], s[12:13]
	;; [unrolled: 1-line block ×4, first 2 shown]
	s_mov_b32 s4, 0x55555555
	s_mov_b32 s5, 0x3fa55555
	s_mov_b32 s12, 0x19e83e5c
	s_mov_b32 s13, 0xbf2a01a0
	s_mov_b32 s14, 0x555502a1
	s_mov_b32 s15, s5
	v_fma_f64 v[18:19], v[16:17], v[18:19], s[16:17]
	s_mov_b32 s16, 0xa17f65f6
	s_mov_b32 s17, 0xbe927e4f
	v_fma_f64 v[24:25], v[20:21], v[24:25], s[12:13]
	v_fma_f64 v[28:29], v[20:21], v[28:29], s[16:17]
	v_fma_f64 v[32:33], v[22:23], v[32:33], s[16:17]
	v_fma_f64 v[26:27], v[22:23], v[26:27], s[12:13]
	s_mov_b32 s12, 0x55555511
	s_mov_b32 s13, 0x3fc55555
	v_fma_f64 v[18:19], v[16:17], v[18:19], s[14:15]
	s_mov_b32 s14, 0x19f4ec90
	s_mov_b32 s15, 0x3efa01a0
	v_fma_f64 v[24:25], v[20:21], v[24:25], s[6:7]
	v_fma_f64 v[28:29], v[20:21], v[28:29], s[14:15]
	;; [unrolled: 1-line block ×4, first 2 shown]
	s_mov_b32 s6, 0x16c16967
	s_mov_b32 s7, 0xbf56c16c
	v_fma_f64 v[18:19], v[16:17], v[18:19], s[12:13]
	s_mov_b32 s12, 11
	s_mov_b32 s13, 0x3fe00000
	v_fma_f64 v[24:25], v[50:51], v[24:25], v[48:49]
	v_fma_f64 v[28:29], v[20:21], v[28:29], s[6:7]
	v_fma_f64 v[32:33], v[22:23], v[32:33], s[6:7]
	v_fma_f64 v[26:27], v[64:65], v[26:27], v[54:55]
	v_mul_f64 v[48:49], v[20:21], v[20:21]
	v_cmp_ngt_f64_e64 s6, 0xc090cc00, v[4:5]
	v_fma_f64 v[18:19], v[16:17], v[18:19], s[12:13]
	v_fma_f64 v[6:7], v[20:21], v[24:25], -v[6:7]
	v_fma_f64 v[28:29], v[20:21], v[28:29], s[4:5]
	v_mul_f64 v[20:21], v[22:23], v[22:23]
	v_fma_f64 v[24:25], v[22:23], v[32:33], s[4:5]
	v_fma_f64 v[32:33], v[8:9], -v[10:11], v[34:35]
	v_fma_f64 v[10:11], v[22:23], v[26:27], -v[10:11]
	s_mov_b32 s5, 0xbfc55555
	v_cvt_i32_f64_e32 v26, v[14:15]
	v_fma_f64 v[18:19], v[16:17], v[18:19], 1.0
	v_fma_f64 v[6:7], v[50:51], s[4:5], v[6:7]
	v_fma_f64 v[22:23], v[48:49], v[28:29], v[30:31]
	;; [unrolled: 1-line block ×3, first 2 shown]
	v_cmp_nlt_f64_e64 s5, 0x40900000, v[4:5]
	v_cmp_class_f64_e64 s4, v[2:3], 0x1f8
	v_lshlrev_b32_e32 v2, 30, v13
	v_and_b32_e32 v5, 1, v13
	v_lshlrev_b32_e32 v4, 30, v12
	v_xor_b32_e32 v2, v2, v3
	v_cmp_eq_u32_e64 s7, 0, v5
	v_and_b32_e32 v3, 0x80000000, v4
	v_and_b32_e32 v2, 0x80000000, v2
	v_fma_f64 v[14:15], v[16:17], v[18:19], 1.0
	v_fma_f64 v[16:17], v[20:21], v[24:25], v[32:33]
	v_add_f64 v[0:1], v[0:1], -v[6:7]
	v_add_f64 v[18:19], v[36:37], v[22:23]
	v_add_f64 v[8:9], v[8:9], -v[10:11]
	v_and_b32_e32 v10, 1, v12
	v_cmp_eq_u32_e32 vcc_lo, 0, v10
	v_ldexp_f64 v[6:7], v[14:15], v26
	v_add_f64 v[14:15], v[38:39], v[16:17]
	v_xor_b32_e32 v1, 0x80000000, v1
	v_cndmask_b32_e32 v0, v0, v18, vcc_lo
	v_cndmask_b32_e32 v1, v1, v19, vcc_lo
	s_and_b32 vcc_lo, s6, s5
	v_cndmask_b32_e64 v0, 0, v0, s4
	v_xor_b32_e32 v1, v1, v3
	v_cndmask_b32_e64 v1, 0x7ff80000, v1, s4
	v_cndmask_b32_e64 v7, 0x7ff00000, v7, s5
	;; [unrolled: 1-line block ×5, first 2 shown]
	s_mov_b32 s7, 0xfffff
	v_lshrrev_b32_e32 v3, 20, v4
	v_xor_b32_e32 v7, v7, v2
	v_cndmask_b32_e64 v2, 0, v5, s4
	v_and_or_b32 v5, v4, s7, 0x7fe00000
	v_cndmask_b32_e32 v4, 0, v6, vcc_lo
	v_add_nc_u32_e32 v8, 0xffffff09, v3
	v_cndmask_b32_e64 v3, 0x7ff80000, v7, s4
	v_mul_f64 v[0:1], v[4:5], v[0:1]
	v_lshrrev_b16 v6, 15, v8
	v_mul_f64 v[2:3], v[4:5], v[2:3]
	v_add_nc_u16 v4, v8, v6
	v_ashrrev_i16 v4, 1, v4
	v_bfe_i32 v6, v4, 0, 16
	v_mov_b32_e32 v4, 0
	v_lshl_add_u32 v5, v6, 20, 0x3ff00000
	v_mul_f64 v[0:1], v[0:1], v[4:5]
	v_mul_f64 v[2:3], v[2:3], v[4:5]
	v_sub_nc_u32_e32 v5, v8, v6
	v_lshl_add_u32 v5, v5, 20, 0x3ff00000
	v_mul_f64 v[0:1], v[0:1], v[4:5]
	v_mul_f64 v[2:3], v[2:3], v[4:5]
	s_or_b32 exec_lo, exec_lo, s11
                                        ; implicit-def: $vgpr4_vgpr5
                                        ; implicit-def: $vgpr6
.LBB79_60:
	s_andn2_saveexec_b32 s5, s10
	s_cbranch_execz .LBB79_66
.LBB79_61:
	v_add_f64 v[2:3], v[2:3], -v[2:3]
	v_cmp_ne_u32_e32 vcc_lo, 0, v4
	v_cmp_ne_u32_e64 s4, 0x7ff00000, v6
	s_or_b32 s4, vcc_lo, s4
	s_and_saveexec_b32 s6, s4
	s_xor_b32 s4, exec_lo, s6
; %bb.62:
                                        ; implicit-def: $vgpr4_vgpr5
; %bb.63:
	s_or_saveexec_b32 s4, s4
	v_mov_b32_e32 v0, v2
	v_mov_b32_e32 v1, v3
	s_xor_b32 exec_lo, exec_lo, s4
; %bb.64:
	v_cmp_lt_i64_e32 vcc_lo, -1, v[4:5]
	v_cndmask_b32_e32 v1, 0, v5, vcc_lo
	v_cndmask_b32_e32 v0, 0, v4, vcc_lo
	;; [unrolled: 1-line block ×4, first 2 shown]
; %bb.65:
	s_or_b32 exec_lo, exec_lo, s4
.LBB79_66:
	s_or_b32 exec_lo, exec_lo, s5
                                        ; implicit-def: $vgpr18
.LBB79_67:
	s_andn2_saveexec_b32 s6, s9
	s_cbranch_execz .LBB79_77
; %bb.68:
	v_cmp_ngt_f64_e64 s4, 0x41d00000, |v[2:3]|
	v_trig_preop_f64 v[10:11], |v[2:3]|, 0
	v_trig_preop_f64 v[8:9], |v[2:3]|, 1
	v_ldexp_f64 v[14:15], |v[2:3]|, 0xffffff80
	v_trig_preop_f64 v[6:7], |v[2:3]|, 2
                                        ; implicit-def: $vgpr19
                                        ; implicit-def: $vgpr0_vgpr1
                                        ; implicit-def: $vgpr4_vgpr5
	s_and_saveexec_b32 s5, s4
	s_xor_b32 s5, exec_lo, s5
	s_cbranch_execz .LBB79_70
; %bb.69:
	v_cmp_le_f64_e64 vcc_lo, 0x7b000000, |v[2:3]|
	v_mov_b32_e32 v31, 0
	s_mov_b32 s10, 0x54442d18
	s_mov_b32 s11, 0x3ff921fb
	;; [unrolled: 1-line block ×4, first 2 shown]
	v_cndmask_b32_e32 v1, v18, v15, vcc_lo
	v_cndmask_b32_e32 v0, v2, v14, vcc_lo
	v_mul_f64 v[4:5], v[10:11], v[0:1]
	v_mul_f64 v[12:13], v[8:9], v[0:1]
	;; [unrolled: 1-line block ×3, first 2 shown]
	v_fma_f64 v[16:17], v[10:11], v[0:1], -v[4:5]
	v_fma_f64 v[29:30], v[8:9], v[0:1], -v[12:13]
	;; [unrolled: 1-line block ×3, first 2 shown]
	v_add_f64 v[19:20], v[12:13], v[16:17]
	v_add_f64 v[21:22], v[19:20], -v[12:13]
	v_add_f64 v[25:26], v[4:5], v[19:20]
	v_add_f64 v[23:24], v[19:20], -v[21:22]
	v_add_f64 v[16:17], v[16:17], -v[21:22]
	v_ldexp_f64 v[21:22], v[25:26], -2
	v_add_f64 v[4:5], v[25:26], -v[4:5]
	v_add_f64 v[12:13], v[12:13], -v[23:24]
	v_add_f64 v[23:24], v[27:28], v[29:30]
	v_cmp_neq_f64_e64 vcc_lo, 0x7ff00000, |v[21:22]|
	v_add_f64 v[4:5], v[19:20], -v[4:5]
	v_add_f64 v[12:13], v[16:17], v[12:13]
	v_fract_f64_e32 v[16:17], v[21:22]
	v_add_f64 v[19:20], v[23:24], v[12:13]
	v_ldexp_f64 v[16:17], v[16:17], 2
	v_add_f64 v[21:22], v[4:5], v[19:20]
	v_cndmask_b32_e32 v17, 0, v17, vcc_lo
	v_cndmask_b32_e32 v16, 0, v16, vcc_lo
	v_add_f64 v[25:26], v[21:22], v[16:17]
	v_add_f64 v[4:5], v[21:22], -v[4:5]
	v_cmp_gt_f64_e32 vcc_lo, 0, v[25:26]
	v_add_f64 v[25:26], v[23:24], -v[27:28]
	v_add_f64 v[4:5], v[19:20], -v[4:5]
	v_cndmask_b32_e64 v32, 0, 0x40100000, vcc_lo
	v_add_f64 v[36:37], v[23:24], -v[25:26]
	v_add_f64 v[25:26], v[29:30], -v[25:26]
	v_add_f64 v[16:17], v[16:17], v[31:32]
	v_add_f64 v[32:33], v[19:20], -v[23:24]
	v_add_f64 v[29:30], v[27:28], -v[36:37]
	v_add_f64 v[34:35], v[21:22], v[16:17]
	;; [unrolled: 3-line block ×3, first 2 shown]
	v_cvt_i32_f64_e32 v34, v[34:35]
	v_add_f64 v[23:24], v[23:24], -v[38:39]
	v_cvt_f64_i32_e32 v[32:33], v34
	v_add_f64 v[12:13], v[12:13], v[23:24]
	v_add_f64 v[16:17], v[16:17], -v[32:33]
	v_add_f64 v[12:13], v[25:26], v[12:13]
	v_add_f64 v[23:24], v[21:22], v[16:17]
	;; [unrolled: 1-line block ×3, first 2 shown]
	v_add_f64 v[12:13], v[23:24], -v[16:17]
	v_cmp_le_f64_e32 vcc_lo, 0.5, v[23:24]
	v_add_f64 v[0:1], v[4:5], v[0:1]
	v_add_f64 v[4:5], v[21:22], -v[12:13]
	v_cndmask_b32_e64 v32, 0, 0x3ff00000, vcc_lo
	v_add_co_ci_u32_e64 v19, null, 0, v34, vcc_lo
	v_add_f64 v[0:1], v[0:1], v[4:5]
	v_add_f64 v[4:5], v[23:24], -v[31:32]
	v_add_f64 v[12:13], v[4:5], v[0:1]
	v_mul_f64 v[16:17], v[12:13], s[10:11]
	v_add_f64 v[4:5], v[12:13], -v[4:5]
	v_fma_f64 v[20:21], v[12:13], s[10:11], -v[16:17]
	v_add_f64 v[0:1], v[0:1], -v[4:5]
	v_fma_f64 v[4:5], v[12:13], s[12:13], v[20:21]
	v_fma_f64 v[4:5], v[0:1], s[10:11], v[4:5]
	v_add_f64 v[0:1], v[16:17], v[4:5]
	v_add_f64 v[12:13], v[0:1], -v[16:17]
	v_add_f64 v[4:5], v[4:5], -v[12:13]
	s_andn2_saveexec_b32 s5, s5
	s_cbranch_execz .LBB79_72
	s_branch .LBB79_71
.LBB79_70:
	s_andn2_saveexec_b32 s5, s5
	s_cbranch_execz .LBB79_72
.LBB79_71:
	s_mov_b32 s10, 0x6dc9c883
	s_mov_b32 s11, 0x3fe45f30
	;; [unrolled: 1-line block ×3, first 2 shown]
	v_mul_f64 v[0:1], |v[2:3]|, s[10:11]
	s_mov_b32 s10, 0x54442d18
	s_mov_b32 s11, 0xbff921fb
	;; [unrolled: 1-line block ×3, first 2 shown]
	v_rndne_f64_e32 v[12:13], v[0:1]
	v_fma_f64 v[0:1], v[12:13], s[10:11], |v[2:3]|
	v_mul_f64 v[4:5], v[12:13], s[12:13]
	s_mov_b32 s10, 0x252049c0
	s_mov_b32 s11, 0xb97b839a
	v_fma_f64 v[19:20], v[12:13], s[12:13], v[0:1]
	v_add_f64 v[16:17], v[0:1], v[4:5]
	s_mov_b32 s13, 0x3c91a626
	v_add_f64 v[0:1], v[0:1], -v[16:17]
	v_add_f64 v[16:17], v[16:17], -v[19:20]
	v_add_f64 v[0:1], v[0:1], v[4:5]
	v_fma_f64 v[4:5], v[12:13], s[12:13], v[4:5]
	v_add_f64 v[0:1], v[16:17], v[0:1]
	v_add_f64 v[0:1], v[0:1], -v[4:5]
	v_fma_f64 v[4:5], v[12:13], s[10:11], v[0:1]
	v_add_f64 v[0:1], v[19:20], v[4:5]
	v_add_f64 v[16:17], v[0:1], -v[19:20]
	v_cvt_i32_f64_e32 v19, v[12:13]
	v_add_f64 v[4:5], v[4:5], -v[16:17]
.LBB79_72:
	s_or_b32 exec_lo, exec_lo, s5
                                        ; implicit-def: $vgpr20
                                        ; implicit-def: $vgpr12_vgpr13
                                        ; implicit-def: $vgpr16_vgpr17
	s_and_saveexec_b32 s5, s4
	s_xor_b32 s4, exec_lo, s5
	s_cbranch_execz .LBB79_74
; %bb.73:
	v_cmp_le_f64_e64 vcc_lo, 0x7b000000, |v[2:3]|
	v_mov_b32_e32 v30, 0
	s_mov_b32 s10, 0x54442d18
	s_mov_b32 s11, 0x3ff921fb
	;; [unrolled: 1-line block ×4, first 2 shown]
	v_cndmask_b32_e32 v13, v18, v15, vcc_lo
	v_cndmask_b32_e32 v12, v2, v14, vcc_lo
	v_mul_f64 v[14:15], v[10:11], v[12:13]
	v_mul_f64 v[16:17], v[8:9], v[12:13]
	;; [unrolled: 1-line block ×3, first 2 shown]
	v_fma_f64 v[10:11], v[10:11], v[12:13], -v[14:15]
	v_fma_f64 v[8:9], v[8:9], v[12:13], -v[16:17]
	v_fma_f64 v[6:7], v[6:7], v[12:13], -v[28:29]
	v_add_f64 v[20:21], v[16:17], v[10:11]
	v_add_f64 v[22:23], v[20:21], -v[16:17]
	v_add_f64 v[26:27], v[14:15], v[20:21]
	v_add_f64 v[24:25], v[20:21], -v[22:23]
	v_add_f64 v[10:11], v[10:11], -v[22:23]
	v_ldexp_f64 v[22:23], v[26:27], -2
	v_add_f64 v[14:15], v[26:27], -v[14:15]
	v_add_f64 v[16:17], v[16:17], -v[24:25]
	v_add_f64 v[24:25], v[28:29], v[8:9]
	v_cmp_neq_f64_e64 vcc_lo, 0x7ff00000, |v[22:23]|
	v_add_f64 v[14:15], v[20:21], -v[14:15]
	v_add_f64 v[10:11], v[10:11], v[16:17]
	v_fract_f64_e32 v[16:17], v[22:23]
	v_add_f64 v[20:21], v[24:25], v[10:11]
	v_ldexp_f64 v[16:17], v[16:17], 2
	v_add_f64 v[22:23], v[14:15], v[20:21]
	v_cndmask_b32_e32 v17, 0, v17, vcc_lo
	v_cndmask_b32_e32 v16, 0, v16, vcc_lo
	v_add_f64 v[26:27], v[22:23], v[16:17]
	v_add_f64 v[12:13], v[22:23], -v[14:15]
	v_cmp_gt_f64_e32 vcc_lo, 0, v[26:27]
	v_add_f64 v[26:27], v[24:25], -v[28:29]
	v_add_f64 v[12:13], v[20:21], -v[12:13]
	v_cndmask_b32_e64 v31, 0, 0x40100000, vcc_lo
	v_add_f64 v[35:36], v[24:25], -v[26:27]
	v_add_f64 v[8:9], v[8:9], -v[26:27]
	v_add_f64 v[16:17], v[16:17], v[30:31]
	v_add_f64 v[31:32], v[20:21], -v[24:25]
	v_add_f64 v[26:27], v[28:29], -v[35:36]
	v_add_f64 v[33:34], v[22:23], v[16:17]
	;; [unrolled: 3-line block ×3, first 2 shown]
	v_cvt_i32_f64_e32 v18, v[33:34]
	v_add_f64 v[24:25], v[24:25], -v[37:38]
	v_cvt_f64_i32_e32 v[31:32], v18
	v_add_f64 v[10:11], v[10:11], v[24:25]
	v_add_f64 v[16:17], v[16:17], -v[31:32]
	v_add_f64 v[8:9], v[8:9], v[10:11]
	v_add_f64 v[10:11], v[22:23], v[16:17]
	;; [unrolled: 1-line block ×3, first 2 shown]
	v_add_f64 v[8:9], v[10:11], -v[16:17]
	v_cmp_le_f64_e32 vcc_lo, 0.5, v[10:11]
	v_add_f64 v[6:7], v[12:13], v[6:7]
	v_add_f64 v[8:9], v[22:23], -v[8:9]
	v_cndmask_b32_e64 v31, 0, 0x3ff00000, vcc_lo
	v_add_co_ci_u32_e64 v20, null, 0, v18, vcc_lo
	v_add_f64 v[6:7], v[6:7], v[8:9]
	v_add_f64 v[8:9], v[10:11], -v[30:31]
	v_add_f64 v[10:11], v[8:9], v[6:7]
	v_mul_f64 v[14:15], v[10:11], s[10:11]
	v_add_f64 v[8:9], v[10:11], -v[8:9]
	v_fma_f64 v[12:13], v[10:11], s[10:11], -v[14:15]
	v_add_f64 v[6:7], v[6:7], -v[8:9]
	v_fma_f64 v[8:9], v[10:11], s[12:13], v[12:13]
	v_fma_f64 v[6:7], v[6:7], s[10:11], v[8:9]
	v_add_f64 v[12:13], v[14:15], v[6:7]
	v_add_f64 v[8:9], v[12:13], -v[14:15]
	v_add_f64 v[16:17], v[6:7], -v[8:9]
	s_andn2_saveexec_b32 s4, s4
	s_cbranch_execnz .LBB79_75
	s_branch .LBB79_76
.LBB79_74:
	s_andn2_saveexec_b32 s4, s4
	s_cbranch_execz .LBB79_76
.LBB79_75:
	s_mov_b32 s10, 0x6dc9c883
	s_mov_b32 s11, 0x3fe45f30
	;; [unrolled: 1-line block ×3, first 2 shown]
	v_mul_f64 v[6:7], |v[2:3]|, s[10:11]
	s_mov_b32 s10, 0x54442d18
	s_mov_b32 s11, 0xbff921fb
	;; [unrolled: 1-line block ×3, first 2 shown]
	v_rndne_f64_e32 v[6:7], v[6:7]
	v_fma_f64 v[8:9], v[6:7], s[10:11], |v[2:3]|
	v_mul_f64 v[10:11], v[6:7], s[12:13]
	s_mov_b32 s10, 0x252049c0
	s_mov_b32 s11, 0xb97b839a
	v_cvt_i32_f64_e32 v20, v[6:7]
	v_fma_f64 v[14:15], v[6:7], s[12:13], v[8:9]
	v_add_f64 v[12:13], v[8:9], v[10:11]
	s_mov_b32 s13, 0x3c91a626
	v_add_f64 v[8:9], v[8:9], -v[12:13]
	v_add_f64 v[12:13], v[12:13], -v[14:15]
	v_add_f64 v[8:9], v[8:9], v[10:11]
	v_fma_f64 v[10:11], v[6:7], s[12:13], v[10:11]
	v_add_f64 v[8:9], v[12:13], v[8:9]
	v_add_f64 v[8:9], v[8:9], -v[10:11]
	v_fma_f64 v[8:9], v[6:7], s[10:11], v[8:9]
	v_add_f64 v[12:13], v[14:15], v[8:9]
	v_add_f64 v[10:11], v[12:13], -v[14:15]
	v_add_f64 v[16:17], v[8:9], -v[10:11]
.LBB79_76:
	s_or_b32 exec_lo, exec_lo, s4
	v_mul_f64 v[6:7], v[0:1], v[0:1]
	v_mul_f64 v[8:9], v[12:13], v[12:13]
	s_mov_b32 s4, 0xb42fdfa7
	s_mov_b32 s10, 0xf9a43bb8
	;; [unrolled: 1-line block ×6, first 2 shown]
	v_mul_f64 v[33:34], v[4:5], 0.5
	v_mul_f64 v[48:49], v[16:17], 0.5
	v_fma_f64 v[10:11], v[6:7], s[10:11], s[4:5]
	v_fma_f64 v[14:15], v[8:9], s[10:11], s[4:5]
	s_mov_b32 s10, 0x796cde01
	s_mov_b32 s11, 0x3ec71de3
	v_mul_f64 v[23:24], v[6:7], 0.5
	s_mov_b32 s4, 0x46cc5e42
	s_mov_b32 s5, 0xbda907db
	v_mul_f64 v[27:28], v[8:9], 0.5
	v_fma_f64 v[21:22], v[6:7], s[4:5], s[12:13]
	v_fma_f64 v[25:26], v[8:9], s[4:5], s[12:13]
	s_mov_b32 s4, 0xa17f65f6
	s_mov_b32 s5, 0xbe927e4f
	v_mul_f64 v[35:36], v[0:1], -v[6:7]
	s_mov_b32 s12, 0x19f4ec90
	s_mov_b32 s13, 0x3efa01a0
	v_mul_f64 v[50:51], v[12:13], -v[8:9]
	v_fma_f64 v[10:11], v[6:7], v[10:11], s[10:11]
	v_fma_f64 v[14:15], v[8:9], v[14:15], s[10:11]
	s_mov_b32 s10, 0x19e83e5c
	s_mov_b32 s11, 0xbf2a01a0
	v_add_f64 v[29:30], -v[23:24], 1.0
	v_add_f64 v[31:32], -v[27:28], 1.0
	v_fma_f64 v[21:22], v[6:7], v[21:22], s[4:5]
	v_fma_f64 v[25:26], v[8:9], v[25:26], s[4:5]
	s_mov_b32 s4, 0x11110bb3
	s_mov_b32 s5, 0x3f811111
	v_fma_f64 v[10:11], v[6:7], v[10:11], s[10:11]
	v_fma_f64 v[14:15], v[8:9], v[14:15], s[10:11]
	v_add_f64 v[37:38], -v[29:30], 1.0
	v_add_f64 v[52:53], -v[31:32], 1.0
	v_fma_f64 v[21:22], v[6:7], v[21:22], s[12:13]
	v_fma_f64 v[25:26], v[8:9], v[25:26], s[12:13]
	;; [unrolled: 1-line block ×4, first 2 shown]
	s_mov_b32 s4, 0x16c16967
	s_mov_b32 s5, 0xbf56c16c
	v_add_f64 v[23:24], v[37:38], -v[23:24]
	v_add_f64 v[27:28], v[52:53], -v[27:28]
	v_fma_f64 v[21:22], v[6:7], v[21:22], s[4:5]
	v_fma_f64 v[25:26], v[8:9], v[25:26], s[4:5]
	s_mov_b32 s4, 0x55555555
	s_mov_b32 s5, 0x3fa55555
	v_fma_f64 v[10:11], v[35:36], v[10:11], v[33:34]
	v_fma_f64 v[14:15], v[50:51], v[14:15], v[48:49]
	v_mul_f64 v[33:34], v[6:7], v[6:7]
	v_fma_f64 v[23:24], v[0:1], -v[4:5], v[23:24]
	v_fma_f64 v[21:22], v[6:7], v[21:22], s[4:5]
	v_fma_f64 v[4:5], v[6:7], v[10:11], -v[4:5]
	v_mul_f64 v[6:7], v[8:9], v[8:9]
	v_fma_f64 v[10:11], v[8:9], v[25:26], s[4:5]
	v_fma_f64 v[25:26], v[12:13], -v[16:17], v[27:28]
	v_fma_f64 v[8:9], v[8:9], v[14:15], -v[16:17]
	s_mov_b32 s5, 0xbfc55555
	v_fma_f64 v[14:15], v[33:34], v[21:22], v[23:24]
	v_fma_f64 v[4:5], v[35:36], s[4:5], v[4:5]
	;; [unrolled: 1-line block ×4, first 2 shown]
	v_cmp_class_f64_e64 s4, v[2:3], 0x1f8
	v_lshlrev_b32_e32 v2, 30, v20
	v_add_f64 v[10:11], v[29:30], v[14:15]
	v_xor_b32_e32 v2, v2, v3
	v_and_b32_e32 v2, 0x80000000, v2
	v_add_f64 v[0:1], v[0:1], -v[4:5]
	v_add_f64 v[4:5], v[31:32], v[6:7]
	v_add_f64 v[6:7], v[12:13], -v[8:9]
	v_and_b32_e32 v8, 1, v19
	v_lshlrev_b32_e32 v9, 30, v19
	v_cmp_eq_u32_e32 vcc_lo, 0, v8
	v_and_b32_e32 v8, 1, v20
	v_and_b32_e32 v3, 0x80000000, v9
	v_cmp_eq_u32_e64 s5, 0, v8
	v_xor_b32_e32 v1, 0x80000000, v1
	v_cndmask_b32_e32 v0, v0, v10, vcc_lo
	v_cndmask_b32_e64 v5, v5, v7, s5
	v_cndmask_b32_e32 v1, v1, v11, vcc_lo
	v_cndmask_b32_e64 v4, v4, v6, s5
	v_cndmask_b32_e64 v0, 0, v0, s4
	v_xor_b32_e32 v1, v1, v3
	v_xor_b32_e32 v3, v5, v2
	v_cndmask_b32_e64 v2, 0, v4, s4
	v_cndmask_b32_e64 v1, 0x7ff80000, v1, s4
	;; [unrolled: 1-line block ×3, first 2 shown]
.LBB79_77:
	s_or_b32 exec_lo, exec_lo, s6
                                        ; implicit-def: $vgpr4_vgpr5
	s_andn2_saveexec_b32 s5, s8
	s_cbranch_execnz .LBB79_41
.LBB79_78:
	s_or_b32 exec_lo, exec_lo, s5
	s_setpc_b64 s[30:31]
.Lfunc_end79:
	.size	_ZNK2at6native12_GLOBAL__N_113power_functorIN3c107complexIdEEEclERKS5_S8_, .Lfunc_end79-_ZNK2at6native12_GLOBAL__N_113power_functorIN3c107complexIdEEEclERKS5_S8_
                                        ; -- End function
	.set .L_ZNK2at6native12_GLOBAL__N_113power_functorIN3c107complexIdEEEclERKS5_S8_.num_vgpr, 68
	.set .L_ZNK2at6native12_GLOBAL__N_113power_functorIN3c107complexIdEEEclERKS5_S8_.num_agpr, 0
	.set .L_ZNK2at6native12_GLOBAL__N_113power_functorIN3c107complexIdEEEclERKS5_S8_.numbered_sgpr, 32
	.set .L_ZNK2at6native12_GLOBAL__N_113power_functorIN3c107complexIdEEEclERKS5_S8_.num_named_barrier, 0
	.set .L_ZNK2at6native12_GLOBAL__N_113power_functorIN3c107complexIdEEEclERKS5_S8_.private_seg_size, 0
	.set .L_ZNK2at6native12_GLOBAL__N_113power_functorIN3c107complexIdEEEclERKS5_S8_.uses_vcc, 1
	.set .L_ZNK2at6native12_GLOBAL__N_113power_functorIN3c107complexIdEEEclERKS5_S8_.uses_flat_scratch, 0
	.set .L_ZNK2at6native12_GLOBAL__N_113power_functorIN3c107complexIdEEEclERKS5_S8_.has_dyn_sized_stack, 0
	.set .L_ZNK2at6native12_GLOBAL__N_113power_functorIN3c107complexIdEEEclERKS5_S8_.has_recursion, 0
	.set .L_ZNK2at6native12_GLOBAL__N_113power_functorIN3c107complexIdEEEclERKS5_S8_.has_indirect_call, 0
	.section	.AMDGPU.csdata,"",@progbits
; Function info:
; codeLenInByte = 22636
; TotalNumSgprs: 34
; NumVgprs: 68
; ScratchSize: 0
; MemoryBound: 0
	.section	.text._ZN2at6native12_GLOBAL__N_125multi_tensor_apply_kernelINS1_28TensorListScalarListMetadataIN3c107complexIdEELi1EEENS1_25BinaryOpScalarListFunctorIS6_Li1ELi1ELi0EEEJNS1_13power_functorIS6_EEEEEvT_T0_DpT1_,"axG",@progbits,_ZN2at6native12_GLOBAL__N_125multi_tensor_apply_kernelINS1_28TensorListScalarListMetadataIN3c107complexIdEELi1EEENS1_25BinaryOpScalarListFunctorIS6_Li1ELi1ELi0EEEJNS1_13power_functorIS6_EEEEEvT_T0_DpT1_,comdat
	.globl	_ZN2at6native12_GLOBAL__N_125multi_tensor_apply_kernelINS1_28TensorListScalarListMetadataIN3c107complexIdEELi1EEENS1_25BinaryOpScalarListFunctorIS6_Li1ELi1ELi0EEEJNS1_13power_functorIS6_EEEEEvT_T0_DpT1_ ; -- Begin function _ZN2at6native12_GLOBAL__N_125multi_tensor_apply_kernelINS1_28TensorListScalarListMetadataIN3c107complexIdEELi1EEENS1_25BinaryOpScalarListFunctorIS6_Li1ELi1ELi0EEEJNS1_13power_functorIS6_EEEEEvT_T0_DpT1_
	.p2align	8
	.type	_ZN2at6native12_GLOBAL__N_125multi_tensor_apply_kernelINS1_28TensorListScalarListMetadataIN3c107complexIdEELi1EEENS1_25BinaryOpScalarListFunctorIS6_Li1ELi1ELi0EEEJNS1_13power_functorIS6_EEEEEvT_T0_DpT1_,@function
_ZN2at6native12_GLOBAL__N_125multi_tensor_apply_kernelINS1_28TensorListScalarListMetadataIN3c107complexIdEELi1EEENS1_25BinaryOpScalarListFunctorIS6_Li1ELi1ELi0EEEJNS1_13power_functorIS6_EEEEEvT_T0_DpT1_: ; @_ZN2at6native12_GLOBAL__N_125multi_tensor_apply_kernelINS1_28TensorListScalarListMetadataIN3c107complexIdEELi1EEENS1_25BinaryOpScalarListFunctorIS6_Li1ELi1ELi0EEEJNS1_13power_functorIS6_EEEEEvT_T0_DpT1_
; %bb.0:
	s_add_u32 s0, s0, s7
	s_mov_b64 s[22:23], s[4:5]
	v_mov_b32_e32 v60, v0
	v_mov_b32_e32 v0, 0x800
	s_addc_u32 s1, s1, 0
	s_add_u32 s4, s22, s6
	s_addc_u32 s5, s23, 0
	s_mov_b32 s7, 0
	global_load_ubyte v0, v0, s[4:5] offset:256
	s_lshl_b64 s[4:5], s[6:7], 2
	s_mov_b32 s32, 0
	s_add_u32 s4, s22, s4
	s_addc_u32 s5, s23, s5
	s_waitcnt vmcnt(0)
	v_lshlrev_b32_e32 v0, 3, v0
	v_readfirstlane_b32 s6, v0
	s_clause 0x2
	s_load_dword s4, s[4:5], 0xa40
	s_load_dwordx2 s[8:9], s[22:23], s6 offset:0x240
	s_load_dwordx2 s[26:27], s[22:23], s6 offset:0x0
	v_add_co_u32 v0, s5, s22, v0
	v_add_co_ci_u32_e64 v1, null, s23, 0, s5
	v_readfirstlane_b32 s10, v0
	v_readfirstlane_b32 s11, v1
	s_load_dwordx4 s[36:39], s[10:11], s6 offset:0x480
	s_waitcnt lgkmcnt(0)
	s_ashr_i32 s5, s4, 31
	s_lshl_b64 s[28:29], s[4:5], 20
	s_add_u32 s33, s26, s28
	s_addc_u32 s46, s27, s29
	s_lshl_b64 s[4:5], s[4:5], 16
	s_and_b32 s6, s33, 63
	s_sub_u32 s34, s8, s4
	s_subb_u32 s35, s9, s5
	s_and_b32 s4, s8, 3
	s_mov_b32 s5, s7
	s_or_b64 s[4:5], s[6:7], s[4:5]
	s_cmp_eq_u64 s[4:5], 0
	s_cbranch_scc1 .LBB80_21
; %bb.1:
	v_cmp_lt_i64_e64 s4, s[34:35], 1
	s_and_b32 vcc_lo, exec_lo, s4
	s_cbranch_vccnz .LBB80_20
; %bb.2:
	s_load_dword s4, s[22:23], 0xf54
	v_cmp_gt_i64_e64 s5, 0x10000, s[34:35]
	v_cmp_gt_u64_e64 s6, 0x10000, s[34:35]
	v_mov_b32_e32 v62, 0
	v_lshlrev_b32_e32 v61, 4, v60
	s_mov_b64 s[44:45], 0
	s_and_b32 s5, s5, exec_lo
	s_cselect_b32 s41, s35, 0
	s_cselect_b32 s40, s34, 0x10000
	s_waitcnt lgkmcnt(0)
	s_and_b32 s4, s4, 0xffff
	s_and_b32 s5, s6, exec_lo
	s_mul_i32 s6, s4, 3
	v_add_co_u32 v68, s7, v60, s4
	v_mad_u64_u32 v[62:63], null, s4, 48, v[61:62]
	s_cselect_b32 s43, s35, 0
	s_cselect_b32 s42, s34, 0x10000
	v_add_co_ci_u32_e64 v69, null, 0, 0, s7
	s_lshl_b32 s7, s4, 5
	v_add_co_u32 v70, s6, s6, v60
	v_add_co_ci_u32_e64 v71, null, 0, 0, s6
	v_add_co_u32 v0, s6, s7, v61
	s_lshl_b32 s5, s4, 1
	v_add_co_ci_u32_e64 v72, null, 0, 0, s6
	v_add_co_u32 v75, s5, s5, v60
	v_lshlrev_b32_e32 v73, 4, v68
	v_or_b32_e32 v62, 8, v62
	v_or_b32_e32 v74, 8, v0
	v_add_co_ci_u32_e64 v76, null, 0, 0, s5
	s_lshl_b32 s47, s4, 2
	s_lshl_b32 s48, s4, 6
	s_branch .LBB80_4
.LBB80_3:                               ;   in Loop: Header=BB80_4 Depth=1
	s_or_b32 exec_lo, exec_lo, s24
	s_add_u32 s44, s44, s47
	s_addc_u32 s45, s45, 0
	s_add_u32 s33, s33, s48
	v_cmp_lt_i64_e64 s4, s[44:45], s[40:41]
	s_addc_u32 s46, s46, 0
	s_and_b32 vcc_lo, exec_lo, s4
	s_cbranch_vccz .LBB80_20
.LBB80_4:                               ; =>This Inner Loop Header: Depth=1
	s_waitcnt vmcnt(0)
	v_add_co_u32 v0, s4, v60, s44
	v_add_co_ci_u32_e64 v1, null, 0, s45, s4
	v_mov_b32_e32 v46, 0
	v_mov_b32_e32 v2, 0
	;; [unrolled: 1-line block ×3, first 2 shown]
	v_cmp_gt_u64_e32 vcc_lo, s[42:43], v[0:1]
	v_mov_b32_e32 v0, 0
	v_mov_b32_e32 v3, 0
	;; [unrolled: 1-line block ×3, first 2 shown]
	s_and_saveexec_b32 s4, vcc_lo
	s_cbranch_execz .LBB80_6
; %bb.5:                                ;   in Loop: Header=BB80_4 Depth=1
	v_add_co_u32 v0, s5, s33, v61
	v_add_co_ci_u32_e64 v1, null, s46, 0, s5
	global_load_dwordx4 v[0:3], v[0:1], off
.LBB80_6:                               ;   in Loop: Header=BB80_4 Depth=1
	s_or_b32 exec_lo, exec_lo, s4
	v_add_co_u32 v4, s4, v68, s44
	v_add_co_ci_u32_e64 v5, null, s45, v69, s4
	v_mov_b32_e32 v44, 0
	v_mov_b32_e32 v45, 0
	v_cmp_gt_u64_e64 s25, s[42:43], v[4:5]
	s_and_saveexec_b32 s4, s25
	s_cbranch_execz .LBB80_8
; %bb.7:                                ;   in Loop: Header=BB80_4 Depth=1
	v_add_co_u32 v4, s5, s33, v73
	v_add_co_ci_u32_e64 v5, null, s46, 0, s5
	global_load_dwordx4 v[44:47], v[4:5], off
.LBB80_8:                               ;   in Loop: Header=BB80_4 Depth=1
	s_or_b32 exec_lo, exec_lo, s4
	v_add_co_u32 v4, s4, v75, s44
	v_add_co_ci_u32_e64 v5, null, s45, v76, s4
	v_mov_b32_e32 v42, 0
	v_mov_b32_e32 v58, 0
	;; [unrolled: 1-line block ×3, first 2 shown]
	v_cmp_gt_u64_e64 s24, s[42:43], v[4:5]
	v_mov_b32_e32 v43, 0
	v_mov_b32_e32 v59, 0
	;; [unrolled: 1-line block ×3, first 2 shown]
	s_and_saveexec_b32 s5, s24
	s_cbranch_execz .LBB80_10
; %bb.9:                                ;   in Loop: Header=BB80_4 Depth=1
	v_add_co_u32 v4, s4, s33, v74
	v_add_co_ci_u32_e64 v5, null, s46, v72, s4
	global_load_dwordx4 v[56:59], v[4:5], off offset:-8
.LBB80_10:                              ;   in Loop: Header=BB80_4 Depth=1
	s_or_b32 exec_lo, exec_lo, s5
	v_add_co_u32 v4, s4, v70, s44
	v_add_co_ci_u32_e64 v5, null, s45, v71, s4
	v_mov_b32_e32 v40, 0
	v_mov_b32_e32 v41, 0
	v_cmp_gt_u64_e64 s21, s[42:43], v[4:5]
	s_and_saveexec_b32 s5, s21
	s_cbranch_execnz .LBB80_15
; %bb.11:                               ;   in Loop: Header=BB80_4 Depth=1
	s_or_b32 exec_lo, exec_lo, s5
	s_and_saveexec_b32 s49, vcc_lo
	s_cbranch_execnz .LBB80_16
.LBB80_12:                              ;   in Loop: Header=BB80_4 Depth=1
	s_or_b32 exec_lo, exec_lo, s49
	s_and_saveexec_b32 s49, s25
	s_cbranch_execnz .LBB80_17
.LBB80_13:                              ;   in Loop: Header=BB80_4 Depth=1
	s_or_b32 exec_lo, exec_lo, s49
	s_and_saveexec_b32 s25, s24
	s_cbranch_execnz .LBB80_18
.LBB80_14:                              ;   in Loop: Header=BB80_4 Depth=1
	s_or_b32 exec_lo, exec_lo, s25
	s_and_saveexec_b32 s24, s21
	s_cbranch_execz .LBB80_3
	s_branch .LBB80_19
.LBB80_15:                              ;   in Loop: Header=BB80_4 Depth=1
	v_add_co_u32 v4, s4, s33, v62
	v_add_co_ci_u32_e64 v5, null, s46, v63, s4
	global_load_dwordx4 v[40:43], v[4:5], off offset:-8
	s_or_b32 exec_lo, exec_lo, s5
	s_and_saveexec_b32 s49, vcc_lo
	s_cbranch_execz .LBB80_12
.LBB80_16:                              ;   in Loop: Header=BB80_4 Depth=1
	v_mov_b32_e32 v4, s36
	v_mov_b32_e32 v5, s37
	;; [unrolled: 1-line block ×4, first 2 shown]
	s_getpc_b64 s[4:5]
	s_add_u32 s4, s4, _ZNK2at6native12_GLOBAL__N_113power_functorIN3c107complexIdEEEclERKS5_S8_@rel32@lo+4
	s_addc_u32 s5, s5, _ZNK2at6native12_GLOBAL__N_113power_functorIN3c107complexIdEEEclERKS5_S8_@rel32@hi+12
	s_swappc_b64 s[30:31], s[4:5]
	v_add_co_u32 v4, s4, s33, v61
	v_add_co_ci_u32_e64 v5, null, s46, 0, s4
	global_store_dwordx4 v[4:5], v[0:3], off
	s_or_b32 exec_lo, exec_lo, s49
	s_and_saveexec_b32 s49, s25
	s_cbranch_execz .LBB80_13
.LBB80_17:                              ;   in Loop: Header=BB80_4 Depth=1
	s_waitcnt vmcnt(0)
	v_mov_b32_e32 v0, v44
	v_mov_b32_e32 v1, v45
	v_mov_b32_e32 v2, v46
	v_mov_b32_e32 v3, v47
	v_mov_b32_e32 v4, s36
	v_mov_b32_e32 v5, s37
	v_mov_b32_e32 v6, s38
	v_mov_b32_e32 v7, s39
	s_getpc_b64 s[4:5]
	s_add_u32 s4, s4, _ZNK2at6native12_GLOBAL__N_113power_functorIN3c107complexIdEEEclERKS5_S8_@rel32@lo+4
	s_addc_u32 s5, s5, _ZNK2at6native12_GLOBAL__N_113power_functorIN3c107complexIdEEEclERKS5_S8_@rel32@hi+12
	s_swappc_b64 s[30:31], s[4:5]
	v_add_co_u32 v4, s4, s33, v73
	v_add_co_ci_u32_e64 v5, null, s46, 0, s4
	global_store_dwordx4 v[4:5], v[0:3], off
	s_or_b32 exec_lo, exec_lo, s49
	s_and_saveexec_b32 s25, s24
	s_cbranch_execz .LBB80_14
.LBB80_18:                              ;   in Loop: Header=BB80_4 Depth=1
	s_waitcnt vmcnt(0)
	v_mov_b32_e32 v0, v56
	v_mov_b32_e32 v1, v57
	;; [unrolled: 1-line block ×8, first 2 shown]
	s_getpc_b64 s[4:5]
	s_add_u32 s4, s4, _ZNK2at6native12_GLOBAL__N_113power_functorIN3c107complexIdEEEclERKS5_S8_@rel32@lo+4
	s_addc_u32 s5, s5, _ZNK2at6native12_GLOBAL__N_113power_functorIN3c107complexIdEEEclERKS5_S8_@rel32@hi+12
	s_swappc_b64 s[30:31], s[4:5]
	v_add_co_u32 v4, vcc_lo, s33, v74
	v_add_co_ci_u32_e64 v5, null, s46, v72, vcc_lo
	global_store_dwordx4 v[4:5], v[0:3], off offset:-8
	s_or_b32 exec_lo, exec_lo, s25
	s_and_saveexec_b32 s24, s21
	s_cbranch_execz .LBB80_3
.LBB80_19:                              ;   in Loop: Header=BB80_4 Depth=1
	s_waitcnt vmcnt(0)
	v_mov_b32_e32 v0, v40
	v_mov_b32_e32 v1, v41
	;; [unrolled: 1-line block ×8, first 2 shown]
	s_getpc_b64 s[4:5]
	s_add_u32 s4, s4, _ZNK2at6native12_GLOBAL__N_113power_functorIN3c107complexIdEEEclERKS5_S8_@rel32@lo+4
	s_addc_u32 s5, s5, _ZNK2at6native12_GLOBAL__N_113power_functorIN3c107complexIdEEEclERKS5_S8_@rel32@hi+12
	s_swappc_b64 s[30:31], s[4:5]
	v_add_co_u32 v4, vcc_lo, s33, v62
	v_add_co_ci_u32_e64 v5, null, s46, v63, vcc_lo
	global_store_dwordx4 v[4:5], v[0:3], off offset:-8
	s_branch .LBB80_3
.LBB80_20:
	s_cbranch_execz .LBB80_22
	s_branch .LBB80_25
.LBB80_21:
.LBB80_22:
	v_cmp_gt_i64_e64 s4, 0x10000, s[34:35]
	s_waitcnt vmcnt(0)
	v_mov_b32_e32 v1, 0
	v_lshlrev_b32_e32 v0, 2, v60
	s_mov_b32 s21, 0
	s_and_b32 s4, s4, exec_lo
	s_cselect_b32 s25, s35, 0
	s_cselect_b32 s24, s34, 0x10000
	s_mov_b32 s4, exec_lo
	v_cmpx_gt_i64_e64 s[24:25], v[0:1]
	s_cbranch_execz .LBB80_25
; %bb.23:
	s_load_dword s4, s[22:23], 0xf54
	v_lshlrev_b32_e32 v0, 6, v60
	v_mov_b32_e32 v61, v1
	s_waitcnt lgkmcnt(0)
	s_and_b32 s22, s4, 0xffff
	s_add_u32 s4, s26, s28
	s_addc_u32 s5, s27, s29
	v_add_co_u32 v62, s4, s4, v0
	v_add_co_ci_u32_e64 v63, null, s5, 0, s4
	s_lshl_b32 s23, s22, 6
.LBB80_24:                              ; =>This Inner Loop Header: Depth=1
	s_clause 0x3
	global_load_dwordx4 v[0:3], v[62:63], off
	global_load_dwordx4 v[40:43], v[62:63], off offset:16
	global_load_dwordx4 v[44:47], v[62:63], off offset:48
	;; [unrolled: 1-line block ×3, first 2 shown]
	v_mov_b32_e32 v4, s36
	v_mov_b32_e32 v5, s37
	;; [unrolled: 1-line block ×4, first 2 shown]
	s_getpc_b64 s[26:27]
	s_add_u32 s26, s26, _ZNK2at6native12_GLOBAL__N_113power_functorIN3c107complexIdEEEclERKS5_S8_@rel32@lo+4
	s_addc_u32 s27, s27, _ZNK2at6native12_GLOBAL__N_113power_functorIN3c107complexIdEEEclERKS5_S8_@rel32@hi+12
	s_swappc_b64 s[30:31], s[26:27]
	v_mov_b32_e32 v68, v0
	v_mov_b32_e32 v69, v1
	v_mov_b32_e32 v70, v2
	v_mov_b32_e32 v71, v3
	v_mov_b32_e32 v0, v40
	v_mov_b32_e32 v1, v41
	v_mov_b32_e32 v2, v42
	v_mov_b32_e32 v3, v43
	v_mov_b32_e32 v4, s36
	v_mov_b32_e32 v5, s37
	v_mov_b32_e32 v6, s38
	v_mov_b32_e32 v7, s39
	s_swappc_b64 s[30:31], s[26:27]
	v_mov_b32_e32 v40, v0
	v_mov_b32_e32 v41, v1
	v_mov_b32_e32 v42, v2
	v_mov_b32_e32 v43, v3
	v_mov_b32_e32 v0, v56
	v_mov_b32_e32 v1, v57
	v_mov_b32_e32 v2, v58
	v_mov_b32_e32 v3, v59
	v_mov_b32_e32 v4, s36
	v_mov_b32_e32 v5, s37
	v_mov_b32_e32 v6, s38
	v_mov_b32_e32 v7, s39
	;; [unrolled: 13-line block ×3, first 2 shown]
	s_swappc_b64 s[30:31], s[26:27]
	v_add_co_u32 v60, vcc_lo, v60, s22
	v_add_co_ci_u32_e64 v61, null, 0, v61, vcc_lo
	global_store_dwordx4 v[62:63], v[68:71], off
	global_store_dwordx4 v[62:63], v[40:43], off offset:16
	global_store_dwordx4 v[62:63], v[56:59], off offset:32
	;; [unrolled: 1-line block ×3, first 2 shown]
	v_add_co_u32 v62, s4, v62, s23
	v_lshlrev_b64 v[4:5], 2, v[60:61]
	v_add_co_ci_u32_e64 v63, null, 0, v63, s4
	v_cmp_le_i64_e32 vcc_lo, s[24:25], v[4:5]
	s_or_b32 s21, vcc_lo, s21
	s_andn2_b32 exec_lo, exec_lo, s21
	s_cbranch_execnz .LBB80_24
.LBB80_25:
	s_endpgm
	.section	.rodata,"a",@progbits
	.p2align	6, 0x0
	.amdhsa_kernel _ZN2at6native12_GLOBAL__N_125multi_tensor_apply_kernelINS1_28TensorListScalarListMetadataIN3c107complexIdEELi1EEENS1_25BinaryOpScalarListFunctorIS6_Li1ELi1ELi0EEEJNS1_13power_functorIS6_EEEEEvT_T0_DpT1_
		.amdhsa_group_segment_fixed_size 0
		.amdhsa_private_segment_fixed_size 0
		.amdhsa_kernarg_size 4168
		.amdhsa_user_sgpr_count 6
		.amdhsa_user_sgpr_private_segment_buffer 1
		.amdhsa_user_sgpr_dispatch_ptr 0
		.amdhsa_user_sgpr_queue_ptr 0
		.amdhsa_user_sgpr_kernarg_segment_ptr 1
		.amdhsa_user_sgpr_dispatch_id 0
		.amdhsa_user_sgpr_flat_scratch_init 0
		.amdhsa_user_sgpr_private_segment_size 0
		.amdhsa_wavefront_size32 1
		.amdhsa_uses_dynamic_stack 0
		.amdhsa_system_sgpr_private_segment_wavefront_offset 0
		.amdhsa_system_sgpr_workgroup_id_x 1
		.amdhsa_system_sgpr_workgroup_id_y 0
		.amdhsa_system_sgpr_workgroup_id_z 0
		.amdhsa_system_sgpr_workgroup_info 0
		.amdhsa_system_vgpr_workitem_id 0
		.amdhsa_next_free_vgpr 77
		.amdhsa_next_free_sgpr 50
		.amdhsa_reserve_vcc 1
		.amdhsa_reserve_flat_scratch 0
		.amdhsa_float_round_mode_32 0
		.amdhsa_float_round_mode_16_64 0
		.amdhsa_float_denorm_mode_32 3
		.amdhsa_float_denorm_mode_16_64 3
		.amdhsa_dx10_clamp 1
		.amdhsa_ieee_mode 1
		.amdhsa_fp16_overflow 0
		.amdhsa_workgroup_processor_mode 1
		.amdhsa_memory_ordered 1
		.amdhsa_forward_progress 1
		.amdhsa_shared_vgpr_count 0
		.amdhsa_exception_fp_ieee_invalid_op 0
		.amdhsa_exception_fp_denorm_src 0
		.amdhsa_exception_fp_ieee_div_zero 0
		.amdhsa_exception_fp_ieee_overflow 0
		.amdhsa_exception_fp_ieee_underflow 0
		.amdhsa_exception_fp_ieee_inexact 0
		.amdhsa_exception_int_div_zero 0
	.end_amdhsa_kernel
	.section	.text._ZN2at6native12_GLOBAL__N_125multi_tensor_apply_kernelINS1_28TensorListScalarListMetadataIN3c107complexIdEELi1EEENS1_25BinaryOpScalarListFunctorIS6_Li1ELi1ELi0EEEJNS1_13power_functorIS6_EEEEEvT_T0_DpT1_,"axG",@progbits,_ZN2at6native12_GLOBAL__N_125multi_tensor_apply_kernelINS1_28TensorListScalarListMetadataIN3c107complexIdEELi1EEENS1_25BinaryOpScalarListFunctorIS6_Li1ELi1ELi0EEEJNS1_13power_functorIS6_EEEEEvT_T0_DpT1_,comdat
.Lfunc_end80:
	.size	_ZN2at6native12_GLOBAL__N_125multi_tensor_apply_kernelINS1_28TensorListScalarListMetadataIN3c107complexIdEELi1EEENS1_25BinaryOpScalarListFunctorIS6_Li1ELi1ELi0EEEJNS1_13power_functorIS6_EEEEEvT_T0_DpT1_, .Lfunc_end80-_ZN2at6native12_GLOBAL__N_125multi_tensor_apply_kernelINS1_28TensorListScalarListMetadataIN3c107complexIdEELi1EEENS1_25BinaryOpScalarListFunctorIS6_Li1ELi1ELi0EEEJNS1_13power_functorIS6_EEEEEvT_T0_DpT1_
                                        ; -- End function
	.set _ZN2at6native12_GLOBAL__N_125multi_tensor_apply_kernelINS1_28TensorListScalarListMetadataIN3c107complexIdEELi1EEENS1_25BinaryOpScalarListFunctorIS6_Li1ELi1ELi0EEEJNS1_13power_functorIS6_EEEEEvT_T0_DpT1_.num_vgpr, max(77, .L_ZNK2at6native12_GLOBAL__N_113power_functorIN3c107complexIdEEEclERKS5_S8_.num_vgpr)
	.set _ZN2at6native12_GLOBAL__N_125multi_tensor_apply_kernelINS1_28TensorListScalarListMetadataIN3c107complexIdEELi1EEENS1_25BinaryOpScalarListFunctorIS6_Li1ELi1ELi0EEEJNS1_13power_functorIS6_EEEEEvT_T0_DpT1_.num_agpr, max(0, .L_ZNK2at6native12_GLOBAL__N_113power_functorIN3c107complexIdEEEclERKS5_S8_.num_agpr)
	.set _ZN2at6native12_GLOBAL__N_125multi_tensor_apply_kernelINS1_28TensorListScalarListMetadataIN3c107complexIdEELi1EEENS1_25BinaryOpScalarListFunctorIS6_Li1ELi1ELi0EEEJNS1_13power_functorIS6_EEEEEvT_T0_DpT1_.numbered_sgpr, max(50, .L_ZNK2at6native12_GLOBAL__N_113power_functorIN3c107complexIdEEEclERKS5_S8_.numbered_sgpr)
	.set _ZN2at6native12_GLOBAL__N_125multi_tensor_apply_kernelINS1_28TensorListScalarListMetadataIN3c107complexIdEELi1EEENS1_25BinaryOpScalarListFunctorIS6_Li1ELi1ELi0EEEJNS1_13power_functorIS6_EEEEEvT_T0_DpT1_.num_named_barrier, max(0, .L_ZNK2at6native12_GLOBAL__N_113power_functorIN3c107complexIdEEEclERKS5_S8_.num_named_barrier)
	.set _ZN2at6native12_GLOBAL__N_125multi_tensor_apply_kernelINS1_28TensorListScalarListMetadataIN3c107complexIdEELi1EEENS1_25BinaryOpScalarListFunctorIS6_Li1ELi1ELi0EEEJNS1_13power_functorIS6_EEEEEvT_T0_DpT1_.private_seg_size, 0+max(.L_ZNK2at6native12_GLOBAL__N_113power_functorIN3c107complexIdEEEclERKS5_S8_.private_seg_size)
	.set _ZN2at6native12_GLOBAL__N_125multi_tensor_apply_kernelINS1_28TensorListScalarListMetadataIN3c107complexIdEELi1EEENS1_25BinaryOpScalarListFunctorIS6_Li1ELi1ELi0EEEJNS1_13power_functorIS6_EEEEEvT_T0_DpT1_.uses_vcc, or(1, .L_ZNK2at6native12_GLOBAL__N_113power_functorIN3c107complexIdEEEclERKS5_S8_.uses_vcc)
	.set _ZN2at6native12_GLOBAL__N_125multi_tensor_apply_kernelINS1_28TensorListScalarListMetadataIN3c107complexIdEELi1EEENS1_25BinaryOpScalarListFunctorIS6_Li1ELi1ELi0EEEJNS1_13power_functorIS6_EEEEEvT_T0_DpT1_.uses_flat_scratch, or(0, .L_ZNK2at6native12_GLOBAL__N_113power_functorIN3c107complexIdEEEclERKS5_S8_.uses_flat_scratch)
	.set _ZN2at6native12_GLOBAL__N_125multi_tensor_apply_kernelINS1_28TensorListScalarListMetadataIN3c107complexIdEELi1EEENS1_25BinaryOpScalarListFunctorIS6_Li1ELi1ELi0EEEJNS1_13power_functorIS6_EEEEEvT_T0_DpT1_.has_dyn_sized_stack, or(0, .L_ZNK2at6native12_GLOBAL__N_113power_functorIN3c107complexIdEEEclERKS5_S8_.has_dyn_sized_stack)
	.set _ZN2at6native12_GLOBAL__N_125multi_tensor_apply_kernelINS1_28TensorListScalarListMetadataIN3c107complexIdEELi1EEENS1_25BinaryOpScalarListFunctorIS6_Li1ELi1ELi0EEEJNS1_13power_functorIS6_EEEEEvT_T0_DpT1_.has_recursion, or(0, .L_ZNK2at6native12_GLOBAL__N_113power_functorIN3c107complexIdEEEclERKS5_S8_.has_recursion)
	.set _ZN2at6native12_GLOBAL__N_125multi_tensor_apply_kernelINS1_28TensorListScalarListMetadataIN3c107complexIdEELi1EEENS1_25BinaryOpScalarListFunctorIS6_Li1ELi1ELi0EEEJNS1_13power_functorIS6_EEEEEvT_T0_DpT1_.has_indirect_call, or(0, .L_ZNK2at6native12_GLOBAL__N_113power_functorIN3c107complexIdEEEclERKS5_S8_.has_indirect_call)
	.section	.AMDGPU.csdata,"",@progbits
; Kernel info:
; codeLenInByte = 1604
; TotalNumSgprs: 52
; NumVgprs: 77
; ScratchSize: 0
; MemoryBound: 1
; FloatMode: 240
; IeeeMode: 1
; LDSByteSize: 0 bytes/workgroup (compile time only)
; SGPRBlocks: 0
; VGPRBlocks: 9
; NumSGPRsForWavesPerEU: 52
; NumVGPRsForWavesPerEU: 77
; Occupancy: 12
; WaveLimiterHint : 0
; COMPUTE_PGM_RSRC2:SCRATCH_EN: 0
; COMPUTE_PGM_RSRC2:USER_SGPR: 6
; COMPUTE_PGM_RSRC2:TRAP_HANDLER: 0
; COMPUTE_PGM_RSRC2:TGID_X_EN: 1
; COMPUTE_PGM_RSRC2:TGID_Y_EN: 0
; COMPUTE_PGM_RSRC2:TGID_Z_EN: 0
; COMPUTE_PGM_RSRC2:TIDIG_COMP_CNT: 0
	.text
	.p2align	2                               ; -- Begin function _ZNK2at6native12_GLOBAL__N_113power_functorIN3c107complexIfEEEclERKS5_S8_
	.type	_ZNK2at6native12_GLOBAL__N_113power_functorIN3c107complexIfEEEclERKS5_S8_,@function
_ZNK2at6native12_GLOBAL__N_113power_functorIN3c107complexIfEEEclERKS5_S8_: ; @_ZNK2at6native12_GLOBAL__N_113power_functorIN3c107complexIfEEEclERKS5_S8_
; %bb.0:
                                        ; implicit-def: $vgpr5
                                        ; implicit-def: $vgpr4
	s_waitcnt vmcnt(0) expcnt(0) lgkmcnt(0)
	s_mov_b32 s4, exec_lo
	v_cmpx_o_f32_e32 v0, v1
	s_xor_b32 s11, exec_lo, s4
	s_cbranch_execz .LBB81_28
; %bb.1:
	v_cmp_lt_f32_e64 s4, |v0|, |v1|
                                        ; implicit-def: $vgpr5
                                        ; implicit-def: $vgpr4
	s_mov_b32 s5, exec_lo
	v_cndmask_b32_e64 v6, |v1|, |v0|, s4
	v_cmpx_nlt_f32_e32 0x77f684df, v6
	s_xor_b32 s12, exec_lo, s5
	s_cbranch_execz .LBB81_25
; %bb.2:
	v_and_b32_e32 v4, 0x7fffffff, v1
                                        ; implicit-def: $vgpr5
	s_mov_b32 s5, exec_lo
	v_cndmask_b32_e64 v7, |v0|, v4, s4
                                        ; implicit-def: $vgpr4
	v_cmpx_neq_f32_e32 1.0, v7
	s_xor_b32 s13, exec_lo, s5
	s_cbranch_execz .LBB81_18
; %bb.3:
	v_max_f32_e32 v4, v6, v6
	v_max_f32_e32 v5, v7, v7
	v_min_f32_e32 v8, v5, v4
	v_max_f32_e32 v4, v5, v4
                                        ; implicit-def: $vgpr5
	v_cmp_ngt_f32_e32 vcc_lo, 0x358637bd, v8
	v_cmp_nlt_f32_e64 s5, 0x49742400, v4
                                        ; implicit-def: $vgpr4
	s_and_b32 s5, s5, vcc_lo
	s_and_saveexec_b32 s6, s5
	s_xor_b32 s14, exec_lo, s6
	s_cbranch_execz .LBB81_15
; %bb.4:
                                        ; implicit-def: $vgpr5
                                        ; implicit-def: $vgpr4
	s_mov_b32 s5, exec_lo
	v_cmpx_le_f32_e32 1.0, v7
	s_xor_b32 s6, exec_lo, s5
	s_cbranch_execz .LBB81_6
; %bb.5:
	v_add_f32_e32 v4, -1.0, v7
	v_add_f32_e32 v5, 1.0, v7
	s_mov_b32 s5, 0x3e9b6dac
	v_cmp_class_f32_e64 s7, v0, 0x204
	v_mul_f32_e32 v7, v4, v5
	v_fmac_f32_e32 v7, v6, v6
	v_add_f32_e32 v6, 1.0, v7
	v_cvt_f64_f32_e32 v[4:5], v6
	v_frexp_exp_i32_f64_e32 v4, v[4:5]
	v_frexp_mant_f32_e32 v5, v6
	v_cmp_gt_f32_e32 vcc_lo, 0x3f2aaaab, v5
	v_add_f32_e32 v5, -1.0, v6
	v_sub_f32_e32 v9, v5, v6
	v_sub_f32_e32 v5, v7, v5
	v_add_f32_e32 v9, 1.0, v9
	v_add_f32_e32 v5, v5, v9
	v_subrev_co_ci_u32_e64 v4, null, 0, v4, vcc_lo
	v_cmp_neq_f32_e32 vcc_lo, 0x7f800000, v7
	v_sub_nc_u32_e32 v8, 0, v4
	v_cvt_f32_i32_e32 v4, v4
	v_ldexp_f32 v6, v6, v8
	v_ldexp_f32 v5, v5, v8
	v_add_f32_e32 v10, 1.0, v6
	v_add_f32_e32 v8, -1.0, v6
	v_add_f32_e32 v9, -1.0, v10
	v_add_f32_e32 v11, 1.0, v8
	v_sub_f32_e32 v9, v6, v9
	v_sub_f32_e32 v6, v6, v11
	v_add_f32_e32 v9, v5, v9
	v_add_f32_e32 v5, v5, v6
	;; [unrolled: 1-line block ×4, first 2 shown]
	v_rcp_f32_e32 v6, v11
	v_sub_f32_e32 v10, v11, v10
	v_sub_f32_e32 v8, v12, v8
	v_sub_f32_e32 v9, v9, v10
	v_sub_f32_e32 v5, v5, v8
	v_mul_f32_e32 v13, v12, v6
	v_mul_f32_e32 v14, v11, v13
	v_fma_f32 v10, v13, v11, -v14
	v_fmac_f32_e32 v10, v13, v9
	v_add_f32_e32 v15, v14, v10
	v_sub_f32_e32 v16, v12, v15
	v_sub_f32_e32 v8, v15, v14
	;; [unrolled: 1-line block ×5, first 2 shown]
	v_add_f32_e32 v5, v5, v12
	v_add_f32_e32 v5, v8, v5
	;; [unrolled: 1-line block ×3, first 2 shown]
	v_mul_f32_e32 v10, v6, v8
	v_sub_f32_e32 v15, v16, v8
	v_mul_f32_e32 v12, v11, v10
	v_add_f32_e32 v5, v5, v15
	v_fma_f32 v11, v10, v11, -v12
	v_fmac_f32_e32 v11, v10, v9
	v_add_f32_e32 v9, v12, v11
	v_sub_f32_e32 v14, v8, v9
	v_sub_f32_e32 v12, v9, v12
	;; [unrolled: 1-line block ×5, first 2 shown]
	v_max_f32_e64 v11, |v1|, |v1|
	v_add_f32_e32 v5, v5, v8
	v_add_f32_e32 v8, v13, v10
	;; [unrolled: 1-line block ×3, first 2 shown]
	v_sub_f32_e32 v9, v8, v13
	v_add_f32_e32 v5, v14, v5
	v_sub_f32_e32 v9, v10, v9
	v_mul_f32_e32 v14, 0x3f317218, v4
	v_mul_f32_e32 v5, v6, v5
	v_fma_f32 v15, 0x3f317218, v4, -v14
	v_add_f32_e32 v5, v9, v5
	v_fmamk_f32 v4, v4, 0xb102e308, v15
	v_add_f32_e32 v6, v8, v5
	v_mul_f32_e32 v9, v6, v6
	v_ldexp_f32 v13, v6, 1
	v_fmaak_f32 v10, s5, v9, 0x3ecc95a3
	v_mul_f32_e32 v12, v6, v9
	v_sub_f32_e32 v6, v6, v8
	s_mov_b32 s5, 0x3b2d2a58
	v_fmaak_f32 v9, v9, v10, 0x3f2aaada
	v_max_f32_e64 v10, |v0|, |v0|
	v_sub_f32_e32 v5, v5, v6
	v_mul_f32_e32 v9, v12, v9
	v_max_f32_e32 v12, v10, v11
	v_min_f32_e32 v10, v10, v11
	v_ldexp_f32 v5, v5, 1
	v_add_f32_e32 v8, v13, v9
	v_frexp_mant_f32_e32 v11, v12
	v_frexp_exp_i32_f32_e32 v12, v12
	v_sub_f32_e32 v6, v8, v13
	v_rcp_f32_e32 v11, v11
	v_frexp_exp_i32_f32_e32 v13, v10
	v_sub_f32_e32 v6, v9, v6
	v_frexp_mant_f32_e32 v9, v10
	v_sub_nc_u32_e32 v10, v13, v12
	v_add_f32_e32 v5, v5, v6
	v_mul_f32_e32 v6, v9, v11
	v_add_f32_e32 v9, v14, v4
	v_add_f32_e32 v11, v8, v5
	v_ldexp_f32 v6, v6, v10
	v_sub_f32_e32 v14, v9, v14
	v_add_f32_e32 v10, v9, v11
	v_mul_f32_e32 v12, v6, v6
	v_sub_f32_e32 v8, v11, v8
	v_sub_f32_e32 v4, v4, v14
	;; [unrolled: 1-line block ×3, first 2 shown]
	v_fmaak_f32 v15, s5, v12, 0xbc7a590c
	v_sub_f32_e32 v5, v5, v8
	v_cmp_neq_f32_e64 s5, -1.0, v7
	v_sub_f32_e32 v16, v10, v13
	v_fmaak_f32 v15, v12, v15, 0x3d29fb3f
	v_sub_f32_e32 v8, v11, v13
	v_add_f32_e32 v13, v4, v5
	v_sub_f32_e32 v9, v9, v16
	v_fmaak_f32 v11, v12, v15, 0xbd97d4d7
	v_add_f32_e32 v8, v8, v9
	v_fmaak_f32 v9, v12, v11, 0x3dd931b2
	v_sub_f32_e32 v11, v13, v4
	v_add_f32_e32 v8, v13, v8
	v_fmaak_f32 v9, v12, v9, 0xbe1160e6
	v_sub_f32_e32 v13, v13, v11
	v_sub_f32_e32 v5, v5, v11
	v_add_f32_e32 v14, v10, v8
	v_fmaak_f32 v9, v12, v9, 0x3e4cb8bf
	v_sub_f32_e32 v4, v4, v13
	v_sub_f32_e32 v10, v14, v10
	v_fmaak_f32 v9, v12, v9, 0xbeaaaa62
	v_add_f32_e32 v4, v5, v4
	v_sub_f32_e32 v5, v8, v10
	v_mul_f32_e32 v8, v12, v9
	v_add_f32_e32 v4, v4, v5
	v_fmac_f32_e32 v6, v6, v8
	v_add_f32_e32 v4, v14, v4
	v_sub_f32_e32 v5, 0x3fc90fdb, v6
	v_cndmask_b32_e32 v4, 0x7f800000, v4, vcc_lo
	v_cmp_gt_i32_e32 vcc_lo, 0, v0
	v_cndmask_b32_e64 v5, v6, v5, s4
	v_mov_b32_e32 v6, 0x4016cbe4
	v_cndmask_b32_e64 v8, 0, 0x40490fdb, vcc_lo
	v_cmp_ngt_f32_e32 vcc_lo, -1.0, v7
	v_sub_f32_e32 v9, 0x40490fdb, v5
	v_cndmask_b32_e32 v4, 0x7fc00000, v4, vcc_lo
	v_cmp_gt_f32_e32 vcc_lo, 0, v0
	v_cndmask_b32_e64 v0, 0xff800000, v4, s5
	v_cndmask_b32_e32 v4, v5, v9, vcc_lo
	v_cndmask_b32_e32 v6, 0x3f490fdb, v6, vcc_lo
	v_cmp_gt_f32_e64 vcc_lo, 0x33800000, |v7|
	v_cmp_class_f32_e64 s5, v1, 0x204
	v_cndmask_b32_e32 v0, v0, v7, vcc_lo
	v_cmp_eq_f32_e32 vcc_lo, 0, v1
                                        ; implicit-def: $vgpr7
	v_mul_f32_e32 v5, 0.5, v0
	v_cndmask_b32_e32 v4, v4, v8, vcc_lo
	s_and_b32 vcc_lo, s7, s5
                                        ; implicit-def: $vgpr0
	v_cndmask_b32_e32 v4, v4, v6, vcc_lo
                                        ; implicit-def: $vgpr6
.LBB81_6:
	s_andn2_saveexec_b32 s15, s6
	s_cbranch_execz .LBB81_14
; %bb.7:
	v_mul_f32_e32 v8, v6, v6
                                        ; implicit-def: $vgpr5
                                        ; implicit-def: $vgpr4
	s_mov_b32 s5, exec_lo
	v_fmac_f32_e32 v8, v7, v7
	v_cmpx_ge_f32_e32 0x3f333333, v8
	s_xor_b32 s6, exec_lo, s5
	s_cbranch_execz .LBB81_9
; %bb.8:
	v_max_f32_e64 v4, |v1|, |v1|
	v_max_f32_e64 v5, |v0|, |v0|
	s_mov_b32 s5, 0x3b2d2a58
	v_cmp_gt_f32_e32 vcc_lo, 0x800000, v8
	v_cmp_class_f32_e64 s7, v0, 0x204
	v_cmp_class_f32_e64 s8, v1, 0x204
	v_max_f32_e32 v6, v5, v4
	v_min_f32_e32 v4, v5, v4
	v_cndmask_b32_e64 v10, 0, 0x41b17218, vcc_lo
	v_frexp_mant_f32_e32 v7, v6
	v_frexp_exp_i32_f32_e32 v6, v6
	v_rcp_f32_e32 v5, v7
	v_frexp_exp_i32_f32_e32 v7, v4
	v_frexp_mant_f32_e32 v4, v4
	v_sub_nc_u32_e32 v6, v7, v6
	v_cndmask_b32_e64 v7, 0, 32, vcc_lo
	v_mul_f32_e32 v4, v4, v5
	v_ldexp_f32 v7, v8, v7
	v_mov_b32_e32 v8, 0x4016cbe4
	v_ldexp_f32 v4, v4, v6
	v_log_f32_e32 v7, v7
	v_mul_f32_e32 v5, v4, v4
	v_fmaak_f32 v6, s5, v5, 0xbc7a590c
	v_cmp_gt_i32_e64 s5, 0, v0
	v_cmp_gt_f32_e64 vcc_lo, 0x7f800000, |v7|
	v_fmaak_f32 v6, v5, v6, 0x3d29fb3f
	v_fmaak_f32 v6, v5, v6, 0xbd97d4d7
	;; [unrolled: 1-line block ×6, first 2 shown]
	v_mul_f32_e32 v5, v5, v6
	v_mul_f32_e32 v6, 0x3f317217, v7
	v_fmac_f32_e32 v4, v4, v5
	v_fma_f32 v5, 0x3f317217, v7, -v6
	v_sub_f32_e32 v6, 0x3fc90fdb, v4
	v_fmamk_f32 v5, v7, 0x3377d1cf, v5
	v_cndmask_b32_e64 v4, v4, v6, s4
	v_fmac_f32_e32 v5, 0x3f317217, v7
	v_cndmask_b32_e64 v6, 0, 0x40490fdb, s5
	v_cmp_eq_f32_e64 s5, 0, v1
	v_sub_f32_e32 v9, 0x40490fdb, v4
	v_cndmask_b32_e32 v5, v7, v5, vcc_lo
	v_cmp_gt_f32_e32 vcc_lo, 0, v0
                                        ; implicit-def: $vgpr7
	v_sub_f32_e32 v0, v5, v10
	v_cndmask_b32_e32 v4, v4, v9, vcc_lo
	v_mul_f32_e32 v5, 0.5, v0
	v_cndmask_b32_e64 v4, v4, v6, s5
	v_cndmask_b32_e32 v6, 0x3f490fdb, v8, vcc_lo
	s_and_b32 vcc_lo, s7, s8
                                        ; implicit-def: $vgpr0
	v_cndmask_b32_e32 v4, v4, v6, vcc_lo
                                        ; implicit-def: $vgpr6
.LBB81_9:
	s_andn2_saveexec_b32 s16, s6
	s_cbranch_execz .LBB81_13
; %bb.10:
	v_and_b32_e32 v5, 0x7fff0000, v7
	v_and_b32_e32 v8, 0x7fff0000, v6
	s_mov_b32 s17, 0
	v_sub_f32_e32 v7, v7, v5
	v_sub_f32_e32 v9, v6, v8
	v_add_f32_e32 v12, v5, v5
	v_add_f32_e32 v15, v8, v8
	v_mul_f32_e32 v6, v8, v8
	v_and_b32_e32 v10, 0xffff0000, v7
	v_and_b32_e32 v11, 0xffff0000, v9
	v_mul_f32_e32 v4, v5, v5
	v_sub_f32_e32 v8, v7, v10
	v_sub_f32_e32 v16, v9, v11
	v_add_f32_e32 v9, v10, v10
	v_add_f32_e32 v17, v11, v11
	v_mul_f32_e32 v14, v12, v10
	v_mul_f32_e32 v5, v15, v11
	;; [unrolled: 1-line block ×10, first 2 shown]
.LBB81_11:                              ; =>This Inner Loop Header: Depth=1
	v_cmp_nlt_f32_e32 vcc_lo, v4, v6
	v_mov_b32_e32 v17, v15
	v_cndmask_b32_e32 v16, v4, v6, vcc_lo
	v_cndmask_b32_e32 v4, v6, v4, vcc_lo
	v_cmp_nlt_f32_e64 s5, v16, v14
	v_cndmask_b32_e64 v15, v16, v14, s5
	v_cndmask_b32_e64 v6, v14, v16, s5
	s_and_b32 s18, vcc_lo, s5
	v_cmp_nlt_f32_e64 s6, v15, v5
	v_cndmask_b32_e64 v18, v15, v5, s6
	v_cndmask_b32_e64 v14, v5, v15, s6
	v_cmp_nlt_f32_e64 s7, v18, v7
	v_cndmask_b32_e64 v16, v18, v7, s7
	v_cndmask_b32_e64 v5, v7, v18, s7
	s_and_b32 s19, s6, s7
	v_cmp_nlt_f32_e64 s8, v16, v13
	v_cndmask_b32_e64 v19, v16, v13, s8
	v_cndmask_b32_e64 v7, v13, v16, s8
	v_cmp_nlt_f32_e64 s9, v19, v10
	v_cndmask_b32_e64 v20, v19, v10, s9
	s_and_b32 s7, s8, s9
	v_cndmask_b32_e64 v13, v10, v19, s9
	v_cmp_nlt_f32_e64 s10, v20, v12
	v_cndmask_b32_e64 v21, v20, v12, s10
	s_and_b32 s7, s7, s10
	v_cndmask_b32_e64 v10, v12, v20, s10
	v_cmp_nlt_f32_e32 vcc_lo, v21, v11
	v_cndmask_b32_e32 v22, v21, v11, vcc_lo
	s_and_b32 s8, s7, vcc_lo
	v_cndmask_b32_e32 v12, v11, v21, vcc_lo
	v_cmp_nlt_f32_e64 s5, v22, v9
	v_cndmask_b32_e64 v18, v22, v9, s5
	s_and_b32 s8, s8, s5
	v_cndmask_b32_e64 v11, v9, v22, s5
	v_cmp_nlt_f32_e64 s6, v18, v8
	v_cndmask_b32_e64 v16, v18, v8, s6
	s_and_b32 s8, s8, s6
	v_cndmask_b32_e64 v9, v8, v18, s6
	v_cmp_nlt_f32_e64 s7, v16, v17
	s_and_b32 s8, s8, s7
	v_cndmask_b32_e64 v15, v16, v17, s7
	s_and_b32 s5, s8, s19
	v_cndmask_b32_e64 v8, v17, v16, s7
	s_and_b32 s5, s5, s18
	s_and_b32 s5, exec_lo, s5
	s_or_b32 s17, s5, s17
	s_andn2_b32 exec_lo, exec_lo, s17
	s_cbranch_execnz .LBB81_11
; %bb.12:
	s_or_b32 exec_lo, exec_lo, s17
	v_add_f32_e32 v4, -1.0, v4
	s_mov_b32 s5, 0x3e9b6dac
	v_cmp_class_f32_e64 s6, v0, 0x204
	v_add_f32_e32 v4, v4, v6
	v_add_f32_e32 v4, v4, v14
	;; [unrolled: 1-line block ×11, first 2 shown]
	v_add_f32_e32 v7, 1.0, v6
	v_cvt_f64_f32_e32 v[4:5], v7
	v_frexp_exp_i32_f64_e32 v4, v[4:5]
	v_frexp_mant_f32_e32 v5, v7
	v_cmp_gt_f32_e32 vcc_lo, 0x3f2aaaab, v5
	v_add_f32_e32 v5, -1.0, v7
	v_sub_f32_e32 v9, v5, v7
	v_sub_f32_e32 v5, v6, v5
	v_add_f32_e32 v9, 1.0, v9
	v_add_f32_e32 v5, v5, v9
	v_subrev_co_ci_u32_e64 v4, null, 0, v4, vcc_lo
	v_cmp_neq_f32_e32 vcc_lo, 0x7f800000, v6
	v_sub_nc_u32_e32 v8, 0, v4
	v_cvt_f32_i32_e32 v4, v4
	v_ldexp_f32 v7, v7, v8
	v_ldexp_f32 v5, v5, v8
	v_add_f32_e32 v10, 1.0, v7
	v_add_f32_e32 v8, -1.0, v7
	v_add_f32_e32 v9, -1.0, v10
	v_add_f32_e32 v11, 1.0, v8
	v_sub_f32_e32 v9, v7, v9
	v_sub_f32_e32 v7, v7, v11
	v_add_f32_e32 v9, v5, v9
	v_add_f32_e32 v5, v5, v7
	;; [unrolled: 1-line block ×4, first 2 shown]
	v_rcp_f32_e32 v7, v11
	v_sub_f32_e32 v10, v11, v10
	v_sub_f32_e32 v8, v12, v8
	;; [unrolled: 1-line block ×4, first 2 shown]
	v_mul_f32_e32 v13, v12, v7
	v_mul_f32_e32 v14, v11, v13
	v_fma_f32 v10, v13, v11, -v14
	v_fmac_f32_e32 v10, v13, v9
	v_add_f32_e32 v15, v14, v10
	v_sub_f32_e32 v16, v12, v15
	v_sub_f32_e32 v8, v15, v14
	;; [unrolled: 1-line block ×5, first 2 shown]
	v_add_f32_e32 v5, v5, v12
	v_add_f32_e32 v5, v8, v5
	;; [unrolled: 1-line block ×3, first 2 shown]
	v_mul_f32_e32 v10, v7, v8
	v_sub_f32_e32 v15, v16, v8
	v_mul_f32_e32 v12, v11, v10
	v_add_f32_e32 v5, v5, v15
	v_fma_f32 v11, v10, v11, -v12
	v_fmac_f32_e32 v11, v10, v9
	v_add_f32_e32 v9, v12, v11
	v_sub_f32_e32 v14, v8, v9
	v_sub_f32_e32 v12, v9, v12
	;; [unrolled: 1-line block ×5, first 2 shown]
	v_max_f32_e64 v11, |v1|, |v1|
	v_add_f32_e32 v5, v5, v8
	v_add_f32_e32 v8, v13, v10
	;; [unrolled: 1-line block ×3, first 2 shown]
	v_sub_f32_e32 v9, v8, v13
	v_add_f32_e32 v5, v14, v5
	v_sub_f32_e32 v9, v10, v9
	v_mul_f32_e32 v14, 0x3f317218, v4
	v_mul_f32_e32 v5, v7, v5
	v_fma_f32 v15, 0x3f317218, v4, -v14
	v_add_f32_e32 v5, v9, v5
	v_fmamk_f32 v4, v4, 0xb102e308, v15
	v_add_f32_e32 v7, v8, v5
	v_mul_f32_e32 v9, v7, v7
	v_ldexp_f32 v13, v7, 1
	v_fmaak_f32 v10, s5, v9, 0x3ecc95a3
	v_mul_f32_e32 v12, v7, v9
	v_sub_f32_e32 v7, v7, v8
	s_mov_b32 s5, 0x3b2d2a58
	v_fmaak_f32 v9, v9, v10, 0x3f2aaada
	v_max_f32_e64 v10, |v0|, |v0|
	v_sub_f32_e32 v5, v5, v7
	v_mul_f32_e32 v9, v12, v9
	v_max_f32_e32 v12, v10, v11
	v_min_f32_e32 v10, v10, v11
	v_ldexp_f32 v5, v5, 1
	v_add_f32_e32 v8, v13, v9
	v_frexp_mant_f32_e32 v11, v12
	v_frexp_exp_i32_f32_e32 v12, v12
	v_sub_f32_e32 v7, v8, v13
	v_rcp_f32_e32 v11, v11
	v_frexp_exp_i32_f32_e32 v13, v10
	v_sub_f32_e32 v7, v9, v7
	v_frexp_mant_f32_e32 v9, v10
	v_sub_nc_u32_e32 v10, v13, v12
	v_add_f32_e32 v5, v5, v7
	v_mul_f32_e32 v7, v9, v11
	v_add_f32_e32 v9, v14, v4
	v_add_f32_e32 v11, v8, v5
	v_ldexp_f32 v7, v7, v10
	v_sub_f32_e32 v14, v9, v14
	v_add_f32_e32 v10, v9, v11
	v_mul_f32_e32 v12, v7, v7
	v_sub_f32_e32 v8, v11, v8
	v_sub_f32_e32 v4, v4, v14
	;; [unrolled: 1-line block ×3, first 2 shown]
	v_fmaak_f32 v15, s5, v12, 0xbc7a590c
	v_sub_f32_e32 v5, v5, v8
	v_cmp_neq_f32_e64 s5, -1.0, v6
	v_sub_f32_e32 v16, v10, v13
	v_fmaak_f32 v15, v12, v15, 0x3d29fb3f
	v_sub_f32_e32 v8, v11, v13
	v_add_f32_e32 v13, v4, v5
	v_sub_f32_e32 v9, v9, v16
	v_fmaak_f32 v11, v12, v15, 0xbd97d4d7
	v_add_f32_e32 v8, v8, v9
	v_fmaak_f32 v9, v12, v11, 0x3dd931b2
	v_sub_f32_e32 v11, v13, v4
	v_add_f32_e32 v8, v13, v8
	v_fmaak_f32 v9, v12, v9, 0xbe1160e6
	v_sub_f32_e32 v13, v13, v11
	v_sub_f32_e32 v5, v5, v11
	v_add_f32_e32 v14, v10, v8
	v_fmaak_f32 v9, v12, v9, 0x3e4cb8bf
	v_sub_f32_e32 v4, v4, v13
	v_sub_f32_e32 v10, v14, v10
	v_fmaak_f32 v9, v12, v9, 0xbeaaaa62
	v_add_f32_e32 v4, v5, v4
	v_sub_f32_e32 v5, v8, v10
	v_mul_f32_e32 v8, v12, v9
	v_add_f32_e32 v4, v4, v5
	v_fmac_f32_e32 v7, v7, v8
	v_add_f32_e32 v4, v14, v4
	v_sub_f32_e32 v5, 0x3fc90fdb, v7
	v_cndmask_b32_e32 v4, 0x7f800000, v4, vcc_lo
	v_cmp_gt_i32_e32 vcc_lo, 0, v0
	v_cndmask_b32_e64 v5, v7, v5, s4
	v_mov_b32_e32 v7, 0x4016cbe4
	v_cndmask_b32_e64 v8, 0, 0x40490fdb, vcc_lo
	v_cmp_ngt_f32_e32 vcc_lo, -1.0, v6
	v_sub_f32_e32 v9, 0x40490fdb, v5
	v_cndmask_b32_e32 v4, 0x7fc00000, v4, vcc_lo
	v_cmp_gt_f32_e32 vcc_lo, 0, v0
	v_cndmask_b32_e64 v0, 0xff800000, v4, s5
	v_cndmask_b32_e32 v4, v5, v9, vcc_lo
	v_cndmask_b32_e32 v7, 0x3f490fdb, v7, vcc_lo
	v_cmp_gt_f32_e64 vcc_lo, 0x33800000, |v6|
	v_cmp_class_f32_e64 s5, v1, 0x204
	v_cndmask_b32_e32 v0, v0, v6, vcc_lo
	v_cmp_eq_f32_e32 vcc_lo, 0, v1
	v_mul_f32_e32 v5, 0.5, v0
	v_cndmask_b32_e32 v4, v4, v8, vcc_lo
	s_and_b32 vcc_lo, s6, s5
	v_cndmask_b32_e32 v4, v4, v7, vcc_lo
.LBB81_13:
	s_or_b32 exec_lo, exec_lo, s16
.LBB81_14:
	s_or_b32 exec_lo, exec_lo, s15
                                        ; implicit-def: $vgpr0
.LBB81_15:
	s_andn2_saveexec_b32 s6, s14
	s_cbranch_execz .LBB81_17
; %bb.16:
	v_max_f32_e64 v6, |v1|, |v1|
	v_max_f32_e64 v7, |v0|, |v0|
	s_mov_b32 s5, 0x3b2d2a58
	v_cmp_class_f32_e64 s7, v0, 0x204
	v_cmp_class_f32_e64 s8, v1, 0x204
	v_max_f32_e32 v8, v7, v6
	v_min_f32_e32 v6, v7, v6
	v_cvt_f64_f32_e32 v[4:5], v8
	v_frexp_exp_i32_f32_e32 v7, v8
	v_frexp_exp_i32_f32_e32 v9, v6
	v_frexp_mant_f32_e32 v6, v6
	v_cmp_neq_f32_e32 vcc_lo, 0x7f800000, v8
	v_sub_nc_u32_e32 v7, v9, v7
	v_frexp_exp_i32_f64_e32 v4, v[4:5]
	v_frexp_mant_f32_e32 v5, v8
	v_mov_b32_e32 v8, 0x4016cbe4
	v_rcp_f32_e32 v5, v5
	v_mul_f32_e32 v5, v6, v5
	v_ldexp_f32 v5, v5, v7
	v_sub_nc_u32_e32 v10, 0, v4
	v_mul_f32_e32 v9, v5, v5
	v_ldexp_f32 v6, |v1|, v10
	v_ldexp_f32 v7, |v0|, v10
	v_mul_f32_e32 v6, v6, v6
	v_fmac_f32_e32 v6, v7, v7
	v_fmaak_f32 v7, s5, v9, 0xbc7a590c
	v_cmp_gt_i32_e64 s5, 0, v0
	v_sqrt_f32_e32 v6, v6
	v_fmaak_f32 v7, v9, v7, 0x3d29fb3f
	v_fmaak_f32 v7, v9, v7, 0xbd97d4d7
	v_ldexp_f32 v4, v6, v4
	v_fmaak_f32 v6, v9, v7, 0x3dd931b2
	v_cndmask_b32_e32 v4, 0x7f800000, v4, vcc_lo
	v_fmaak_f32 v6, v9, v6, 0xbe1160e6
	v_cmp_gt_f32_e32 vcc_lo, 0x800000, v4
	v_fmaak_f32 v6, v9, v6, 0x3e4cb8bf
	v_cndmask_b32_e64 v7, 0, 32, vcc_lo
	v_fmaak_f32 v6, v9, v6, 0xbeaaaa62
	v_ldexp_f32 v4, v4, v7
	v_mul_f32_e32 v6, v9, v6
	v_log_f32_e32 v4, v4
	v_fmac_f32_e32 v5, v5, v6
	v_sub_f32_e32 v7, 0x3fc90fdb, v5
	v_mul_f32_e32 v6, 0x3f317217, v4
	v_cndmask_b32_e64 v5, v5, v7, s4
	v_cndmask_b32_e64 v7, 0, 0x40490fdb, s5
	v_cmp_gt_f32_e64 s5, 0, v0
	v_cndmask_b32_e64 v0, 0, 0x41b17218, vcc_lo
	v_fma_f32 v6, 0x3f317217, v4, -v6
	v_sub_f32_e32 v9, 0x40490fdb, v5
	v_cmp_gt_f32_e64 vcc_lo, 0x7f800000, |v4|
	v_cndmask_b32_e64 v8, 0x3f490fdb, v8, s5
	v_fmamk_f32 v6, v4, 0x3377d1cf, v6
	v_cndmask_b32_e64 v5, v5, v9, s5
	v_fmac_f32_e32 v6, 0x3f317217, v4
	v_cndmask_b32_e32 v4, v4, v6, vcc_lo
	v_cmp_eq_f32_e32 vcc_lo, 0, v1
	v_cndmask_b32_e32 v6, v5, v7, vcc_lo
	s_and_b32 vcc_lo, s7, s8
	v_sub_f32_e32 v5, v4, v0
	v_cndmask_b32_e32 v4, v6, v8, vcc_lo
.LBB81_17:
	s_or_b32 exec_lo, exec_lo, s6
                                        ; implicit-def: $vgpr6
                                        ; implicit-def: $vgpr0
.LBB81_18:
	s_andn2_saveexec_b32 s6, s13
	s_cbranch_execz .LBB81_24
; %bb.19:
                                        ; implicit-def: $vgpr5
                                        ; implicit-def: $vgpr4
	s_mov_b32 s5, exec_lo
	v_cmpx_ngt_f32_e32 0x1fec1e4a, v6
	s_xor_b32 s7, exec_lo, s5
	s_cbranch_execz .LBB81_21
; %bb.20:
	v_mul_f32_e32 v6, v6, v6
	s_mov_b32 s5, 0x3e9b6dac
	v_cmp_class_f32_e64 s8, v0, 0x204
	v_add_f32_e32 v7, 1.0, v6
	v_cvt_f64_f32_e32 v[4:5], v7
	v_frexp_exp_i32_f64_e32 v4, v[4:5]
	v_frexp_mant_f32_e32 v5, v7
	v_cmp_gt_f32_e32 vcc_lo, 0x3f2aaaab, v5
	v_add_f32_e32 v5, -1.0, v7
	v_sub_f32_e32 v9, v5, v7
	v_sub_f32_e32 v5, v6, v5
	v_add_f32_e32 v9, 1.0, v9
	v_add_f32_e32 v5, v5, v9
	v_subrev_co_ci_u32_e64 v4, null, 0, v4, vcc_lo
	v_cmp_gt_i32_e32 vcc_lo, 0, v0
	v_sub_nc_u32_e32 v8, 0, v4
	v_cvt_f32_i32_e32 v4, v4
	v_ldexp_f32 v7, v7, v8
	v_ldexp_f32 v5, v5, v8
	v_add_f32_e32 v10, 1.0, v7
	v_add_f32_e32 v8, -1.0, v7
	v_add_f32_e32 v9, -1.0, v10
	v_add_f32_e32 v11, 1.0, v8
	v_sub_f32_e32 v9, v7, v9
	v_sub_f32_e32 v7, v7, v11
	v_add_f32_e32 v9, v5, v9
	v_add_f32_e32 v5, v5, v7
	;; [unrolled: 1-line block ×4, first 2 shown]
	v_rcp_f32_e32 v7, v11
	v_sub_f32_e32 v10, v10, v11
	v_sub_f32_e32 v8, v8, v12
	v_add_f32_e32 v9, v9, v10
	v_add_f32_e32 v5, v5, v8
	v_mul_f32_e32 v13, v12, v7
	v_mul_f32_e32 v14, v11, v13
	v_fma_f32 v10, v13, v11, -v14
	v_fmac_f32_e32 v10, v13, v9
	v_add_f32_e32 v15, v14, v10
	v_sub_f32_e32 v16, v12, v15
	v_sub_f32_e32 v8, v15, v14
	;; [unrolled: 1-line block ×5, first 2 shown]
	v_add_f32_e32 v5, v5, v12
	v_add_f32_e32 v5, v8, v5
	;; [unrolled: 1-line block ×3, first 2 shown]
	v_mul_f32_e32 v10, v7, v8
	v_sub_f32_e32 v15, v16, v8
	v_mul_f32_e32 v12, v11, v10
	v_add_f32_e32 v5, v5, v15
	v_fma_f32 v11, v10, v11, -v12
	v_fmac_f32_e32 v11, v10, v9
	v_add_f32_e32 v9, v12, v11
	v_sub_f32_e32 v14, v8, v9
	v_sub_f32_e32 v12, v9, v12
	;; [unrolled: 1-line block ×5, first 2 shown]
	v_max_f32_e64 v11, |v0|, |v0|
	v_add_f32_e32 v5, v5, v8
	v_add_f32_e32 v8, v13, v10
	;; [unrolled: 1-line block ×3, first 2 shown]
	v_sub_f32_e32 v9, v8, v13
	v_add_f32_e32 v5, v14, v5
	v_sub_f32_e32 v9, v10, v9
	v_mul_f32_e32 v5, v7, v5
	v_add_f32_e32 v5, v9, v5
	v_max_f32_e64 v9, |v1|, |v1|
	v_add_f32_e32 v7, v8, v5
	v_max_f32_e32 v13, v11, v9
	v_min_f32_e32 v9, v11, v9
	v_mul_f32_e32 v10, v7, v7
	v_frexp_exp_i32_f32_e32 v11, v13
	v_fmaak_f32 v12, s5, v10, 0x3ecc95a3
	v_mul_f32_e32 v14, v7, v10
	s_mov_b32 s5, 0x3b2d2a58
	v_fmaak_f32 v10, v10, v12, 0x3f2aaada
	v_frexp_mant_f32_e32 v12, v13
	v_ldexp_f32 v13, v7, 1
	v_sub_f32_e32 v7, v7, v8
	v_mul_f32_e32 v10, v14, v10
	v_rcp_f32_e32 v12, v12
	v_frexp_exp_i32_f32_e32 v14, v9
	v_frexp_mant_f32_e32 v9, v9
	v_sub_f32_e32 v5, v5, v7
	v_add_f32_e32 v8, v13, v10
	v_sub_nc_u32_e32 v11, v14, v11
	v_mul_f32_e32 v14, 0x3f317218, v4
	v_ldexp_f32 v5, v5, 1
	v_sub_f32_e32 v7, v8, v13
	v_mul_f32_e32 v9, v9, v12
	v_fma_f32 v12, 0x3f317218, v4, -v14
	v_sub_f32_e32 v7, v10, v7
	v_ldexp_f32 v9, v9, v11
	v_fmamk_f32 v4, v4, 0xb102e308, v12
	v_add_f32_e32 v5, v5, v7
	v_mul_f32_e32 v7, v9, v9
	v_add_f32_e32 v10, v14, v4
	v_add_f32_e32 v11, v8, v5
	v_fmaak_f32 v12, s5, v7, 0xbc7a590c
	v_cmp_neq_f32_e64 s5, 0x7f800000, v6
	v_sub_f32_e32 v14, v10, v14
	v_add_f32_e32 v13, v10, v11
	v_fmaak_f32 v12, v7, v12, 0x3d29fb3f
	v_sub_f32_e32 v8, v11, v8
	v_sub_f32_e32 v4, v4, v14
	;; [unrolled: 1-line block ×3, first 2 shown]
	v_fmaak_f32 v12, v7, v12, 0xbd97d4d7
	v_sub_f32_e32 v5, v5, v8
	v_sub_f32_e32 v16, v13, v15
	v_fmaak_f32 v12, v7, v12, 0x3dd931b2
	v_sub_f32_e32 v8, v11, v15
	v_sub_f32_e32 v10, v10, v16
	v_fmaak_f32 v11, v7, v12, 0xbe1160e6
	v_add_f32_e32 v12, v4, v5
	v_add_f32_e32 v8, v8, v10
	v_fmaak_f32 v10, v7, v11, 0x3e4cb8bf
	v_sub_f32_e32 v11, v12, v4
	v_add_f32_e32 v8, v12, v8
	v_fmaak_f32 v10, v7, v10, 0xbeaaaa62
	v_sub_f32_e32 v12, v12, v11
	v_sub_f32_e32 v5, v5, v11
	v_add_f32_e32 v14, v13, v8
	v_mul_f32_e32 v7, v7, v10
	v_sub_f32_e32 v4, v4, v12
	v_sub_f32_e32 v10, v14, v13
	v_fmac_f32_e32 v9, v9, v7
	v_add_f32_e32 v4, v5, v4
	v_sub_f32_e32 v5, v8, v10
	v_sub_f32_e32 v7, 0x3fc90fdb, v9
	v_mov_b32_e32 v8, 0x4016cbe4
	v_add_f32_e32 v4, v4, v5
	v_cndmask_b32_e64 v5, v9, v7, s4
	v_cndmask_b32_e64 v7, 0, 0x40490fdb, vcc_lo
	v_cmp_gt_f32_e32 vcc_lo, 0, v0
	v_add_f32_e32 v4, v14, v4
	v_sub_f32_e32 v9, 0x40490fdb, v5
	v_cndmask_b32_e32 v8, 0x3f490fdb, v8, vcc_lo
	v_cndmask_b32_e64 v0, 0x7f800000, v4, s5
	v_cndmask_b32_e32 v4, v5, v9, vcc_lo
	v_cmp_gt_f32_e64 vcc_lo, 0x33800000, |v6|
	v_cmp_class_f32_e64 s5, v1, 0x204
	v_cndmask_b32_e32 v0, v0, v6, vcc_lo
	v_cmp_eq_f32_e32 vcc_lo, 0, v1
                                        ; implicit-def: $vgpr6
	v_mul_f32_e32 v5, 0.5, v0
	v_cndmask_b32_e32 v4, v4, v7, vcc_lo
	s_and_b32 vcc_lo, s8, s5
                                        ; implicit-def: $vgpr0
	v_cndmask_b32_e32 v4, v4, v8, vcc_lo
.LBB81_21:
	s_andn2_saveexec_b32 s7, s7
	s_cbranch_execz .LBB81_23
; %bb.22:
	v_max_f32_e64 v4, |v1|, |v1|
	v_max_f32_e64 v5, |v0|, |v0|
	s_mov_b32 s5, 0x3b2d2a58
	v_cmp_gt_i32_e32 vcc_lo, 0, v0
	v_cmp_class_f32_e64 s8, v0, 0x204
	v_cmp_class_f32_e64 s9, v1, 0x204
	v_max_f32_e32 v7, v5, v4
	v_min_f32_e32 v4, v5, v4
	v_frexp_mant_f32_e32 v8, v7
	v_frexp_exp_i32_f32_e32 v7, v7
	v_rcp_f32_e32 v5, v8
	v_frexp_exp_i32_f32_e32 v8, v4
	v_frexp_mant_f32_e32 v4, v4
	v_sub_nc_u32_e32 v7, v8, v7
	v_cndmask_b32_e64 v8, 0, 0x40490fdb, vcc_lo
	v_cmp_gt_f32_e32 vcc_lo, 0, v0
	v_mul_f32_e32 v4, v4, v5
	v_ldexp_f32 v4, v4, v7
	v_mul_f32_e32 v5, v4, v4
	v_fmaak_f32 v7, s5, v5, 0xbc7a590c
	v_cmp_eq_f32_e64 s5, 0, v1
	v_fmaak_f32 v7, v5, v7, 0x3d29fb3f
	v_fmaak_f32 v7, v5, v7, 0xbd97d4d7
	v_fmaak_f32 v7, v5, v7, 0x3dd931b2
	v_fmaak_f32 v7, v5, v7, 0xbe1160e6
	v_fmaak_f32 v7, v5, v7, 0x3e4cb8bf
	v_fmaak_f32 v7, v5, v7, 0xbeaaaa62
	v_mul_f32_e32 v5, v5, v7
	v_mul_f32_e32 v7, 0.5, v6
	v_fmac_f32_e32 v4, v4, v5
	v_sub_f32_e32 v5, 0x3fc90fdb, v4
	v_cndmask_b32_e64 v4, v4, v5, s4
	v_sub_f32_e32 v5, 0x40490fdb, v4
	v_cndmask_b32_e32 v4, v4, v5, vcc_lo
	v_mov_b32_e32 v5, 0x4016cbe4
	v_cndmask_b32_e64 v0, v4, v8, s5
	v_cndmask_b32_e32 v4, 0x3f490fdb, v5, vcc_lo
	s_and_b32 vcc_lo, s8, s9
	v_mul_f32_e32 v5, v6, v7
	v_cndmask_b32_e32 v4, v0, v4, vcc_lo
.LBB81_23:
	s_or_b32 exec_lo, exec_lo, s7
.LBB81_24:
	s_or_b32 exec_lo, exec_lo, s6
                                        ; implicit-def: $vgpr0
.LBB81_25:
	s_andn2_saveexec_b32 s6, s12
	s_cbranch_execz .LBB81_27
; %bb.26:
	v_div_scale_f32 v4, null, 0x402df854, 0x402df854, v0
	v_div_scale_f32 v5, null, 0x402df854, 0x402df854, v1
	v_div_scale_f32 v10, vcc_lo, v0, 0x402df854, v0
	v_rcp_f32_e32 v6, v4
	v_rcp_f32_e32 v7, v5
	v_cmp_class_f32_e64 s7, v1, 0x204
	v_fma_f32 v8, -v4, v6, 1.0
	v_fma_f32 v9, -v5, v7, 1.0
	v_fmac_f32_e32 v6, v8, v6
	v_div_scale_f32 v8, s5, v1, 0x402df854, v1
	v_fmac_f32_e32 v7, v9, v7
	v_mul_f32_e32 v9, v10, v6
	v_mul_f32_e32 v11, v8, v7
	v_fma_f32 v12, -v4, v9, v10
	v_fma_f32 v13, -v5, v11, v8
	v_fmac_f32_e32 v9, v12, v6
	v_fmac_f32_e32 v11, v13, v7
	v_fma_f32 v4, -v4, v9, v10
	v_fma_f32 v5, -v5, v11, v8
	v_div_fmas_f32 v4, v4, v6, v9
	s_mov_b32 vcc_lo, s5
	v_max_f32_e64 v9, |v0|, |v0|
	v_div_fmas_f32 v5, v5, v7, v11
	s_mov_b32 s5, 0x3b2d2a58
	v_div_fixup_f32 v6, v4, 0x402df854, v0
	v_div_fixup_f32 v7, v5, 0x402df854, v1
	v_max_f32_e64 v8, |v6|, |v7|
	v_cvt_f64_f32_e32 v[4:5], v8
	v_cmp_neq_f32_e32 vcc_lo, 0x7f800000, v8
	v_frexp_exp_i32_f64_e32 v4, v[4:5]
	v_max_f32_e64 v5, |v1|, |v1|
	v_max_f32_e32 v10, v9, v5
	v_min_f32_e32 v5, v9, v5
	v_frexp_mant_f32_e32 v11, v10
	v_frexp_exp_i32_f32_e32 v10, v10
	v_frexp_exp_i32_f32_e32 v12, v5
	v_frexp_mant_f32_e32 v5, v5
	v_rcp_f32_e32 v9, v11
	v_sub_nc_u32_e32 v10, v12, v10
	v_sub_nc_u32_e32 v11, 0, v4
	v_mul_f32_e32 v5, v5, v9
	v_ldexp_f32 v7, |v7|, v11
	v_ldexp_f32 v6, |v6|, v11
	v_ldexp_f32 v5, v5, v10
	v_mul_f32_e32 v7, v7, v7
	v_fmac_f32_e32 v7, v6, v6
	v_mul_f32_e32 v6, v5, v5
	v_sqrt_f32_e32 v7, v7
	v_fmaak_f32 v9, s5, v6, 0xbc7a590c
	v_cmp_class_f32_e64 s5, v0, 0x204
	v_fmaak_f32 v9, v6, v9, 0x3d29fb3f
	v_ldexp_f32 v4, v7, v4
	v_fmaak_f32 v7, v6, v9, 0xbd97d4d7
	v_cndmask_b32_e32 v4, 0x7f800000, v4, vcc_lo
	v_fmaak_f32 v7, v6, v7, 0x3dd931b2
	v_cmp_gt_f32_e32 vcc_lo, 0x800000, v4
	v_fmaak_f32 v7, v6, v7, 0xbe1160e6
	v_cndmask_b32_e64 v8, 0, 32, vcc_lo
	v_fmaak_f32 v7, v6, v7, 0x3e4cb8bf
	v_cndmask_b32_e64 v10, 0, 0x41b17218, vcc_lo
	v_ldexp_f32 v4, v4, v8
	v_fmaak_f32 v7, v6, v7, 0xbeaaaa62
	v_mov_b32_e32 v8, 0x4016cbe4
	v_log_f32_e32 v4, v4
	v_mul_f32_e32 v6, v6, v7
	v_fmac_f32_e32 v5, v5, v6
	v_mul_f32_e32 v7, 0x3f317217, v4
	v_cmp_gt_f32_e64 vcc_lo, 0x7f800000, |v4|
	v_fma_f32 v6, 0x3f317217, v4, -v7
	v_sub_f32_e32 v7, 0x3fc90fdb, v5
	v_fmamk_f32 v6, v4, 0x3377d1cf, v6
	v_cndmask_b32_e64 v5, v5, v7, s4
	v_cmp_gt_i32_e64 s4, 0, v0
	v_fmac_f32_e32 v6, 0x3f317217, v4
	v_sub_f32_e32 v9, 0x40490fdb, v5
	v_cndmask_b32_e64 v7, 0, 0x40490fdb, s4
	v_cmp_gt_f32_e64 s4, 0, v0
	v_cndmask_b32_e32 v4, v4, v6, vcc_lo
	v_cmp_eq_f32_e32 vcc_lo, 0, v1
	v_cndmask_b32_e64 v0, v5, v9, s4
	v_cndmask_b32_e64 v6, 0x3f490fdb, v8, s4
	v_sub_f32_e32 v4, v4, v10
	v_cndmask_b32_e32 v0, v0, v7, vcc_lo
	s_and_b32 vcc_lo, s5, s7
	v_add_f32_e32 v5, 1.0, v4
	v_cndmask_b32_e32 v4, v0, v6, vcc_lo
.LBB81_27:
	s_or_b32 exec_lo, exec_lo, s6
                                        ; implicit-def: $vgpr0
.LBB81_28:
	s_andn2_saveexec_b32 s4, s11
	s_cbranch_execz .LBB81_34
; %bb.29:
	v_cmp_ngt_f32_e64 s5, 0x20000000, |v0|
	v_cmp_ngt_f32_e64 s6, 0x20000000, |v1|
                                        ; implicit-def: $vgpr4
	s_or_b32 s5, s5, s6
	s_and_saveexec_b32 s6, s5
	s_xor_b32 s5, exec_lo, s6
; %bb.30:
	v_mul_f32_e32 v4, v1, v1
	v_fmac_f32_e32 v4, v0, v0
                                        ; implicit-def: $vgpr0
; %bb.31:
	s_andn2_saveexec_b32 s5, s5
; %bb.32:
	v_mul_f32_e32 v4, 4.0, v1
	v_mul_f32_e32 v0, 4.0, v0
	v_mul_f32_e32 v4, v4, v4
	v_fmac_f32_e32 v4, v0, v0
	v_mul_f32_e32 v4, 0x3d800000, v4
; %bb.33:
	s_or_b32 exec_lo, exec_lo, s5
	v_cmp_gt_f32_e32 vcc_lo, 0x800000, v4
	v_cndmask_b32_e64 v0, 0, 32, vcc_lo
	v_cndmask_b32_e64 v5, 0, 0x41b17218, vcc_lo
	v_ldexp_f32 v0, v4, v0
	v_log_f32_e32 v0, v0
	v_mul_f32_e32 v4, 0x3f317217, v0
	v_cmp_gt_f32_e64 vcc_lo, 0x7f800000, |v0|
	v_fma_f32 v4, 0x3f317217, v0, -v4
	v_fmamk_f32 v4, v0, 0x3377d1cf, v4
	v_fmac_f32_e32 v4, 0x3f317217, v0
	v_cndmask_b32_e32 v0, v0, v4, vcc_lo
	v_mov_b32_e32 v4, 0x7fc00000
	v_sub_f32_e32 v5, v0, v5
.LBB81_34:
	s_or_b32 exec_lo, exec_lo, s4
	v_bfi_b32 v0, 0x7fffffff, v4, v1
	v_mul_f32_e32 v1, v5, v3
	s_mov_b32 s4, exec_lo
	v_mul_f32_e64 v4, v3, -v0
	v_fmac_f32_e32 v1, v2, v0
                                        ; implicit-def: $vgpr0
	v_fmac_f32_e32 v4, v2, v5
	v_and_b32_e32 v3, 0x7fffffff, v1
	v_cmpx_ne_u32_e32 0, v3
	s_xor_b32 s6, exec_lo, s4
	s_cbranch_execz .LBB81_40
; %bb.35:
	v_and_b32_e32 v2, 0x7fffffff, v4
                                        ; implicit-def: $vgpr0
	s_mov_b32 s4, exec_lo
	v_cmpx_ne_u32_e32 0, v2
	s_xor_b32 s7, exec_lo, s4
	s_cbranch_execz .LBB81_67
; %bb.36:
                                        ; implicit-def: $vgpr0
	s_mov_b32 s4, exec_lo
	v_cmpx_gt_u32_e32 0x7f800000, v3
	s_xor_b32 s8, exec_lo, s4
	s_cbranch_execz .LBB81_60
; %bb.37:
	v_add_nc_u32_e32 v0, 0xbd4e8de8, v4
	v_cmp_lt_u32_e32 vcc_lo, 0x8e8e5c, v0
                                        ; implicit-def: $vgpr0
	s_and_saveexec_b32 s4, vcc_lo
	s_xor_b32 s9, exec_lo, s4
	s_cbranch_execz .LBB81_49
; %bb.38:
	v_cmp_ngt_f32_e64 s10, 0x48000000, |v1|
                                        ; implicit-def: $vgpr2
                                        ; implicit-def: $vgpr0
	s_and_saveexec_b32 s4, s10
	s_xor_b32 s11, exec_lo, s4
	s_cbranch_execz .LBB81_42
; %bb.39:
	s_mov_b32 s4, 0x7fffff
	v_mov_b32_e32 v7, 0
	v_and_or_b32 v0, v3, s4, 0x800000
	v_lshrrev_b32_e32 v2, 23, v3
	v_mad_u64_u32 v[5:6], null, 0xfe5163ab, v0, 0
	v_add_nc_u32_e32 v2, 0xffffff88, v2
	v_cmp_lt_u32_e32 vcc_lo, 63, v2
	v_mad_u64_u32 v[8:9], null, 0x3c439041, v0, v[6:7]
	v_cndmask_b32_e64 v13, 0, 0xffffffc0, vcc_lo
	v_mov_b32_e32 v6, v9
	v_add_nc_u32_e32 v2, v13, v2
	v_mad_u64_u32 v[9:10], null, 0xdb629599, v0, v[6:7]
	v_cmp_lt_u32_e64 s4, 31, v2
	v_cndmask_b32_e64 v14, 0, 0xffffffe0, s4
	v_mov_b32_e32 v6, v10
	v_cndmask_b32_e32 v5, v9, v5, vcc_lo
	v_add_nc_u32_e32 v2, v14, v2
	v_mad_u64_u32 v[10:11], null, 0xf534ddc0, v0, v[6:7]
	v_cmp_lt_u32_e64 s5, 31, v2
	v_mov_b32_e32 v6, v11
	v_mad_u64_u32 v[11:12], null, 0xfc2757d1, v0, v[6:7]
	v_mov_b32_e32 v6, v12
	v_mad_u64_u32 v[12:13], null, 0x4e441529, v0, v[6:7]
	v_mov_b32_e32 v6, v13
	v_cndmask_b32_e32 v13, v12, v10, vcc_lo
	v_mad_u64_u32 v[6:7], null, 0xa2f9836e, v0, v[6:7]
	v_cndmask_b32_e64 v0, 0, 0xffffffe0, s5
	v_add_nc_u32_e32 v0, v0, v2
	v_cndmask_b32_e32 v6, v6, v11, vcc_lo
	v_cndmask_b32_e32 v7, v7, v12, vcc_lo
	;; [unrolled: 1-line block ×4, first 2 shown]
	v_sub_nc_u32_e32 v10, 32, v0
	v_cndmask_b32_e64 v8, v6, v13, s4
	v_cndmask_b32_e64 v6, v7, v6, s4
	;; [unrolled: 1-line block ×4, first 2 shown]
	v_cmp_eq_u32_e32 vcc_lo, 0, v0
	v_cndmask_b32_e64 v2, v2, v5, s4
	v_cndmask_b32_e64 v6, v6, v8, s5
	;; [unrolled: 1-line block ×5, first 2 shown]
	v_alignbit_b32 v12, v6, v8, v10
	v_alignbit_b32 v9, v8, v7, v10
	;; [unrolled: 1-line block ×3, first 2 shown]
	v_cndmask_b32_e32 v0, v12, v6, vcc_lo
	v_cndmask_b32_e32 v5, v9, v8, vcc_lo
	v_cndmask_b32_e32 v7, v10, v7, vcc_lo
	v_bfe_u32 v6, v0, 29, 1
	v_alignbit_b32 v8, v0, v5, 30
	v_alignbit_b32 v5, v5, v7, 30
	;; [unrolled: 1-line block ×3, first 2 shown]
	v_sub_nc_u32_e32 v9, 0, v6
	v_xor_b32_e32 v8, v8, v9
	v_xor_b32_e32 v5, v5, v9
	;; [unrolled: 1-line block ×3, first 2 shown]
	v_lshrrev_b32_e32 v9, 29, v0
	v_ffbh_u32_e32 v10, v8
	v_min_u32_e32 v10, 32, v10
	v_sub_nc_u32_e32 v7, 31, v10
	v_lshlrev_b32_e32 v11, 23, v10
	v_alignbit_b32 v8, v8, v5, v7
	v_alignbit_b32 v2, v5, v2, v7
	v_lshlrev_b32_e32 v5, 31, v9
	v_alignbit_b32 v7, v8, v2, 9
	v_or_b32_e32 v9, 0.5, v5
	v_lshrrev_b32_e32 v8, 9, v8
	v_or_b32_e32 v5, 0x33000000, v5
	v_ffbh_u32_e32 v12, v7
	v_sub_nc_u32_e32 v9, v9, v11
	v_min_u32_e32 v11, 32, v12
	v_or_b32_e32 v8, v8, v9
	v_not_b32_e32 v9, v11
	v_mul_f32_e32 v12, 0x3fc90fda, v8
	v_add_lshl_u32 v10, v11, v10, 23
	v_alignbit_b32 v2, v7, v2, v9
	v_fma_f32 v7, 0x3fc90fda, v8, -v12
	v_sub_nc_u32_e32 v5, v5, v10
	v_lshrrev_b32_e32 v2, 9, v2
	v_fmamk_f32 v7, v8, 0x33a22168, v7
	v_or_b32_e32 v2, v5, v2
	v_fmac_f32_e32 v7, 0x3fc90fda, v2
	v_lshrrev_b32_e32 v2, 30, v0
	v_add_f32_e32 v0, v12, v7
	v_add_nc_u32_e32 v2, v6, v2
	s_andn2_saveexec_b32 s4, s11
	s_branch .LBB81_43
.LBB81_40:
	s_andn2_saveexec_b32 s4, s6
	s_cbranch_execz .LBB81_78
.LBB81_41:
	v_mul_f32_e32 v0, 0x3fb8aa3b, v4
	v_cmp_ngt_f32_e32 vcc_lo, 0xc2ce8ed0, v4
	v_rndne_f32_e32 v2, v0
	v_fma_f32 v3, 0x3fb8aa3b, v4, -v0
	v_sub_f32_e32 v0, v0, v2
	v_fmamk_f32 v3, v4, 0x32a5705f, v3
	v_cvt_i32_f32_e32 v2, v2
	v_add_f32_e32 v0, v0, v3
	v_exp_f32_e32 v0, v0
	v_ldexp_f32 v0, v0, v2
	v_cndmask_b32_e32 v0, 0, v0, vcc_lo
	v_cmp_nlt_f32_e32 vcc_lo, 0x42b17218, v4
	v_cndmask_b32_e32 v0, 0x7f800000, v0, vcc_lo
	s_or_b32 exec_lo, exec_lo, s4
	s_setpc_b64 s[30:31]
.LBB81_42:
	s_andn2_saveexec_b32 s4, s11
.LBB81_43:
	v_mul_f32_e64 v0, 0x3f22f983, |v1|
	v_rndne_f32_e32 v2, v0
	v_fma_f32 v0, 0xbfc90fda, v2, |v1|
	v_fmamk_f32 v0, v2, 0xb3a22168, v0
	v_fmamk_f32 v0, v2, 0xa7c234c4, v0
	v_cvt_i32_f32_e32 v2, v2
; %bb.44:
	s_or_b32 exec_lo, exec_lo, s4
                                        ; implicit-def: $vgpr6
                                        ; implicit-def: $vgpr5
	s_and_saveexec_b32 s4, s10
	s_xor_b32 s10, exec_lo, s4
	s_cbranch_execz .LBB81_46
; %bb.45:
	s_mov_b32 s4, 0x7fffff
	v_mov_b32_e32 v7, 0
	v_and_or_b32 v14, v3, s4, 0x800000
	v_lshrrev_b32_e32 v12, 23, v3
	v_mad_u64_u32 v[5:6], null, 0xfe5163ab, v14, 0
	v_add_nc_u32_e32 v13, 0xffffff88, v12
	v_cmp_lt_u32_e32 vcc_lo, 63, v13
	v_mad_u64_u32 v[8:9], null, 0x3c439041, v14, v[6:7]
	v_cndmask_b32_e64 v15, 0, 0xffffffc0, vcc_lo
	v_mov_b32_e32 v6, v9
	v_add_nc_u32_e32 v15, v15, v13
	v_mad_u64_u32 v[9:10], null, 0xdb629599, v14, v[6:7]
	v_cmp_lt_u32_e64 s4, 31, v15
	v_cndmask_b32_e64 v16, 0, 0xffffffe0, s4
	v_mov_b32_e32 v6, v10
	v_cndmask_b32_e32 v5, v9, v5, vcc_lo
	v_mad_u64_u32 v[10:11], null, 0xf534ddc0, v14, v[6:7]
	v_mov_b32_e32 v6, v11
	v_cndmask_b32_e32 v8, v10, v8, vcc_lo
	v_mad_u64_u32 v[11:12], null, 0xfc2757d1, v14, v[6:7]
	v_cndmask_b32_e64 v5, v8, v5, s4
	v_mov_b32_e32 v6, v12
	v_mad_u64_u32 v[12:13], null, 0x4e441529, v14, v[6:7]
	v_mov_b32_e32 v6, v13
	v_add_nc_u32_e32 v13, v16, v15
	v_cndmask_b32_e32 v15, v12, v10, vcc_lo
	v_mad_u64_u32 v[6:7], null, 0xa2f9836e, v14, v[6:7]
	v_cmp_lt_u32_e64 s5, 31, v13
	v_cndmask_b32_e64 v14, 0, 0xffffffe0, s5
	v_cndmask_b32_e32 v6, v6, v11, vcc_lo
	v_cndmask_b32_e32 v7, v7, v12, vcc_lo
	;; [unrolled: 1-line block ×3, first 2 shown]
	v_add_nc_u32_e32 v12, v14, v13
	v_cndmask_b32_e64 v10, v6, v15, s4
	v_cndmask_b32_e64 v6, v7, v6, s4
	;; [unrolled: 1-line block ×4, first 2 shown]
	v_sub_nc_u32_e32 v13, 32, v12
	v_cmp_eq_u32_e32 vcc_lo, 0, v12
	v_cndmask_b32_e64 v6, v6, v10, s5
	v_cndmask_b32_e64 v10, v10, v7, s5
	;; [unrolled: 1-line block ×4, first 2 shown]
	v_alignbit_b32 v14, v6, v10, v13
	v_alignbit_b32 v9, v10, v7, v13
	;; [unrolled: 1-line block ×3, first 2 shown]
	v_cndmask_b32_e32 v6, v14, v6, vcc_lo
	v_cndmask_b32_e32 v8, v9, v10, vcc_lo
	;; [unrolled: 1-line block ×3, first 2 shown]
	v_bfe_u32 v9, v6, 29, 1
	v_alignbit_b32 v10, v6, v8, 30
	v_alignbit_b32 v8, v8, v7, 30
	;; [unrolled: 1-line block ×3, first 2 shown]
	v_sub_nc_u32_e32 v11, 0, v9
	v_xor_b32_e32 v10, v10, v11
	v_xor_b32_e32 v7, v8, v11
	;; [unrolled: 1-line block ×3, first 2 shown]
	v_lshrrev_b32_e32 v11, 29, v6
	v_lshrrev_b32_e32 v6, 30, v6
	v_ffbh_u32_e32 v12, v10
	v_add_nc_u32_e32 v6, v9, v6
	v_min_u32_e32 v12, 32, v12
	v_sub_nc_u32_e32 v8, 31, v12
	v_lshlrev_b32_e32 v13, 23, v12
	v_alignbit_b32 v10, v10, v7, v8
	v_alignbit_b32 v5, v7, v5, v8
	v_lshlrev_b32_e32 v7, 31, v11
	v_alignbit_b32 v8, v10, v5, 9
	v_or_b32_e32 v11, 0.5, v7
	v_lshrrev_b32_e32 v10, 9, v10
	v_or_b32_e32 v7, 0x33000000, v7
	v_ffbh_u32_e32 v14, v8
	v_sub_nc_u32_e32 v11, v11, v13
	v_min_u32_e32 v13, 32, v14
	v_or_b32_e32 v10, v10, v11
	v_not_b32_e32 v11, v13
	v_mul_f32_e32 v14, 0x3fc90fda, v10
	v_add_lshl_u32 v12, v13, v12, 23
	v_alignbit_b32 v5, v8, v5, v11
	v_fma_f32 v8, 0x3fc90fda, v10, -v14
	v_sub_nc_u32_e32 v7, v7, v12
	v_lshrrev_b32_e32 v5, 9, v5
	v_fmamk_f32 v8, v10, 0x33a22168, v8
	v_or_b32_e32 v5, v7, v5
	v_fmac_f32_e32 v8, 0x3fc90fda, v5
	v_add_f32_e32 v5, v14, v8
	s_andn2_saveexec_b32 s4, s10
	s_cbranch_execnz .LBB81_47
	s_branch .LBB81_48
.LBB81_46:
	s_andn2_saveexec_b32 s4, s10
.LBB81_47:
	v_mul_f32_e64 v5, 0x3f22f983, |v1|
	v_rndne_f32_e32 v6, v5
	v_fma_f32 v5, 0xbfc90fda, v6, |v1|
	v_fmamk_f32 v5, v6, 0xb3a22168, v5
	v_fmamk_f32 v5, v6, 0xa7c234c4, v5
	v_cvt_i32_f32_e32 v6, v6
.LBB81_48:
	s_or_b32 exec_lo, exec_lo, s4
	v_mul_f32_e32 v7, 0x3fb8aa3b, v4
	v_mul_f32_e32 v8, v0, v0
	s_mov_b32 s4, 0xb94c1982
	s_mov_b32 s5, 0x37d75334
	v_mul_f32_e32 v12, v5, v5
	v_rndne_f32_e32 v9, v7
	v_fma_f32 v10, 0x3fb8aa3b, v4, -v7
	v_fmaak_f32 v13, s4, v8, 0x3c0881c4
	v_fmaak_f32 v14, s5, v8, 0xbab64f3b
	;; [unrolled: 1-line block ×3, first 2 shown]
	v_sub_f32_e32 v7, v7, v9
	v_fmamk_f32 v10, v4, 0x32a5705f, v10
	v_fmaak_f32 v16, s5, v12, 0xbab64f3b
	v_and_b32_e32 v11, 1, v2
	v_cvt_i32_f32_e32 v9, v9
	v_lshlrev_b32_e32 v2, 30, v2
	v_add_f32_e32 v7, v7, v10
	v_fmaak_f32 v10, v8, v13, 0xbe2aaa9d
	v_fmaak_f32 v13, v8, v14, 0x3d2aabf7
	v_fmaak_f32 v14, v12, v15, 0xbe2aaa9d
	v_fmaak_f32 v15, v12, v16, 0x3d2aabf7
	v_exp_f32_e32 v7, v7
	v_mul_f32_e32 v10, v8, v10
	v_fmaak_f32 v13, v8, v13, 0xbf000004
	v_mul_f32_e32 v14, v12, v14
	v_fmaak_f32 v15, v12, v15, 0xbf000004
	v_cmp_eq_u32_e32 vcc_lo, 0, v11
	v_fmac_f32_e32 v0, v0, v10
	v_fma_f32 v8, v8, v13, 1.0
	v_fmac_f32_e32 v5, v5, v14
	v_fma_f32 v10, v12, v15, 1.0
	v_ldexp_f32 v7, v7, v9
	v_and_b32_e32 v9, 1, v6
	v_lshlrev_b32_e32 v6, 30, v6
	v_cndmask_b32_e64 v0, -v0, v8, vcc_lo
	v_and_b32_e32 v2, 0x80000000, v2
	v_cmp_nlt_f32_e64 s4, 0x42b17218, v4
	v_cmp_eq_u32_e32 vcc_lo, 0, v9
	v_and_or_b32 v3, 0x80000000, v6, v3
	v_xor_b32_e32 v0, v2, v0
	v_cndmask_b32_e32 v5, v10, v5, vcc_lo
	v_cmp_ngt_f32_e32 vcc_lo, 0xc2ce8ed0, v4
                                        ; implicit-def: $vgpr4
	v_cndmask_b32_e32 v6, 0, v7, vcc_lo
	v_cmp_class_f32_e64 vcc_lo, v1, 0x1f8
	v_xor3_b32 v1, v3, v5, v1
                                        ; implicit-def: $vgpr3
	v_cndmask_b32_e64 v2, 0x7f800000, v6, s4
	v_cndmask_b32_e32 v0, 0x7fc00000, v0, vcc_lo
	v_cndmask_b32_e32 v1, 0x7fc00000, v1, vcc_lo
	v_mul_f32_e32 v0, v2, v0
	v_mul_f32_e32 v1, v2, v1
.LBB81_49:
	s_andn2_saveexec_b32 s9, s9
	s_cbranch_execz .LBB81_52
; %bb.50:
	v_cmp_ngt_f32_e64 s10, 0x48000000, |v1|
                                        ; implicit-def: $vgpr2
                                        ; implicit-def: $vgpr0
	s_and_saveexec_b32 s4, s10
	s_xor_b32 s11, exec_lo, s4
	s_cbranch_execz .LBB81_53
; %bb.51:
	s_mov_b32 s4, 0x7fffff
	v_mov_b32_e32 v7, 0
	v_and_or_b32 v0, v3, s4, 0x800000
	v_lshrrev_b32_e32 v2, 23, v3
	v_mad_u64_u32 v[5:6], null, 0xfe5163ab, v0, 0
	v_add_nc_u32_e32 v2, 0xffffff88, v2
	v_cmp_lt_u32_e32 vcc_lo, 63, v2
	v_mad_u64_u32 v[8:9], null, 0x3c439041, v0, v[6:7]
	v_cndmask_b32_e64 v13, 0, 0xffffffc0, vcc_lo
	v_mov_b32_e32 v6, v9
	v_add_nc_u32_e32 v2, v13, v2
	v_mad_u64_u32 v[9:10], null, 0xdb629599, v0, v[6:7]
	v_cmp_lt_u32_e64 s4, 31, v2
	v_cndmask_b32_e64 v14, 0, 0xffffffe0, s4
	v_mov_b32_e32 v6, v10
	v_cndmask_b32_e32 v5, v9, v5, vcc_lo
	v_add_nc_u32_e32 v2, v14, v2
	v_mad_u64_u32 v[10:11], null, 0xf534ddc0, v0, v[6:7]
	v_cmp_lt_u32_e64 s5, 31, v2
	v_mov_b32_e32 v6, v11
	v_mad_u64_u32 v[11:12], null, 0xfc2757d1, v0, v[6:7]
	v_mov_b32_e32 v6, v12
	v_mad_u64_u32 v[12:13], null, 0x4e441529, v0, v[6:7]
	v_mov_b32_e32 v6, v13
	v_cndmask_b32_e32 v13, v12, v10, vcc_lo
	v_mad_u64_u32 v[6:7], null, 0xa2f9836e, v0, v[6:7]
	v_cndmask_b32_e64 v0, 0, 0xffffffe0, s5
	v_add_nc_u32_e32 v0, v0, v2
	v_cndmask_b32_e32 v6, v6, v11, vcc_lo
	v_cndmask_b32_e32 v7, v7, v12, vcc_lo
	;; [unrolled: 1-line block ×4, first 2 shown]
	v_sub_nc_u32_e32 v10, 32, v0
	v_cndmask_b32_e64 v8, v6, v13, s4
	v_cndmask_b32_e64 v6, v7, v6, s4
	;; [unrolled: 1-line block ×4, first 2 shown]
	v_cmp_eq_u32_e32 vcc_lo, 0, v0
	v_cndmask_b32_e64 v2, v2, v5, s4
	v_cndmask_b32_e64 v6, v6, v8, s5
	;; [unrolled: 1-line block ×5, first 2 shown]
	v_alignbit_b32 v12, v6, v8, v10
	v_alignbit_b32 v9, v8, v7, v10
	;; [unrolled: 1-line block ×3, first 2 shown]
	v_cndmask_b32_e32 v0, v12, v6, vcc_lo
	v_cndmask_b32_e32 v5, v9, v8, vcc_lo
	v_cndmask_b32_e32 v7, v10, v7, vcc_lo
	v_bfe_u32 v6, v0, 29, 1
	v_alignbit_b32 v8, v0, v5, 30
	v_alignbit_b32 v5, v5, v7, 30
	;; [unrolled: 1-line block ×3, first 2 shown]
	v_sub_nc_u32_e32 v9, 0, v6
	v_xor_b32_e32 v8, v8, v9
	v_xor_b32_e32 v5, v5, v9
	;; [unrolled: 1-line block ×3, first 2 shown]
	v_lshrrev_b32_e32 v9, 29, v0
	v_ffbh_u32_e32 v10, v8
	v_min_u32_e32 v10, 32, v10
	v_sub_nc_u32_e32 v7, 31, v10
	v_lshlrev_b32_e32 v11, 23, v10
	v_alignbit_b32 v8, v8, v5, v7
	v_alignbit_b32 v2, v5, v2, v7
	v_lshlrev_b32_e32 v5, 31, v9
	v_alignbit_b32 v7, v8, v2, 9
	v_or_b32_e32 v9, 0.5, v5
	v_lshrrev_b32_e32 v8, 9, v8
	v_or_b32_e32 v5, 0x33000000, v5
	v_ffbh_u32_e32 v12, v7
	v_sub_nc_u32_e32 v9, v9, v11
	v_min_u32_e32 v11, 32, v12
	v_or_b32_e32 v8, v8, v9
	v_not_b32_e32 v9, v11
	v_mul_f32_e32 v12, 0x3fc90fda, v8
	v_add_lshl_u32 v10, v11, v10, 23
	v_alignbit_b32 v2, v7, v2, v9
	v_fma_f32 v7, 0x3fc90fda, v8, -v12
	v_sub_nc_u32_e32 v5, v5, v10
	v_lshrrev_b32_e32 v2, 9, v2
	v_fmamk_f32 v7, v8, 0x33a22168, v7
	v_or_b32_e32 v2, v5, v2
	v_fmac_f32_e32 v7, 0x3fc90fda, v2
	v_lshrrev_b32_e32 v2, 30, v0
	v_add_f32_e32 v0, v12, v7
	v_add_nc_u32_e32 v2, v6, v2
	s_andn2_saveexec_b32 s4, s11
	s_branch .LBB81_54
.LBB81_52:
	s_or_b32 exec_lo, exec_lo, s9
                                        ; implicit-def: $vgpr4
                                        ; implicit-def: $vgpr2
	s_andn2_saveexec_b32 s4, s8
	s_cbranch_execnz .LBB81_61
	s_branch .LBB81_66
.LBB81_53:
	s_andn2_saveexec_b32 s4, s11
.LBB81_54:
	v_mul_f32_e64 v0, 0x3f22f983, |v1|
	v_rndne_f32_e32 v2, v0
	v_fma_f32 v0, 0xbfc90fda, v2, |v1|
	v_fmamk_f32 v0, v2, 0xb3a22168, v0
	v_fmamk_f32 v0, v2, 0xa7c234c4, v0
	v_cvt_i32_f32_e32 v2, v2
; %bb.55:
	s_or_b32 exec_lo, exec_lo, s4
                                        ; implicit-def: $vgpr6
                                        ; implicit-def: $vgpr5
	s_and_saveexec_b32 s4, s10
	s_xor_b32 s10, exec_lo, s4
	s_cbranch_execz .LBB81_57
; %bb.56:
	s_mov_b32 s4, 0x7fffff
	v_mov_b32_e32 v7, 0
	v_and_or_b32 v14, v3, s4, 0x800000
	v_lshrrev_b32_e32 v12, 23, v3
	v_mad_u64_u32 v[5:6], null, 0xfe5163ab, v14, 0
	v_add_nc_u32_e32 v13, 0xffffff88, v12
	v_cmp_lt_u32_e32 vcc_lo, 63, v13
	v_mad_u64_u32 v[8:9], null, 0x3c439041, v14, v[6:7]
	v_cndmask_b32_e64 v15, 0, 0xffffffc0, vcc_lo
	v_mov_b32_e32 v6, v9
	v_add_nc_u32_e32 v15, v15, v13
	v_mad_u64_u32 v[9:10], null, 0xdb629599, v14, v[6:7]
	v_cmp_lt_u32_e64 s4, 31, v15
	v_cndmask_b32_e64 v16, 0, 0xffffffe0, s4
	v_mov_b32_e32 v6, v10
	v_cndmask_b32_e32 v5, v9, v5, vcc_lo
	v_mad_u64_u32 v[10:11], null, 0xf534ddc0, v14, v[6:7]
	v_mov_b32_e32 v6, v11
	v_cndmask_b32_e32 v8, v10, v8, vcc_lo
	v_mad_u64_u32 v[11:12], null, 0xfc2757d1, v14, v[6:7]
	v_cndmask_b32_e64 v5, v8, v5, s4
	v_mov_b32_e32 v6, v12
	v_mad_u64_u32 v[12:13], null, 0x4e441529, v14, v[6:7]
	v_mov_b32_e32 v6, v13
	v_add_nc_u32_e32 v13, v16, v15
	v_cndmask_b32_e32 v15, v12, v10, vcc_lo
	v_mad_u64_u32 v[6:7], null, 0xa2f9836e, v14, v[6:7]
	v_cmp_lt_u32_e64 s5, 31, v13
	v_cndmask_b32_e64 v14, 0, 0xffffffe0, s5
	v_cndmask_b32_e32 v6, v6, v11, vcc_lo
	v_cndmask_b32_e32 v7, v7, v12, vcc_lo
	;; [unrolled: 1-line block ×3, first 2 shown]
	v_add_nc_u32_e32 v12, v14, v13
	v_cndmask_b32_e64 v10, v6, v15, s4
	v_cndmask_b32_e64 v6, v7, v6, s4
	;; [unrolled: 1-line block ×4, first 2 shown]
	v_sub_nc_u32_e32 v13, 32, v12
	v_cmp_eq_u32_e32 vcc_lo, 0, v12
	v_cndmask_b32_e64 v6, v6, v10, s5
	v_cndmask_b32_e64 v10, v10, v7, s5
	;; [unrolled: 1-line block ×4, first 2 shown]
	v_alignbit_b32 v14, v6, v10, v13
	v_alignbit_b32 v9, v10, v7, v13
	;; [unrolled: 1-line block ×3, first 2 shown]
	v_cndmask_b32_e32 v6, v14, v6, vcc_lo
	v_cndmask_b32_e32 v8, v9, v10, vcc_lo
	;; [unrolled: 1-line block ×3, first 2 shown]
	v_bfe_u32 v9, v6, 29, 1
	v_alignbit_b32 v10, v6, v8, 30
	v_alignbit_b32 v8, v8, v7, 30
	;; [unrolled: 1-line block ×3, first 2 shown]
	v_sub_nc_u32_e32 v11, 0, v9
	v_xor_b32_e32 v10, v10, v11
	v_xor_b32_e32 v7, v8, v11
	v_xor_b32_e32 v5, v5, v11
	v_lshrrev_b32_e32 v11, 29, v6
	v_lshrrev_b32_e32 v6, 30, v6
	v_ffbh_u32_e32 v12, v10
	v_add_nc_u32_e32 v6, v9, v6
	v_min_u32_e32 v12, 32, v12
	v_sub_nc_u32_e32 v8, 31, v12
	v_lshlrev_b32_e32 v13, 23, v12
	v_alignbit_b32 v10, v10, v7, v8
	v_alignbit_b32 v5, v7, v5, v8
	v_lshlrev_b32_e32 v7, 31, v11
	v_alignbit_b32 v8, v10, v5, 9
	v_or_b32_e32 v11, 0.5, v7
	v_lshrrev_b32_e32 v10, 9, v10
	v_or_b32_e32 v7, 0x33000000, v7
	v_ffbh_u32_e32 v14, v8
	v_sub_nc_u32_e32 v11, v11, v13
	v_min_u32_e32 v13, 32, v14
	v_or_b32_e32 v10, v10, v11
	v_not_b32_e32 v11, v13
	v_mul_f32_e32 v14, 0x3fc90fda, v10
	v_add_lshl_u32 v12, v13, v12, 23
	v_alignbit_b32 v5, v8, v5, v11
	v_fma_f32 v8, 0x3fc90fda, v10, -v14
	v_sub_nc_u32_e32 v7, v7, v12
	v_lshrrev_b32_e32 v5, 9, v5
	v_fmamk_f32 v8, v10, 0x33a22168, v8
	v_or_b32_e32 v5, v7, v5
	v_fmac_f32_e32 v8, 0x3fc90fda, v5
	v_add_f32_e32 v5, v14, v8
	s_andn2_saveexec_b32 s4, s10
	s_cbranch_execnz .LBB81_58
	s_branch .LBB81_59
.LBB81_57:
	s_andn2_saveexec_b32 s4, s10
.LBB81_58:
	v_mul_f32_e64 v5, 0x3f22f983, |v1|
	v_rndne_f32_e32 v6, v5
	v_fma_f32 v5, 0xbfc90fda, v6, |v1|
	v_fmamk_f32 v5, v6, 0xb3a22168, v5
	v_fmamk_f32 v5, v6, 0xa7c234c4, v5
	v_cvt_i32_f32_e32 v6, v6
.LBB81_59:
	s_or_b32 exec_lo, exec_lo, s4
	v_add_f32_e32 v4, 0xc322e3bc, v4
	v_mul_f32_e32 v10, v0, v0
	s_mov_b32 s4, 0x37d75334
	s_mov_b32 s5, 0xb94c1982
	v_mul_f32_e32 v11, v5, v5
	v_mul_f32_e32 v7, 0x3fb8aa3b, v4
	v_cmp_ngt_f32_e32 vcc_lo, 0xc2ce8ed0, v4
	v_fmaak_f32 v12, s4, v10, 0xbab64f3b
	v_fmaak_f32 v13, s5, v10, 0x3c0881c4
	;; [unrolled: 1-line block ×3, first 2 shown]
	v_fma_f32 v8, 0x3fb8aa3b, v4, -v7
	v_rndne_f32_e32 v9, v7
	v_fmaak_f32 v14, v11, v14, 0xbe2aaa9d
	v_fmamk_f32 v8, v4, 0x32a5705f, v8
	v_sub_f32_e32 v7, v7, v9
	v_cvt_i32_f32_e32 v9, v9
	v_mul_f32_e32 v14, v11, v14
	v_add_f32_e32 v7, v7, v8
	v_lshlrev_b32_e32 v8, 30, v2
	v_and_b32_e32 v2, 1, v2
	v_fmac_f32_e32 v5, v5, v14
	v_exp_f32_e32 v7, v7
	v_and_b32_e32 v8, 0x80000000, v8
	v_ldexp_f32 v7, v7, v9
	v_and_b32_e32 v9, 1, v6
	v_lshlrev_b32_e32 v6, 30, v6
	v_cndmask_b32_e32 v7, 0, v7, vcc_lo
	v_cmp_nlt_f32_e32 vcc_lo, 0x42b17218, v4
	v_and_or_b32 v3, 0x80000000, v6, v3
	v_fmaak_f32 v6, v10, v12, 0x3d2aabf7
	v_fmaak_f32 v12, v10, v13, 0xbe2aaa9d
	v_cndmask_b32_e32 v4, 0x7f800000, v7, vcc_lo
	v_fmaak_f32 v7, s4, v11, 0xbab64f3b
	v_fmaak_f32 v6, v10, v6, 0xbf000004
	v_mul_f32_e32 v12, v10, v12
	v_cmp_eq_u32_e32 vcc_lo, 0, v2
	v_lshrrev_b32_e32 v13, 23, v4
	v_fmaak_f32 v7, v11, v7, 0x3d2aabf7
	v_fma_f32 v6, v10, v6, 1.0
	v_fmac_f32_e32 v0, v0, v12
	s_mov_b32 s4, 0x7fffff
	v_subrev_nc_u32_e32 v13, 19, v13
	v_fmaak_f32 v7, v11, v7, 0xbf000004
	v_cndmask_b32_e64 v0, -v0, v6, vcc_lo
	v_cmp_eq_u32_e32 vcc_lo, 0, v9
	v_lshrrev_b16 v10, 15, v13
	v_fma_f32 v7, v11, v7, 1.0
	v_xor_b32_e32 v0, v8, v0
	v_add_nc_u16 v2, v13, v10
	v_cndmask_b32_e32 v5, v7, v5, vcc_lo
	v_cmp_class_f32_e64 vcc_lo, v1, 0x1f8
	v_ashrrev_i16 v2, 1, v2
	v_xor3_b32 v3, v3, v5, v1
	v_cndmask_b32_e32 v0, 0x7fc00000, v0, vcc_lo
	v_and_or_b32 v1, v4, s4, 0x7f000000
	v_bfe_i32 v2, v2, 0, 16
	v_cndmask_b32_e32 v3, 0x7fc00000, v3, vcc_lo
	v_mul_f32_e32 v0, v0, v1
	v_lshl_add_u32 v4, v2, 23, 1.0
	v_sub_nc_u32_e32 v2, v13, v2
	v_mul_f32_e32 v1, v3, v1
	v_mul_f32_e32 v0, v0, v4
	v_lshl_add_u32 v2, v2, 23, 1.0
	v_mul_f32_e32 v1, v1, v4
	v_mul_f32_e32 v0, v0, v2
	;; [unrolled: 1-line block ×3, first 2 shown]
	s_or_b32 exec_lo, exec_lo, s9
                                        ; implicit-def: $vgpr4
                                        ; implicit-def: $vgpr2
.LBB81_60:
	s_andn2_saveexec_b32 s4, s8
	s_cbranch_execz .LBB81_66
.LBB81_61:
	v_sub_f32_e32 v1, v1, v1
	s_mov_b32 s5, exec_lo
	v_cmpx_ne_u32_e32 0x7f800000, v2
	s_xor_b32 s5, exec_lo, s5
; %bb.62:
                                        ; implicit-def: $vgpr4
; %bb.63:
	s_or_saveexec_b32 s5, s5
	v_mov_b32_e32 v0, v1
	s_xor_b32 exec_lo, exec_lo, s5
; %bb.64:
	v_cmp_lt_i32_e32 vcc_lo, -1, v4
	v_cndmask_b32_e32 v0, 0, v4, vcc_lo
	v_cndmask_b32_e32 v1, 0, v1, vcc_lo
; %bb.65:
	s_or_b32 exec_lo, exec_lo, s5
.LBB81_66:
	s_or_b32 exec_lo, exec_lo, s4
                                        ; implicit-def: $vgpr3
.LBB81_67:
	s_andn2_saveexec_b32 s7, s7
	s_cbranch_execz .LBB81_77
; %bb.68:
	v_cmp_ngt_f32_e64 s8, 0x48000000, |v1|
	v_lshrrev_b32_e32 v4, 23, v3
                                        ; implicit-def: $vgpr2
                                        ; implicit-def: $vgpr0
	s_and_saveexec_b32 s4, s8
	s_xor_b32 s9, exec_lo, s4
	s_cbranch_execz .LBB81_70
; %bb.69:
	s_mov_b32 s4, 0x7fffff
	v_mov_b32_e32 v7, 0
	v_and_or_b32 v0, v3, s4, 0x800000
	v_add_nc_u32_e32 v2, 0xffffff88, v4
	v_mad_u64_u32 v[5:6], null, 0xfe5163ab, v0, 0
	v_cmp_lt_u32_e32 vcc_lo, 63, v2
	v_cndmask_b32_e64 v13, 0, 0xffffffc0, vcc_lo
	v_mad_u64_u32 v[8:9], null, 0x3c439041, v0, v[6:7]
	v_add_nc_u32_e32 v2, v13, v2
	v_mov_b32_e32 v6, v9
	v_cmp_lt_u32_e64 s4, 31, v2
	v_mad_u64_u32 v[9:10], null, 0xdb629599, v0, v[6:7]
	v_cndmask_b32_e64 v14, 0, 0xffffffe0, s4
	v_add_nc_u32_e32 v2, v14, v2
	v_mov_b32_e32 v6, v10
	v_cndmask_b32_e32 v5, v9, v5, vcc_lo
	v_cmp_lt_u32_e64 s5, 31, v2
	v_mad_u64_u32 v[10:11], null, 0xf534ddc0, v0, v[6:7]
	v_mov_b32_e32 v6, v11
	v_mad_u64_u32 v[11:12], null, 0xfc2757d1, v0, v[6:7]
	v_mov_b32_e32 v6, v12
	v_mad_u64_u32 v[12:13], null, 0x4e441529, v0, v[6:7]
	v_mov_b32_e32 v6, v13
	v_cndmask_b32_e32 v13, v12, v10, vcc_lo
	v_mad_u64_u32 v[6:7], null, 0xa2f9836e, v0, v[6:7]
	v_cndmask_b32_e64 v0, 0, 0xffffffe0, s5
	v_add_nc_u32_e32 v0, v0, v2
	v_cndmask_b32_e32 v6, v6, v11, vcc_lo
	v_cndmask_b32_e32 v7, v7, v12, vcc_lo
	;; [unrolled: 1-line block ×4, first 2 shown]
	v_sub_nc_u32_e32 v10, 32, v0
	v_cndmask_b32_e64 v8, v6, v13, s4
	v_cndmask_b32_e64 v6, v7, v6, s4
	;; [unrolled: 1-line block ×4, first 2 shown]
	v_cmp_eq_u32_e32 vcc_lo, 0, v0
	v_cndmask_b32_e64 v2, v2, v5, s4
	v_cndmask_b32_e64 v6, v6, v8, s5
	;; [unrolled: 1-line block ×5, first 2 shown]
	v_alignbit_b32 v12, v6, v8, v10
	v_alignbit_b32 v9, v8, v7, v10
	;; [unrolled: 1-line block ×3, first 2 shown]
	v_cndmask_b32_e32 v0, v12, v6, vcc_lo
	v_cndmask_b32_e32 v5, v9, v8, vcc_lo
	;; [unrolled: 1-line block ×3, first 2 shown]
	v_bfe_u32 v6, v0, 29, 1
	v_alignbit_b32 v8, v0, v5, 30
	v_alignbit_b32 v5, v5, v7, 30
	;; [unrolled: 1-line block ×3, first 2 shown]
	v_sub_nc_u32_e32 v9, 0, v6
	v_xor_b32_e32 v8, v8, v9
	v_xor_b32_e32 v5, v5, v9
	;; [unrolled: 1-line block ×3, first 2 shown]
	v_lshrrev_b32_e32 v9, 29, v0
	v_ffbh_u32_e32 v10, v8
	v_min_u32_e32 v10, 32, v10
	v_sub_nc_u32_e32 v7, 31, v10
	v_lshlrev_b32_e32 v11, 23, v10
	v_alignbit_b32 v8, v8, v5, v7
	v_alignbit_b32 v2, v5, v2, v7
	v_lshlrev_b32_e32 v5, 31, v9
	v_alignbit_b32 v7, v8, v2, 9
	v_or_b32_e32 v9, 0.5, v5
	v_lshrrev_b32_e32 v8, 9, v8
	v_or_b32_e32 v5, 0x33000000, v5
	v_ffbh_u32_e32 v12, v7
	v_sub_nc_u32_e32 v9, v9, v11
	v_min_u32_e32 v11, 32, v12
	v_or_b32_e32 v8, v8, v9
	v_not_b32_e32 v9, v11
	v_mul_f32_e32 v12, 0x3fc90fda, v8
	v_add_lshl_u32 v10, v11, v10, 23
	v_alignbit_b32 v2, v7, v2, v9
	v_fma_f32 v7, 0x3fc90fda, v8, -v12
	v_sub_nc_u32_e32 v5, v5, v10
	v_lshrrev_b32_e32 v2, 9, v2
	v_fmamk_f32 v7, v8, 0x33a22168, v7
	v_or_b32_e32 v2, v5, v2
	v_fmac_f32_e32 v7, 0x3fc90fda, v2
	v_lshrrev_b32_e32 v2, 30, v0
	v_add_f32_e32 v0, v12, v7
	v_add_nc_u32_e32 v2, v6, v2
	s_or_saveexec_b32 s4, s9
	v_mul_f32_e64 v7, 0x3f22f983, |v1|
	s_xor_b32 exec_lo, exec_lo, s4
	s_branch .LBB81_71
.LBB81_70:
	s_or_saveexec_b32 s4, s9
	v_mul_f32_e64 v7, 0x3f22f983, |v1|
	s_xor_b32 exec_lo, exec_lo, s4
.LBB81_71:
	v_rndne_f32_e32 v2, v7
	v_fma_f32 v0, 0xbfc90fda, v2, |v1|
	v_fmamk_f32 v0, v2, 0xb3a22168, v0
	v_fmamk_f32 v0, v2, 0xa7c234c4, v0
	v_cvt_i32_f32_e32 v2, v2
; %bb.72:
	s_or_b32 exec_lo, exec_lo, s4
                                        ; implicit-def: $vgpr6
                                        ; implicit-def: $vgpr5
	s_and_saveexec_b32 s4, s8
	s_xor_b32 s8, exec_lo, s4
	s_cbranch_execz .LBB81_74
; %bb.73:
	s_mov_b32 s4, 0x7fffff
	v_mov_b32_e32 v7, 0
	v_and_or_b32 v14, v3, s4, 0x800000
	v_add_nc_u32_e32 v4, 0xffffff88, v4
	v_mad_u64_u32 v[5:6], null, 0xfe5163ab, v14, 0
	v_cmp_lt_u32_e32 vcc_lo, 63, v4
	v_cndmask_b32_e64 v13, 0, 0xffffffc0, vcc_lo
	v_mad_u64_u32 v[8:9], null, 0x3c439041, v14, v[6:7]
	v_add_nc_u32_e32 v4, v13, v4
	v_mov_b32_e32 v6, v9
	v_cmp_lt_u32_e64 s4, 31, v4
	v_mad_u64_u32 v[9:10], null, 0xdb629599, v14, v[6:7]
	v_cndmask_b32_e64 v15, 0, 0xffffffe0, s4
	v_add_nc_u32_e32 v4, v15, v4
	v_mov_b32_e32 v6, v10
	v_cndmask_b32_e32 v5, v9, v5, vcc_lo
	v_cmp_lt_u32_e64 s5, 31, v4
	v_mad_u64_u32 v[10:11], null, 0xf534ddc0, v14, v[6:7]
	v_mov_b32_e32 v6, v11
	v_cndmask_b32_e32 v8, v10, v8, vcc_lo
	v_mad_u64_u32 v[11:12], null, 0xfc2757d1, v14, v[6:7]
	v_cndmask_b32_e64 v5, v8, v5, s4
	v_mov_b32_e32 v6, v12
	v_mad_u64_u32 v[12:13], null, 0x4e441529, v14, v[6:7]
	v_mov_b32_e32 v6, v13
	v_cndmask_b32_e64 v13, 0, 0xffffffe0, s5
	v_mad_u64_u32 v[6:7], null, 0xa2f9836e, v14, v[6:7]
	v_cndmask_b32_e32 v14, v12, v10, vcc_lo
	v_add_nc_u32_e32 v4, v13, v4
	v_cndmask_b32_e32 v6, v6, v11, vcc_lo
	v_cndmask_b32_e32 v7, v7, v12, vcc_lo
	;; [unrolled: 1-line block ×3, first 2 shown]
	v_sub_nc_u32_e32 v12, 32, v4
	v_cmp_eq_u32_e32 vcc_lo, 0, v4
	v_cndmask_b32_e64 v10, v6, v14, s4
	v_cndmask_b32_e64 v6, v7, v6, s4
	;; [unrolled: 1-line block ×8, first 2 shown]
	v_alignbit_b32 v13, v6, v10, v12
	v_alignbit_b32 v9, v10, v7, v12
	;; [unrolled: 1-line block ×3, first 2 shown]
	v_cndmask_b32_e32 v4, v13, v6, vcc_lo
	v_cndmask_b32_e32 v6, v9, v10, vcc_lo
	;; [unrolled: 1-line block ×3, first 2 shown]
	v_bfe_u32 v8, v4, 29, 1
	v_alignbit_b32 v9, v4, v6, 30
	v_alignbit_b32 v6, v6, v7, 30
	;; [unrolled: 1-line block ×3, first 2 shown]
	v_sub_nc_u32_e32 v10, 0, v8
	v_xor_b32_e32 v9, v9, v10
	v_xor_b32_e32 v6, v6, v10
	;; [unrolled: 1-line block ×3, first 2 shown]
	v_lshrrev_b32_e32 v10, 29, v4
	v_lshrrev_b32_e32 v4, 30, v4
	v_ffbh_u32_e32 v11, v9
	v_min_u32_e32 v11, 32, v11
	v_sub_nc_u32_e32 v7, 31, v11
	v_lshlrev_b32_e32 v12, 23, v11
	v_alignbit_b32 v9, v9, v6, v7
	v_alignbit_b32 v5, v6, v5, v7
	v_lshlrev_b32_e32 v6, 31, v10
	v_alignbit_b32 v7, v9, v5, 9
	v_or_b32_e32 v10, 0.5, v6
	v_lshrrev_b32_e32 v9, 9, v9
	v_or_b32_e32 v6, 0x33000000, v6
	v_ffbh_u32_e32 v13, v7
	v_sub_nc_u32_e32 v10, v10, v12
	v_min_u32_e32 v12, 32, v13
	v_or_b32_e32 v9, v9, v10
	v_not_b32_e32 v10, v12
	v_mul_f32_e32 v13, 0x3fc90fda, v9
	v_add_lshl_u32 v11, v12, v11, 23
	v_alignbit_b32 v5, v7, v5, v10
	v_fma_f32 v7, 0x3fc90fda, v9, -v13
	v_sub_nc_u32_e32 v6, v6, v11
	v_lshrrev_b32_e32 v5, 9, v5
	v_fmamk_f32 v7, v9, 0x33a22168, v7
	v_or_b32_e32 v5, v6, v5
	v_add_nc_u32_e32 v6, v8, v4
	v_fmac_f32_e32 v7, 0x3fc90fda, v5
	v_add_f32_e32 v5, v13, v7
                                        ; implicit-def: $vgpr7
	s_andn2_saveexec_b32 s4, s8
	s_cbranch_execnz .LBB81_75
	s_branch .LBB81_76
.LBB81_74:
	s_andn2_saveexec_b32 s4, s8
.LBB81_75:
	v_rndne_f32_e32 v4, v7
	v_fma_f32 v5, 0xbfc90fda, v4, |v1|
	v_cvt_i32_f32_e32 v6, v4
	v_fmamk_f32 v5, v4, 0xb3a22168, v5
	v_fmamk_f32 v5, v4, 0xa7c234c4, v5
.LBB81_76:
	s_or_b32 exec_lo, exec_lo, s4
	v_mul_f32_e32 v4, v0, v0
	s_mov_b32 s4, 0xb94c1982
	s_mov_b32 s5, 0x37d75334
	v_mul_f32_e32 v7, v5, v5
	v_and_b32_e32 v10, 1, v2
	v_fmaak_f32 v8, s4, v4, 0x3c0881c4
	v_fmaak_f32 v9, s5, v4, 0xbab64f3b
	v_and_b32_e32 v13, 1, v6
	v_fmaak_f32 v11, s4, v7, 0x3c0881c4
	v_fmaak_f32 v12, s5, v7, 0xbab64f3b
	;; [unrolled: 1-line block ×4, first 2 shown]
	v_cmp_eq_u32_e32 vcc_lo, 0, v10
	v_fmaak_f32 v11, v7, v11, 0xbe2aaa9d
	v_fmaak_f32 v12, v7, v12, 0x3d2aabf7
	v_mul_f32_e32 v8, v4, v8
	v_fmaak_f32 v9, v4, v9, 0xbf000004
	v_lshlrev_b32_e32 v2, 30, v2
	v_mul_f32_e32 v11, v7, v11
	v_fmaak_f32 v12, v7, v12, 0xbf000004
	v_fmac_f32_e32 v0, v0, v8
	v_fma_f32 v4, v4, v9, 1.0
	v_lshlrev_b32_e32 v6, 30, v6
	v_fmac_f32_e32 v5, v5, v11
	v_fma_f32 v7, v7, v12, 1.0
	v_and_b32_e32 v2, 0x80000000, v2
	v_cndmask_b32_e64 v0, -v0, v4, vcc_lo
	v_cmp_eq_u32_e32 vcc_lo, 0, v13
	v_and_or_b32 v3, 0x80000000, v6, v3
	v_xor_b32_e32 v0, v2, v0
	v_cndmask_b32_e32 v4, v7, v5, vcc_lo
	v_cmp_class_f32_e64 vcc_lo, v1, 0x1f8
	v_xor3_b32 v2, v3, v4, v1
	v_cndmask_b32_e32 v0, 0x7fc00000, v0, vcc_lo
	v_cndmask_b32_e32 v1, 0x7fc00000, v2, vcc_lo
.LBB81_77:
	s_or_b32 exec_lo, exec_lo, s7
                                        ; implicit-def: $vgpr4
	s_andn2_saveexec_b32 s4, s6
	s_cbranch_execnz .LBB81_41
.LBB81_78:
	s_or_b32 exec_lo, exec_lo, s4
	s_setpc_b64 s[30:31]
.Lfunc_end81:
	.size	_ZNK2at6native12_GLOBAL__N_113power_functorIN3c107complexIfEEEclERKS5_S8_, .Lfunc_end81-_ZNK2at6native12_GLOBAL__N_113power_functorIN3c107complexIfEEEclERKS5_S8_
                                        ; -- End function
	.set .L_ZNK2at6native12_GLOBAL__N_113power_functorIN3c107complexIfEEEclERKS5_S8_.num_vgpr, 23
	.set .L_ZNK2at6native12_GLOBAL__N_113power_functorIN3c107complexIfEEEclERKS5_S8_.num_agpr, 0
	.set .L_ZNK2at6native12_GLOBAL__N_113power_functorIN3c107complexIfEEEclERKS5_S8_.numbered_sgpr, 32
	.set .L_ZNK2at6native12_GLOBAL__N_113power_functorIN3c107complexIfEEEclERKS5_S8_.num_named_barrier, 0
	.set .L_ZNK2at6native12_GLOBAL__N_113power_functorIN3c107complexIfEEEclERKS5_S8_.private_seg_size, 0
	.set .L_ZNK2at6native12_GLOBAL__N_113power_functorIN3c107complexIfEEEclERKS5_S8_.uses_vcc, 1
	.set .L_ZNK2at6native12_GLOBAL__N_113power_functorIN3c107complexIfEEEclERKS5_S8_.uses_flat_scratch, 0
	.set .L_ZNK2at6native12_GLOBAL__N_113power_functorIN3c107complexIfEEEclERKS5_S8_.has_dyn_sized_stack, 0
	.set .L_ZNK2at6native12_GLOBAL__N_113power_functorIN3c107complexIfEEEclERKS5_S8_.has_recursion, 0
	.set .L_ZNK2at6native12_GLOBAL__N_113power_functorIN3c107complexIfEEEclERKS5_S8_.has_indirect_call, 0
	.section	.AMDGPU.csdata,"",@progbits
; Function info:
; codeLenInByte = 10100
; TotalNumSgprs: 34
; NumVgprs: 23
; ScratchSize: 0
; MemoryBound: 0
	.section	.text._ZN2at6native12_GLOBAL__N_125multi_tensor_apply_kernelINS1_28TensorListScalarListMetadataIN3c107complexIfEELi1EEENS1_25BinaryOpScalarListFunctorIS6_Li1ELi1ELi0EEEJNS1_13power_functorIS6_EEEEEvT_T0_DpT1_,"axG",@progbits,_ZN2at6native12_GLOBAL__N_125multi_tensor_apply_kernelINS1_28TensorListScalarListMetadataIN3c107complexIfEELi1EEENS1_25BinaryOpScalarListFunctorIS6_Li1ELi1ELi0EEEJNS1_13power_functorIS6_EEEEEvT_T0_DpT1_,comdat
	.globl	_ZN2at6native12_GLOBAL__N_125multi_tensor_apply_kernelINS1_28TensorListScalarListMetadataIN3c107complexIfEELi1EEENS1_25BinaryOpScalarListFunctorIS6_Li1ELi1ELi0EEEJNS1_13power_functorIS6_EEEEEvT_T0_DpT1_ ; -- Begin function _ZN2at6native12_GLOBAL__N_125multi_tensor_apply_kernelINS1_28TensorListScalarListMetadataIN3c107complexIfEELi1EEENS1_25BinaryOpScalarListFunctorIS6_Li1ELi1ELi0EEEJNS1_13power_functorIS6_EEEEEvT_T0_DpT1_
	.p2align	8
	.type	_ZN2at6native12_GLOBAL__N_125multi_tensor_apply_kernelINS1_28TensorListScalarListMetadataIN3c107complexIfEELi1EEENS1_25BinaryOpScalarListFunctorIS6_Li1ELi1ELi0EEEJNS1_13power_functorIS6_EEEEEvT_T0_DpT1_,@function
_ZN2at6native12_GLOBAL__N_125multi_tensor_apply_kernelINS1_28TensorListScalarListMetadataIN3c107complexIfEELi1EEENS1_25BinaryOpScalarListFunctorIS6_Li1ELi1ELi0EEEJNS1_13power_functorIS6_EEEEEvT_T0_DpT1_: ; @_ZN2at6native12_GLOBAL__N_125multi_tensor_apply_kernelINS1_28TensorListScalarListMetadataIN3c107complexIfEELi1EEENS1_25BinaryOpScalarListFunctorIS6_Li1ELi1ELi0EEEJNS1_13power_functorIS6_EEEEEvT_T0_DpT1_
; %bb.0:
	s_add_u32 s6, s6, s9
	s_movk_i32 s32, 0x200
	s_addc_u32 s7, s7, 0
	s_setreg_b32 hwreg(HW_REG_FLAT_SCR_LO), s6
	s_setreg_b32 hwreg(HW_REG_FLAT_SCR_HI), s7
	s_add_u32 s0, s0, s9
	s_mov_b64 s[20:21], s[4:5]
	v_mov_b32_e32 v23, v0
	v_mov_b32_e32 v0, 0x800
	s_addc_u32 s1, s1, 0
	s_add_u32 s4, s20, s8
	s_addc_u32 s5, s21, 0
	s_mov_b32 s9, 0
	global_load_ubyte v0, v0, s[4:5] offset:256
	s_lshl_b64 s[4:5], s[8:9], 2
	s_add_u32 s4, s20, s4
	s_addc_u32 s5, s21, s5
	s_waitcnt vmcnt(0)
	v_lshlrev_b32_e32 v0, 3, v0
	v_readfirstlane_b32 s6, v0
	s_clause 0x3
	s_load_dword s4, s[4:5], 0xa40
	s_load_dwordx2 s[26:27], s[20:21], s6 offset:0x600
	s_load_dwordx2 s[28:29], s[20:21], s6 offset:0x0
	;; [unrolled: 1-line block ×3, first 2 shown]
	s_waitcnt lgkmcnt(0)
	s_ashr_i32 s5, s4, 31
	s_lshl_b64 s[34:35], s[4:5], 19
	s_add_u32 s33, s28, s34
	s_addc_u32 s48, s29, s35
	s_lshl_b64 s[4:5], s[4:5], 16
	s_and_b32 s8, s33, 31
	s_sub_u32 s36, s6, s4
	s_subb_u32 s37, s7, s5
	s_and_b32 s4, s6, 3
	s_mov_b32 s5, s9
	s_or_b64 s[4:5], s[8:9], s[4:5]
	s_cmp_eq_u64 s[4:5], 0
	s_cbranch_scc1 .LBB82_19
; %bb.1:
	v_cmp_lt_i64_e64 s4, s[36:37], 1
	s_and_b32 vcc_lo, exec_lo, s4
	s_cbranch_vccnz .LBB82_18
; %bb.2:
	s_load_dword s4, s[20:21], 0xf54
	v_cmp_gt_i64_e64 s5, 0x10000, s[36:37]
	v_cmp_gt_u64_e64 s6, 0x10000, s[36:37]
	s_mov_b64 s[38:39], src_private_base
	v_mov_b32_e32 v38, 0
	s_mov_b64 s[44:45], 0
	s_and_b32 s5, s5, exec_lo
	s_cselect_b32 s41, s37, 0
	s_cselect_b32 s40, s36, 0x10000
	s_waitcnt lgkmcnt(0)
	s_and_b32 s38, s4, 0xffff
	s_and_b32 s4, s6, exec_lo
	s_cselect_b32 s43, s37, 0
	s_cselect_b32 s42, s36, 0x10000
	s_lshl_b32 s49, s38, 1
	s_mul_i32 s50, s38, 3
	s_lshl_b32 s51, s38, 2
	s_branch .LBB82_4
.LBB82_3:                               ;   in Loop: Header=BB82_4 Depth=1
	s_or_b32 exec_lo, exec_lo, s4
	s_add_u32 s44, s44, s51
	s_addc_u32 s45, s45, 0
	v_cmp_lt_i64_e64 s4, s[44:45], s[40:41]
	s_and_b32 vcc_lo, exec_lo, s4
	s_cbranch_vccz .LBB82_18
.LBB82_4:                               ; =>This Inner Loop Header: Depth=1
	v_add_co_u32 v0, s4, s44, v23
	v_add_co_ci_u32_e64 v1, null, s45, 0, s4
	v_mov_b32_e32 v29, 0
	v_mov_b32_e32 v28, 0
	v_cmp_gt_u64_e64 s22, s[42:43], v[0:1]
	v_lshlrev_b64 v[32:33], 3, v[0:1]
	s_and_saveexec_b32 s4, s22
	s_cbranch_execz .LBB82_6
; %bb.5:                                ;   in Loop: Header=BB82_4 Depth=1
	v_add_co_u32 v2, vcc_lo, s33, v32
	v_add_co_ci_u32_e64 v3, null, s48, v33, vcc_lo
	global_load_dwordx2 v[28:29], v[2:3], off
.LBB82_6:                               ;   in Loop: Header=BB82_4 Depth=1
	s_or_b32 exec_lo, exec_lo, s4
	v_add_co_u32 v2, vcc_lo, v0, s38
	v_add_co_ci_u32_e64 v3, null, 0, v1, vcc_lo
	v_mov_b32_e32 v27, 0
	v_mov_b32_e32 v26, 0
	v_cmp_gt_u64_e64 s24, s[42:43], v[2:3]
	v_lshlrev_b64 v[34:35], 3, v[2:3]
	s_and_saveexec_b32 s4, s24
	s_cbranch_execz .LBB82_8
; %bb.7:                                ;   in Loop: Header=BB82_4 Depth=1
	v_add_co_u32 v2, vcc_lo, s33, v34
	v_add_co_ci_u32_e64 v3, null, s48, v35, vcc_lo
	global_load_dwordx2 v[26:27], v[2:3], off
.LBB82_8:                               ;   in Loop: Header=BB82_4 Depth=1
	s_or_b32 exec_lo, exec_lo, s4
	v_add_co_u32 v2, vcc_lo, v0, s49
	v_add_co_ci_u32_e64 v3, null, 0, v1, vcc_lo
	v_mov_b32_e32 v24, 0
	v_mov_b32_e32 v25, 0
	v_cmp_gt_u64_e64 s25, s[42:43], v[2:3]
	v_lshlrev_b64 v[30:31], 3, v[2:3]
	s_and_saveexec_b32 s4, s25
	s_cbranch_execz .LBB82_10
; %bb.9:                                ;   in Loop: Header=BB82_4 Depth=1
	v_add_co_u32 v2, vcc_lo, s33, v30
	v_add_co_ci_u32_e64 v3, null, s48, v31, vcc_lo
	global_load_dwordx2 v[24:25], v[2:3], off
.LBB82_10:                              ;   in Loop: Header=BB82_4 Depth=1
	s_or_b32 exec_lo, exec_lo, s4
	v_add_co_u32 v0, vcc_lo, v0, s50
	v_add_co_ci_u32_e64 v1, null, 0, v1, vcc_lo
	buffer_store_dword v38, off, s[0:3], 0
	buffer_store_dword v38, off, s[0:3], 0 offset:4
	s_getpc_b64 s[46:47]
	s_add_u32 s46, s46, _ZNK2at6native12_GLOBAL__N_113power_functorIN3c107complexIfEEEclERKS5_S8_@rel32@lo+4
	s_addc_u32 s47, s47, _ZNK2at6native12_GLOBAL__N_113power_functorIN3c107complexIfEEEclERKS5_S8_@rel32@hi+12
	v_lshlrev_b64 v[2:3], 3, v[0:1]
	v_cmp_gt_u64_e64 s23, s[42:43], v[0:1]
	v_add_co_u32 v36, vcc_lo, s33, v2
	v_add_co_ci_u32_e64 v37, null, s48, v3, vcc_lo
	v_mov_b32_e32 v2, s26
	v_cndmask_b32_e64 v0, 0, v36, s23
	v_mov_b32_e32 v3, s27
	v_cndmask_b32_e64 v1, s39, v37, s23
	flat_load_dwordx2 v[0:1], v[0:1]
	s_swappc_b64 s[30:31], s[46:47]
	buffer_store_dword v0, off, s[0:3], 0
	buffer_store_dword v1, off, s[0:3], 0 offset:4
	s_and_saveexec_b32 s52, s22
	s_cbranch_execnz .LBB82_14
; %bb.11:                               ;   in Loop: Header=BB82_4 Depth=1
	s_or_b32 exec_lo, exec_lo, s52
	s_and_saveexec_b32 s22, s24
	s_cbranch_execnz .LBB82_15
.LBB82_12:                              ;   in Loop: Header=BB82_4 Depth=1
	s_or_b32 exec_lo, exec_lo, s22
	s_and_saveexec_b32 s22, s25
	s_cbranch_execnz .LBB82_16
.LBB82_13:                              ;   in Loop: Header=BB82_4 Depth=1
	s_or_b32 exec_lo, exec_lo, s22
	s_and_saveexec_b32 s4, s23
	s_cbranch_execz .LBB82_3
	s_branch .LBB82_17
.LBB82_14:                              ;   in Loop: Header=BB82_4 Depth=1
	v_mov_b32_e32 v0, v28
	v_mov_b32_e32 v1, v29
	;; [unrolled: 1-line block ×4, first 2 shown]
	s_swappc_b64 s[30:31], s[46:47]
	v_add_co_u32 v2, vcc_lo, s33, v32
	v_add_co_ci_u32_e64 v3, null, s48, v33, vcc_lo
	global_store_dwordx2 v[2:3], v[0:1], off
	s_or_b32 exec_lo, exec_lo, s52
	s_and_saveexec_b32 s22, s24
	s_cbranch_execz .LBB82_12
.LBB82_15:                              ;   in Loop: Header=BB82_4 Depth=1
	v_mov_b32_e32 v0, v26
	v_mov_b32_e32 v1, v27
	;; [unrolled: 1-line block ×4, first 2 shown]
	s_getpc_b64 s[4:5]
	s_add_u32 s4, s4, _ZNK2at6native12_GLOBAL__N_113power_functorIN3c107complexIfEEEclERKS5_S8_@rel32@lo+4
	s_addc_u32 s5, s5, _ZNK2at6native12_GLOBAL__N_113power_functorIN3c107complexIfEEEclERKS5_S8_@rel32@hi+12
	s_swappc_b64 s[30:31], s[4:5]
	v_add_co_u32 v2, vcc_lo, s33, v34
	v_add_co_ci_u32_e64 v3, null, s48, v35, vcc_lo
	global_store_dwordx2 v[2:3], v[0:1], off
	s_or_b32 exec_lo, exec_lo, s22
	s_and_saveexec_b32 s22, s25
	s_cbranch_execz .LBB82_13
.LBB82_16:                              ;   in Loop: Header=BB82_4 Depth=1
	v_mov_b32_e32 v0, v24
	v_mov_b32_e32 v1, v25
	;; [unrolled: 1-line block ×4, first 2 shown]
	s_getpc_b64 s[4:5]
	s_add_u32 s4, s4, _ZNK2at6native12_GLOBAL__N_113power_functorIN3c107complexIfEEEclERKS5_S8_@rel32@lo+4
	s_addc_u32 s5, s5, _ZNK2at6native12_GLOBAL__N_113power_functorIN3c107complexIfEEEclERKS5_S8_@rel32@hi+12
	s_swappc_b64 s[30:31], s[4:5]
	v_add_co_u32 v2, vcc_lo, s33, v30
	v_add_co_ci_u32_e64 v3, null, s48, v31, vcc_lo
	global_store_dwordx2 v[2:3], v[0:1], off
	s_or_b32 exec_lo, exec_lo, s22
	s_and_saveexec_b32 s4, s23
	s_cbranch_execz .LBB82_3
.LBB82_17:                              ;   in Loop: Header=BB82_4 Depth=1
	s_clause 0x1
	buffer_load_dword v0, off, s[0:3], 0
	buffer_load_dword v1, off, s[0:3], 0 offset:4
	s_waitcnt vmcnt(0)
	global_store_dwordx2 v[36:37], v[0:1], off
	s_branch .LBB82_3
.LBB82_18:
	s_cbranch_execz .LBB82_20
	s_branch .LBB82_23
.LBB82_19:
.LBB82_20:
	v_cmp_gt_i64_e64 s4, 0x10000, s[36:37]
	v_mov_b32_e32 v1, 0
	v_lshlrev_b32_e32 v0, 2, v23
	s_mov_b32 s24, 0
	s_and_b32 s4, s4, exec_lo
	s_cselect_b32 s23, s37, 0
	s_cselect_b32 s22, s36, 0x10000
	s_mov_b32 s4, exec_lo
	v_cmpx_gt_i64_e64 s[22:23], v[0:1]
	s_cbranch_execz .LBB82_23
; %bb.21:
	s_load_dword s4, s[20:21], 0xf54
	v_lshlrev_b32_e32 v0, 5, v23
	v_mov_b32_e32 v24, v1
	s_waitcnt lgkmcnt(0)
	s_and_b32 s20, s4, 0xffff
	s_add_u32 s4, s28, s34
	s_addc_u32 s5, s29, s35
	v_add_co_u32 v33, s4, s4, v0
	v_add_co_ci_u32_e64 v34, null, s5, 0, s4
	s_lshl_b32 s21, s20, 5
.LBB82_22:                              ; =>This Inner Loop Header: Depth=1
	s_clause 0x1
	global_load_dwordx4 v[25:28], v[33:34], off
	global_load_dwordx4 v[29:32], v[33:34], off offset:16
	v_mov_b32_e32 v2, s26
	v_mov_b32_e32 v3, s27
	s_getpc_b64 s[28:29]
	s_add_u32 s28, s28, _ZNK2at6native12_GLOBAL__N_113power_functorIN3c107complexIfEEEclERKS5_S8_@rel32@lo+4
	s_addc_u32 s29, s29, _ZNK2at6native12_GLOBAL__N_113power_functorIN3c107complexIfEEEclERKS5_S8_@rel32@hi+12
	s_waitcnt vmcnt(1)
	v_mov_b32_e32 v0, v25
	v_mov_b32_e32 v1, v26
	s_swappc_b64 s[30:31], s[28:29]
	v_mov_b32_e32 v25, v0
	v_mov_b32_e32 v26, v1
	v_mov_b32_e32 v0, v27
	v_mov_b32_e32 v1, v28
	v_mov_b32_e32 v2, s26
	v_mov_b32_e32 v3, s27
	s_swappc_b64 s[30:31], s[28:29]
	v_mov_b32_e32 v27, v0
	v_mov_b32_e32 v28, v1
	v_mov_b32_e32 v0, v29
	v_mov_b32_e32 v1, v30
	;; [unrolled: 7-line block ×3, first 2 shown]
	v_mov_b32_e32 v2, s26
	v_mov_b32_e32 v3, s27
	s_swappc_b64 s[30:31], s[28:29]
	v_add_co_u32 v23, vcc_lo, v23, s20
	v_add_co_ci_u32_e64 v24, null, 0, v24, vcc_lo
	v_mov_b32_e32 v31, v0
	v_mov_b32_e32 v32, v1
	global_store_dwordx4 v[33:34], v[25:28], off
	global_store_dwordx4 v[33:34], v[29:32], off offset:16
	v_lshlrev_b64 v[0:1], 2, v[23:24]
	v_add_co_u32 v33, s4, v33, s21
	v_add_co_ci_u32_e64 v34, null, 0, v34, s4
	buffer_store_dword v31, off, s[0:3], 0
	buffer_store_dword v32, off, s[0:3], 0 offset:4
	v_cmp_le_i64_e32 vcc_lo, s[22:23], v[0:1]
	s_or_b32 s24, vcc_lo, s24
	s_andn2_b32 exec_lo, exec_lo, s24
	s_cbranch_execnz .LBB82_22
.LBB82_23:
	s_endpgm
	.section	.rodata,"a",@progbits
	.p2align	6, 0x0
	.amdhsa_kernel _ZN2at6native12_GLOBAL__N_125multi_tensor_apply_kernelINS1_28TensorListScalarListMetadataIN3c107complexIfEELi1EEENS1_25BinaryOpScalarListFunctorIS6_Li1ELi1ELi0EEEJNS1_13power_functorIS6_EEEEEvT_T0_DpT1_
		.amdhsa_group_segment_fixed_size 0
		.amdhsa_private_segment_fixed_size 16
		.amdhsa_kernarg_size 4168
		.amdhsa_user_sgpr_count 8
		.amdhsa_user_sgpr_private_segment_buffer 1
		.amdhsa_user_sgpr_dispatch_ptr 0
		.amdhsa_user_sgpr_queue_ptr 0
		.amdhsa_user_sgpr_kernarg_segment_ptr 1
		.amdhsa_user_sgpr_dispatch_id 0
		.amdhsa_user_sgpr_flat_scratch_init 1
		.amdhsa_user_sgpr_private_segment_size 0
		.amdhsa_wavefront_size32 1
		.amdhsa_uses_dynamic_stack 0
		.amdhsa_system_sgpr_private_segment_wavefront_offset 1
		.amdhsa_system_sgpr_workgroup_id_x 1
		.amdhsa_system_sgpr_workgroup_id_y 0
		.amdhsa_system_sgpr_workgroup_id_z 0
		.amdhsa_system_sgpr_workgroup_info 0
		.amdhsa_system_vgpr_workitem_id 0
		.amdhsa_next_free_vgpr 39
		.amdhsa_next_free_sgpr 53
		.amdhsa_reserve_vcc 1
		.amdhsa_reserve_flat_scratch 1
		.amdhsa_float_round_mode_32 0
		.amdhsa_float_round_mode_16_64 0
		.amdhsa_float_denorm_mode_32 3
		.amdhsa_float_denorm_mode_16_64 3
		.amdhsa_dx10_clamp 1
		.amdhsa_ieee_mode 1
		.amdhsa_fp16_overflow 0
		.amdhsa_workgroup_processor_mode 1
		.amdhsa_memory_ordered 1
		.amdhsa_forward_progress 1
		.amdhsa_shared_vgpr_count 0
		.amdhsa_exception_fp_ieee_invalid_op 0
		.amdhsa_exception_fp_denorm_src 0
		.amdhsa_exception_fp_ieee_div_zero 0
		.amdhsa_exception_fp_ieee_overflow 0
		.amdhsa_exception_fp_ieee_underflow 0
		.amdhsa_exception_fp_ieee_inexact 0
		.amdhsa_exception_int_div_zero 0
	.end_amdhsa_kernel
	.section	.text._ZN2at6native12_GLOBAL__N_125multi_tensor_apply_kernelINS1_28TensorListScalarListMetadataIN3c107complexIfEELi1EEENS1_25BinaryOpScalarListFunctorIS6_Li1ELi1ELi0EEEJNS1_13power_functorIS6_EEEEEvT_T0_DpT1_,"axG",@progbits,_ZN2at6native12_GLOBAL__N_125multi_tensor_apply_kernelINS1_28TensorListScalarListMetadataIN3c107complexIfEELi1EEENS1_25BinaryOpScalarListFunctorIS6_Li1ELi1ELi0EEEJNS1_13power_functorIS6_EEEEEvT_T0_DpT1_,comdat
.Lfunc_end82:
	.size	_ZN2at6native12_GLOBAL__N_125multi_tensor_apply_kernelINS1_28TensorListScalarListMetadataIN3c107complexIfEELi1EEENS1_25BinaryOpScalarListFunctorIS6_Li1ELi1ELi0EEEJNS1_13power_functorIS6_EEEEEvT_T0_DpT1_, .Lfunc_end82-_ZN2at6native12_GLOBAL__N_125multi_tensor_apply_kernelINS1_28TensorListScalarListMetadataIN3c107complexIfEELi1EEENS1_25BinaryOpScalarListFunctorIS6_Li1ELi1ELi0EEEJNS1_13power_functorIS6_EEEEEvT_T0_DpT1_
                                        ; -- End function
	.set _ZN2at6native12_GLOBAL__N_125multi_tensor_apply_kernelINS1_28TensorListScalarListMetadataIN3c107complexIfEELi1EEENS1_25BinaryOpScalarListFunctorIS6_Li1ELi1ELi0EEEJNS1_13power_functorIS6_EEEEEvT_T0_DpT1_.num_vgpr, max(39, .L_ZNK2at6native12_GLOBAL__N_113power_functorIN3c107complexIfEEEclERKS5_S8_.num_vgpr)
	.set _ZN2at6native12_GLOBAL__N_125multi_tensor_apply_kernelINS1_28TensorListScalarListMetadataIN3c107complexIfEELi1EEENS1_25BinaryOpScalarListFunctorIS6_Li1ELi1ELi0EEEJNS1_13power_functorIS6_EEEEEvT_T0_DpT1_.num_agpr, max(0, .L_ZNK2at6native12_GLOBAL__N_113power_functorIN3c107complexIfEEEclERKS5_S8_.num_agpr)
	.set _ZN2at6native12_GLOBAL__N_125multi_tensor_apply_kernelINS1_28TensorListScalarListMetadataIN3c107complexIfEELi1EEENS1_25BinaryOpScalarListFunctorIS6_Li1ELi1ELi0EEEJNS1_13power_functorIS6_EEEEEvT_T0_DpT1_.numbered_sgpr, max(53, .L_ZNK2at6native12_GLOBAL__N_113power_functorIN3c107complexIfEEEclERKS5_S8_.numbered_sgpr)
	.set _ZN2at6native12_GLOBAL__N_125multi_tensor_apply_kernelINS1_28TensorListScalarListMetadataIN3c107complexIfEELi1EEENS1_25BinaryOpScalarListFunctorIS6_Li1ELi1ELi0EEEJNS1_13power_functorIS6_EEEEEvT_T0_DpT1_.num_named_barrier, max(0, .L_ZNK2at6native12_GLOBAL__N_113power_functorIN3c107complexIfEEEclERKS5_S8_.num_named_barrier)
	.set _ZN2at6native12_GLOBAL__N_125multi_tensor_apply_kernelINS1_28TensorListScalarListMetadataIN3c107complexIfEELi1EEENS1_25BinaryOpScalarListFunctorIS6_Li1ELi1ELi0EEEJNS1_13power_functorIS6_EEEEEvT_T0_DpT1_.private_seg_size, 16+max(.L_ZNK2at6native12_GLOBAL__N_113power_functorIN3c107complexIfEEEclERKS5_S8_.private_seg_size)
	.set _ZN2at6native12_GLOBAL__N_125multi_tensor_apply_kernelINS1_28TensorListScalarListMetadataIN3c107complexIfEELi1EEENS1_25BinaryOpScalarListFunctorIS6_Li1ELi1ELi0EEEJNS1_13power_functorIS6_EEEEEvT_T0_DpT1_.uses_vcc, or(1, .L_ZNK2at6native12_GLOBAL__N_113power_functorIN3c107complexIfEEEclERKS5_S8_.uses_vcc)
	.set _ZN2at6native12_GLOBAL__N_125multi_tensor_apply_kernelINS1_28TensorListScalarListMetadataIN3c107complexIfEELi1EEENS1_25BinaryOpScalarListFunctorIS6_Li1ELi1ELi0EEEJNS1_13power_functorIS6_EEEEEvT_T0_DpT1_.uses_flat_scratch, or(1, .L_ZNK2at6native12_GLOBAL__N_113power_functorIN3c107complexIfEEEclERKS5_S8_.uses_flat_scratch)
	.set _ZN2at6native12_GLOBAL__N_125multi_tensor_apply_kernelINS1_28TensorListScalarListMetadataIN3c107complexIfEELi1EEENS1_25BinaryOpScalarListFunctorIS6_Li1ELi1ELi0EEEJNS1_13power_functorIS6_EEEEEvT_T0_DpT1_.has_dyn_sized_stack, or(0, .L_ZNK2at6native12_GLOBAL__N_113power_functorIN3c107complexIfEEEclERKS5_S8_.has_dyn_sized_stack)
	.set _ZN2at6native12_GLOBAL__N_125multi_tensor_apply_kernelINS1_28TensorListScalarListMetadataIN3c107complexIfEELi1EEENS1_25BinaryOpScalarListFunctorIS6_Li1ELi1ELi0EEEJNS1_13power_functorIS6_EEEEEvT_T0_DpT1_.has_recursion, or(0, .L_ZNK2at6native12_GLOBAL__N_113power_functorIN3c107complexIfEEEclERKS5_S8_.has_recursion)
	.set _ZN2at6native12_GLOBAL__N_125multi_tensor_apply_kernelINS1_28TensorListScalarListMetadataIN3c107complexIfEELi1EEENS1_25BinaryOpScalarListFunctorIS6_Li1ELi1ELi0EEEJNS1_13power_functorIS6_EEEEEvT_T0_DpT1_.has_indirect_call, or(0, .L_ZNK2at6native12_GLOBAL__N_113power_functorIN3c107complexIfEEEclERKS5_S8_.has_indirect_call)
	.section	.AMDGPU.csdata,"",@progbits
; Kernel info:
; codeLenInByte = 1352
; TotalNumSgprs: 55
; NumVgprs: 39
; ScratchSize: 16
; MemoryBound: 0
; FloatMode: 240
; IeeeMode: 1
; LDSByteSize: 0 bytes/workgroup (compile time only)
; SGPRBlocks: 0
; VGPRBlocks: 4
; NumSGPRsForWavesPerEU: 55
; NumVGPRsForWavesPerEU: 39
; Occupancy: 16
; WaveLimiterHint : 0
; COMPUTE_PGM_RSRC2:SCRATCH_EN: 1
; COMPUTE_PGM_RSRC2:USER_SGPR: 8
; COMPUTE_PGM_RSRC2:TRAP_HANDLER: 0
; COMPUTE_PGM_RSRC2:TGID_X_EN: 1
; COMPUTE_PGM_RSRC2:TGID_Y_EN: 0
; COMPUTE_PGM_RSRC2:TGID_Z_EN: 0
; COMPUTE_PGM_RSRC2:TIDIG_COMP_CNT: 0
	.section	.text._ZN2at6native12_GLOBAL__N_125multi_tensor_apply_kernelINS1_28TensorListScalarListMetadataIfLi1EEENS1_25BinaryOpScalarListFunctorIN3c104HalfELi1ELi1ELi0EEEJNS1_13power_functorIfEEEEEvT_T0_DpT1_,"axG",@progbits,_ZN2at6native12_GLOBAL__N_125multi_tensor_apply_kernelINS1_28TensorListScalarListMetadataIfLi1EEENS1_25BinaryOpScalarListFunctorIN3c104HalfELi1ELi1ELi0EEEJNS1_13power_functorIfEEEEEvT_T0_DpT1_,comdat
	.globl	_ZN2at6native12_GLOBAL__N_125multi_tensor_apply_kernelINS1_28TensorListScalarListMetadataIfLi1EEENS1_25BinaryOpScalarListFunctorIN3c104HalfELi1ELi1ELi0EEEJNS1_13power_functorIfEEEEEvT_T0_DpT1_ ; -- Begin function _ZN2at6native12_GLOBAL__N_125multi_tensor_apply_kernelINS1_28TensorListScalarListMetadataIfLi1EEENS1_25BinaryOpScalarListFunctorIN3c104HalfELi1ELi1ELi0EEEJNS1_13power_functorIfEEEEEvT_T0_DpT1_
	.p2align	8
	.type	_ZN2at6native12_GLOBAL__N_125multi_tensor_apply_kernelINS1_28TensorListScalarListMetadataIfLi1EEENS1_25BinaryOpScalarListFunctorIN3c104HalfELi1ELi1ELi0EEEJNS1_13power_functorIfEEEEEvT_T0_DpT1_,@function
_ZN2at6native12_GLOBAL__N_125multi_tensor_apply_kernelINS1_28TensorListScalarListMetadataIfLi1EEENS1_25BinaryOpScalarListFunctorIN3c104HalfELi1ELi1ELi0EEEJNS1_13power_functorIfEEEEEvT_T0_DpT1_: ; @_ZN2at6native12_GLOBAL__N_125multi_tensor_apply_kernelINS1_28TensorListScalarListMetadataIfLi1EEENS1_25BinaryOpScalarListFunctorIN3c104HalfELi1ELi1ELi0EEEJNS1_13power_functorIfEEEEEvT_T0_DpT1_
; %bb.0:
	v_mov_b32_e32 v1, s6
	s_add_u32 s0, s4, s6
	s_mul_i32 s1, s6, 3
	s_mul_hi_u32 s2, s6, 3
	s_addc_u32 s3, s5, 0
	global_load_ubyte v1, v1, s[4:5] offset:1920
	s_add_u32 s0, s0, s1
	s_addc_u32 s1, s3, s2
	s_load_dword s0, s[0:1], 0x8c0
	s_waitcnt vmcnt(0)
	v_readfirstlane_b32 s1, v1
	v_lshlrev_b32_e32 v1, 2, v1
	s_lshl_b32 s6, s1, 3
	v_sub_co_u32 v1, s1, 0, v1
	v_sub_co_ci_u32_e64 v2, null, 0, 0, s1
	s_waitcnt lgkmcnt(0)
	s_ashr_i32 s1, s0, 31
	s_clause 0x1
	s_load_dwordx2 s[2:3], s[4:5], s6 offset:0x300
	s_load_dwordx2 s[8:9], s[4:5], s6 offset:0x0
	s_add_u32 s6, s4, s6
	s_addc_u32 s7, s5, 0
	v_add_co_u32 v1, vcc_lo, s6, v1
	v_add_co_ci_u32_e64 v2, null, s7, v2, vcc_lo
	s_lshl_b64 s[10:11], s[0:1], 17
	v_readfirstlane_b32 s6, v1
	s_lshl_b64 s[0:1], s[0:1], 16
	v_readfirstlane_b32 s7, v2
	s_load_dword s20, s[6:7], 0x600
	s_mov_b32 s7, 0
	s_waitcnt lgkmcnt(0)
	s_and_b32 s6, s8, 7
	s_sub_u32 s12, s2, s0
	s_subb_u32 s13, s3, s1
	s_and_b32 s0, s2, 3
	s_mov_b32 s1, s7
	s_or_b64 s[0:1], s[6:7], s[0:1]
	s_cmp_eq_u64 s[0:1], 0
	s_cbranch_scc1 .LBB83_21
; %bb.1:
	v_cmp_lt_i64_e64 s0, s[12:13], 1
	s_and_b32 vcc_lo, exec_lo, s0
	s_cbranch_vccnz .LBB83_20
; %bb.2:
	s_load_dword s0, s[4:5], 0xdd4
	v_cmp_gt_i64_e64 s1, 0x10000, s[12:13]
	v_cmp_gt_u64_e64 s2, 0x10000, s[12:13]
	v_lshlrev_b32_e32 v1, 1, v0
	s_mov_b32 s23, 0x3e76c4e1
	s_and_b32 s1, s1, exec_lo
	s_cselect_b32 s15, s13, 0
	s_cselect_b32 s14, s12, 0x10000
	s_waitcnt lgkmcnt(0)
	s_and_b32 s0, s0, 0xffff
	s_and_b32 s1, s2, exec_lo
	v_add_co_u32 v5, s3, v0, s0
	s_cselect_b32 s17, s13, 0
	s_cselect_b32 s16, s12, 0x10000
	s_lshl_b32 s1, s0, 1
	v_lshlrev_b32_e32 v3, 1, v5
	s_mul_i32 s2, s0, 3
	s_lshl_b32 s7, s0, 2
	s_add_u32 s6, s8, s10
	v_add_co_u32 v6, s2, s2, v0
	v_add_co_u32 v9, s1, s1, v0
	s_addc_u32 s18, s9, s11
	v_add_co_ci_u32_e64 v7, null, 0, 0, s2
	v_add_co_u32 v1, s2, s6, v1
	v_add_co_ci_u32_e64 v10, null, 0, 0, s1
	v_add_co_u32 v3, s1, s6, v3
	v_add_co_ci_u32_e64 v2, null, s18, 0, s2
	v_add_co_ci_u32_e64 v8, null, 0, 0, s3
	;; [unrolled: 1-line block ×3, first 2 shown]
	s_lshl_b32 s21, s0, 3
	s_mul_i32 s22, s0, 6
	s_mov_b64 s[18:19], 0
	s_branch .LBB83_4
.LBB83_3:                               ;   in Loop: Header=BB83_4 Depth=1
	s_or_b32 exec_lo, exec_lo, s3
	s_add_u32 s18, s18, s7
	s_addc_u32 s19, s19, 0
	v_add_co_u32 v1, vcc_lo, v1, s21
	v_cmp_lt_i64_e64 s0, s[18:19], s[14:15]
	v_add_co_ci_u32_e64 v2, null, 0, v2, vcc_lo
	v_add_co_u32 v3, vcc_lo, v3, s21
	v_add_co_ci_u32_e64 v4, null, 0, v4, vcc_lo
	s_and_b32 vcc_lo, exec_lo, s0
	s_cbranch_vccz .LBB83_20
.LBB83_4:                               ; =>This Inner Loop Header: Depth=1
	s_waitcnt vmcnt(0)
	v_add_co_u32 v11, s0, v0, s18
	v_add_co_ci_u32_e64 v12, null, 0, s19, s0
	v_mov_b32_e32 v14, 0
	v_cmp_gt_u64_e64 s2, s[16:17], v[11:12]
	s_and_saveexec_b32 s0, s2
	s_cbranch_execz .LBB83_6
; %bb.5:                                ;   in Loop: Header=BB83_4 Depth=1
	global_load_ushort v14, v[1:2], off
.LBB83_6:                               ;   in Loop: Header=BB83_4 Depth=1
	s_or_b32 exec_lo, exec_lo, s0
	v_add_co_u32 v11, vcc_lo, v5, s18
	v_add_co_ci_u32_e64 v12, null, s19, v8, vcc_lo
	v_mov_b32_e32 v13, 0
	v_cmp_gt_u64_e64 s1, s[16:17], v[11:12]
	v_mov_b32_e32 v12, 0
	s_and_saveexec_b32 s0, s1
	s_cbranch_execz .LBB83_8
; %bb.7:                                ;   in Loop: Header=BB83_4 Depth=1
	global_load_ushort v13, v[3:4], off
.LBB83_8:                               ;   in Loop: Header=BB83_4 Depth=1
	s_or_b32 exec_lo, exec_lo, s0
	v_add_co_u32 v15, vcc_lo, v9, s18
	v_add_co_ci_u32_e64 v16, null, s19, v10, vcc_lo
	v_cmp_gt_u64_e64 s0, s[16:17], v[15:16]
	s_and_saveexec_b32 s3, s0
	s_cbranch_execz .LBB83_10
; %bb.9:                                ;   in Loop: Header=BB83_4 Depth=1
	v_add_co_u32 v11, vcc_lo, v1, s7
	v_add_co_ci_u32_e64 v12, null, 0, v2, vcc_lo
	global_load_ushort v12, v[11:12], off
.LBB83_10:                              ;   in Loop: Header=BB83_4 Depth=1
	s_or_b32 exec_lo, exec_lo, s3
	v_add_co_u32 v15, vcc_lo, v6, s18
	v_add_co_ci_u32_e64 v16, null, s19, v7, vcc_lo
	v_mov_b32_e32 v11, 0
	v_cmp_gt_u64_e32 vcc_lo, s[16:17], v[15:16]
	s_and_saveexec_b32 s6, vcc_lo
	s_cbranch_execnz .LBB83_15
; %bb.11:                               ;   in Loop: Header=BB83_4 Depth=1
	s_or_b32 exec_lo, exec_lo, s6
	s_and_saveexec_b32 s24, s2
	s_cbranch_execnz .LBB83_16
.LBB83_12:                              ;   in Loop: Header=BB83_4 Depth=1
	s_or_b32 exec_lo, exec_lo, s24
	s_and_saveexec_b32 s24, s1
	s_cbranch_execnz .LBB83_17
.LBB83_13:                              ;   in Loop: Header=BB83_4 Depth=1
	s_or_b32 exec_lo, exec_lo, s24
	s_and_saveexec_b32 s6, s0
	s_cbranch_execnz .LBB83_18
.LBB83_14:                              ;   in Loop: Header=BB83_4 Depth=1
	s_or_b32 exec_lo, exec_lo, s6
	s_and_saveexec_b32 s3, vcc_lo
	s_cbranch_execz .LBB83_3
	s_branch .LBB83_19
.LBB83_15:                              ;   in Loop: Header=BB83_4 Depth=1
	v_add_co_u32 v15, s3, v1, s22
	v_add_co_ci_u32_e64 v16, null, 0, v2, s3
	global_load_ushort v11, v[15:16], off
	s_or_b32 exec_lo, exec_lo, s6
	s_and_saveexec_b32 s24, s2
	s_cbranch_execz .LBB83_12
.LBB83_16:                              ;   in Loop: Header=BB83_4 Depth=1
	s_waitcnt vmcnt(0)
	v_cmp_neq_f16_e64 s2, 1.0, v14
	v_cvt_f32_f16_e32 v14, v14
	v_cndmask_b32_e64 v16, 1.0, s20, s2
	v_cmp_neq_f32_e64 s2, 0, v16
	v_cmp_neq_f32_e64 s25, v16, |v16|
	v_cndmask_b32_e64 v17, 1.0, v14, s2
	v_cvt_f64_f32_e64 v[14:15], |v17|
	v_cmp_lt_f32_e64 s26, |v17|, 1.0
	v_cmp_eq_f32_e64 s6, 0, v17
	s_xor_b32 s25, s25, s26
	v_frexp_exp_i32_f64_e32 v14, v[14:15]
	v_frexp_mant_f32_e64 v15, |v17|
	v_cmp_gt_f32_e64 s2, 0x3f2aaaab, v15
	v_cndmask_b32_e64 v18, 1.0, 2.0, s2
	v_mul_f32_e32 v15, v15, v18
	v_add_f32_e32 v18, 1.0, v15
	v_add_f32_e32 v20, -1.0, v15
	v_subrev_co_ci_u32_e64 v14, null, 0, v14, s2
	v_rcp_f32_e32 v19, v18
	v_add_f32_e32 v22, -1.0, v18
	v_cvt_f32_i32_e32 v14, v14
	v_sub_f32_e32 v15, v15, v22
	v_mul_f32_e32 v21, v20, v19
	v_mul_f32_e32 v23, v18, v21
	v_fma_f32 v18, v21, v18, -v23
	v_fmac_f32_e32 v18, v21, v15
	v_add_f32_e32 v15, v23, v18
	v_sub_f32_e32 v22, v20, v15
	v_sub_f32_e32 v23, v15, v23
	;; [unrolled: 1-line block ×5, first 2 shown]
	v_add_f32_e32 v15, v18, v15
	v_add_f32_e32 v15, v22, v15
	v_mul_f32_e32 v15, v19, v15
	v_add_f32_e32 v18, v21, v15
	v_sub_f32_e32 v19, v18, v21
	v_mul_f32_e32 v20, v18, v18
	v_sub_f32_e32 v15, v15, v19
	v_fma_f32 v19, v18, v18, -v20
	v_add_f32_e32 v21, v15, v15
	v_fmac_f32_e32 v19, v18, v21
	v_add_f32_e32 v21, v20, v19
	v_fmaak_f32 v22, s23, v21, 0x3e91f4c4
	v_sub_f32_e32 v20, v21, v20
	v_mul_f32_e32 v25, v18, v21
	v_fmaak_f32 v22, v21, v22, 0x3ecccdef
	v_sub_f32_e32 v19, v19, v20
	v_fma_f32 v26, v21, v18, -v25
	v_mul_f32_e32 v23, v21, v22
	v_fmac_f32_e32 v26, v21, v15
	v_ldexp_f32 v15, v15, 1
	v_fma_f32 v20, v21, v22, -v23
	v_fmac_f32_e32 v26, v19, v18
	v_ldexp_f32 v18, v18, 1
	v_fmac_f32_e32 v20, v19, v22
	v_add_f32_e32 v21, v25, v26
	v_add_f32_e32 v22, v23, v20
	v_sub_f32_e32 v23, v22, v23
	v_add_f32_e32 v24, 0x3f2aaaaa, v22
	v_sub_f32_e32 v20, v20, v23
	v_add_f32_e32 v23, 0xbf2aaaaa, v24
	v_add_f32_e32 v20, 0x31739010, v20
	v_sub_f32_e32 v22, v22, v23
	v_add_f32_e32 v20, v20, v22
	v_add_f32_e32 v19, v24, v20
	v_sub_f32_e32 v22, v24, v19
	v_mul_f32_e32 v23, v21, v19
	v_sub_f32_e32 v24, v21, v25
	v_add_f32_e32 v20, v20, v22
	v_fma_f32 v22, v21, v19, -v23
	v_sub_f32_e32 v24, v26, v24
	v_fmac_f32_e32 v22, v21, v20
	v_fmac_f32_e32 v22, v24, v19
	v_add_f32_e32 v19, v23, v22
	v_sub_f32_e32 v20, v19, v23
	v_add_f32_e32 v21, v18, v19
	v_mul_f32_e32 v23, 0x3f317218, v14
	v_sub_f32_e32 v20, v22, v20
	v_sub_f32_e32 v18, v21, v18
	v_fma_f32 v22, 0x3f317218, v14, -v23
	v_add_f32_e32 v15, v15, v20
	v_sub_f32_e32 v18, v19, v18
	v_fmac_f32_e32 v22, 0xb102e308, v14
	v_add_f32_e32 v14, v15, v18
	v_add_f32_e32 v15, v23, v22
	;; [unrolled: 1-line block ×3, first 2 shown]
	v_sub_f32_e32 v23, v15, v23
	v_add_f32_e32 v19, v15, v18
	v_sub_f32_e32 v21, v18, v21
	v_sub_f32_e32 v22, v22, v23
	;; [unrolled: 1-line block ×6, first 2 shown]
	v_add_f32_e32 v20, v22, v14
	v_sub_f32_e32 v15, v15, v24
	v_add_f32_e32 v15, v18, v15
	v_sub_f32_e32 v18, v20, v22
	v_add_f32_e32 v15, v20, v15
	v_sub_f32_e32 v20, v20, v18
	v_sub_f32_e32 v14, v14, v18
	v_add_f32_e32 v21, v19, v15
	v_sub_f32_e32 v18, v22, v20
	v_sub_f32_e32 v19, v21, v19
	v_add_f32_e32 v14, v14, v18
	v_sub_f32_e32 v15, v15, v19
	v_add_f32_e32 v14, v14, v15
	v_add_f32_e32 v15, v21, v14
	v_sub_f32_e32 v18, v15, v21
	v_mul_f32_e32 v19, v16, v15
	v_sub_f32_e32 v14, v14, v18
	v_fma_f32 v15, v16, v15, -v19
	v_cmp_class_f32_e64 s2, v19, 0x204
	v_fmac_f32_e32 v15, v16, v14
	v_add_f32_e32 v14, v19, v15
	v_cndmask_b32_e64 v18, v14, v19, s2
	v_sub_f32_e32 v14, v14, v19
	v_cmp_eq_f32_e64 s2, 0x42b17218, v18
	v_sub_f32_e32 v14, v15, v14
	v_trunc_f32_e32 v15, v16
	v_cndmask_b32_e64 v20, 0, 0x37000000, s2
	v_cmp_neq_f32_e64 s2, 0x7f800000, |v18|
	v_sub_f32_e32 v21, v18, v20
	v_cndmask_b32_e64 v14, 0, v14, s2
	v_mul_f32_e32 v22, 0x3fb8aa3b, v21
	v_cmp_ngt_f32_e64 s2, 0xc2ce8ed0, v21
	v_cmp_nlt_f32_e64 s3, 0x42b17218, v21
	v_add_f32_e32 v14, v20, v14
	v_fma_f32 v23, 0x3fb8aa3b, v21, -v22
	v_rndne_f32_e32 v24, v22
	v_fmac_f32_e32 v23, 0x32a5705f, v21
	v_sub_f32_e32 v22, v22, v24
	v_cvt_i32_f32_e32 v19, v24
	v_add_f32_e32 v22, v22, v23
	v_exp_f32_e32 v22, v22
	v_ldexp_f32 v19, v22, v19
	v_mul_f32_e32 v22, 0.5, v16
	v_cndmask_b32_e64 v18, 0, v19, s2
	v_trunc_f32_e32 v19, v22
	v_cmp_eq_f32_e64 s2, v15, v16
	v_cndmask_b32_e64 v15, 0x7f800000, v18, s3
	v_cmp_neq_f32_e64 s3, v19, v22
	v_fma_f32 v14, v15, v14, v15
	s_and_b32 s3, s2, s3
	v_cndmask_b32_e64 v18, 0, v17, s3
	v_cndmask_b32_e64 v19, 1.0, v17, s3
	v_cmp_class_f32_e64 s3, v15, 0x204
	v_cndmask_b32_e64 v14, v14, v15, s3
	v_cmp_gt_f32_e64 s3, 0, v16
	v_cndmask_b32_e64 v15, 0x7f800000, 0, s25
	v_bfi_b32 v14, 0x7fffffff, v14, v19
	v_cndmask_b32_e64 v19, 0x7fc00000, v14, s2
	s_xor_b32 s2, s3, s6
	v_cmp_class_f32_e64 s3, v17, 0x204
	v_cndmask_b32_e64 v20, 0x7f800000, 0, s2
	v_cmp_neq_f32_e64 s2, |v17|, 1.0
	v_bfi_b32 v18, 0x7fffffff, v20, v18
	v_cndmask_b32_e64 v15, 1.0, v15, s2
	v_cmp_gt_f32_e64 s2, 0, v17
	v_cndmask_b32_e64 v14, v14, v19, s2
	v_cmp_class_f32_e64 s2, v16, 0x204
	v_cndmask_b32_e64 v14, v14, v15, s2
	s_or_b32 s2, s6, s3
	v_cndmask_b32_e64 v14, v14, v18, s2
	v_cmp_o_f32_e64 s2, v17, v16
	v_cndmask_b32_e64 v14, 0x7fc00000, v14, s2
	v_cvt_f16_f32_e32 v14, v14
	global_store_short v[1:2], v14, off
	s_or_b32 exec_lo, exec_lo, s24
	s_and_saveexec_b32 s24, s1
	s_cbranch_execz .LBB83_13
.LBB83_17:                              ;   in Loop: Header=BB83_4 Depth=1
	s_waitcnt vmcnt(0)
	v_cmp_neq_f16_e64 s1, 1.0, v13
	v_cvt_f32_f16_e32 v13, v13
	v_cndmask_b32_e64 v15, 1.0, s20, s1
	v_cmp_neq_f32_e64 s1, 0, v15
	v_cmp_neq_f32_e64 s25, v15, |v15|
	v_cndmask_b32_e64 v16, 1.0, v13, s1
	v_frexp_mant_f32_e64 v13, |v16|
	v_cmp_lt_f32_e64 s26, |v16|, 1.0
	v_cmp_eq_f32_e64 s6, 0, v16
	v_cmp_gt_f32_e64 s1, 0x3f2aaaab, v13
	s_xor_b32 s25, s25, s26
	v_cndmask_b32_e64 v14, 1.0, 2.0, s1
	v_mul_f32_e32 v13, v13, v14
	v_add_f32_e32 v14, 1.0, v13
	v_add_f32_e32 v18, -1.0, v13
	v_rcp_f32_e32 v17, v14
	v_add_f32_e32 v20, -1.0, v14
	v_sub_f32_e32 v13, v13, v20
	v_mul_f32_e32 v19, v18, v17
	v_mul_f32_e32 v21, v14, v19
	v_fma_f32 v14, v19, v14, -v21
	v_fmac_f32_e32 v14, v19, v13
	v_add_f32_e32 v13, v21, v14
	v_sub_f32_e32 v20, v18, v13
	v_sub_f32_e32 v21, v13, v21
	;; [unrolled: 1-line block ×5, first 2 shown]
	v_add_f32_e32 v13, v14, v13
	v_add_f32_e32 v13, v20, v13
	v_mul_f32_e32 v13, v17, v13
	v_add_f32_e32 v17, v19, v13
	v_sub_f32_e32 v14, v17, v19
	v_mul_f32_e32 v18, v17, v17
	v_sub_f32_e32 v19, v13, v14
	v_fma_f32 v13, v17, v17, -v18
	v_add_f32_e32 v14, v19, v19
	v_fmac_f32_e32 v13, v17, v14
	v_add_f32_e32 v20, v18, v13
	v_fmaak_f32 v14, s23, v20, 0x3e91f4c4
	v_sub_f32_e32 v18, v20, v18
	v_mul_f32_e32 v25, v17, v20
	v_fmaak_f32 v14, v20, v14, 0x3ecccdef
	v_sub_f32_e32 v18, v13, v18
	v_fma_f32 v26, v20, v17, -v25
	v_mul_f32_e32 v21, v20, v14
	v_fmac_f32_e32 v26, v20, v19
	v_ldexp_f32 v19, v19, 1
	v_fma_f32 v22, v20, v14, -v21
	v_fmac_f32_e32 v26, v18, v17
	v_fmac_f32_e32 v22, v18, v14
	v_cvt_f64_f32_e64 v[13:14], |v16|
	v_add_f32_e32 v23, v21, v22
	v_sub_f32_e32 v21, v23, v21
	v_add_f32_e32 v24, 0x3f2aaaaa, v23
	v_sub_f32_e32 v21, v22, v21
	v_add_f32_e32 v22, 0xbf2aaaaa, v24
	v_add_f32_e32 v21, 0x31739010, v21
	v_sub_f32_e32 v22, v23, v22
	v_frexp_exp_i32_f64_e32 v13, v[13:14]
	v_add_f32_e32 v20, v21, v22
	v_add_f32_e32 v21, v25, v26
	;; [unrolled: 1-line block ×3, first 2 shown]
	v_sub_f32_e32 v23, v21, v25
	v_sub_f32_e32 v14, v24, v18
	v_mul_f32_e32 v22, v21, v18
	v_sub_f32_e32 v23, v26, v23
	v_add_f32_e32 v14, v20, v14
	v_fma_f32 v20, v21, v18, -v22
	v_subrev_co_ci_u32_e64 v13, null, 0, v13, s1
	v_fmac_f32_e32 v20, v21, v14
	v_ldexp_f32 v14, v17, 1
	v_cvt_f32_i32_e32 v13, v13
	v_fmac_f32_e32 v20, v23, v18
	v_add_f32_e32 v17, v22, v20
	v_add_f32_e32 v18, v14, v17
	v_sub_f32_e32 v21, v17, v22
	v_mul_f32_e32 v22, 0x3f317218, v13
	v_sub_f32_e32 v14, v18, v14
	v_sub_f32_e32 v20, v20, v21
	v_fma_f32 v21, 0x3f317218, v13, -v22
	v_sub_f32_e32 v14, v17, v14
	v_add_f32_e32 v17, v19, v20
	v_fmac_f32_e32 v21, 0xb102e308, v13
	v_add_f32_e32 v13, v17, v14
	v_add_f32_e32 v14, v22, v21
	;; [unrolled: 1-line block ×3, first 2 shown]
	v_sub_f32_e32 v22, v14, v22
	v_add_f32_e32 v19, v14, v17
	v_sub_f32_e32 v18, v17, v18
	v_sub_f32_e32 v21, v21, v22
	;; [unrolled: 1-line block ×6, first 2 shown]
	v_add_f32_e32 v18, v21, v13
	v_sub_f32_e32 v14, v14, v23
	v_add_f32_e32 v14, v17, v14
	v_sub_f32_e32 v17, v18, v21
	;; [unrolled: 2-line block ×3, first 2 shown]
	v_sub_f32_e32 v13, v13, v17
	v_add_f32_e32 v20, v19, v14
	v_sub_f32_e32 v17, v21, v18
	v_sub_f32_e32 v18, v20, v19
	v_add_f32_e32 v13, v13, v17
	v_sub_f32_e32 v14, v14, v18
	v_add_f32_e32 v13, v13, v14
	v_add_f32_e32 v14, v20, v13
	v_sub_f32_e32 v17, v14, v20
	v_mul_f32_e32 v18, v15, v14
	v_sub_f32_e32 v13, v13, v17
	v_fma_f32 v14, v15, v14, -v18
	v_cmp_class_f32_e64 s1, v18, 0x204
	v_fmac_f32_e32 v14, v15, v13
	v_add_f32_e32 v13, v18, v14
	v_cndmask_b32_e64 v17, v13, v18, s1
	v_sub_f32_e32 v13, v13, v18
	v_cmp_eq_f32_e64 s1, 0x42b17218, v17
	v_sub_f32_e32 v13, v14, v13
	v_cndmask_b32_e64 v19, 0, 0x37000000, s1
	v_cmp_neq_f32_e64 s1, 0x7f800000, |v17|
	v_sub_f32_e32 v20, v17, v19
	v_cndmask_b32_e64 v13, 0, v13, s1
	v_trunc_f32_e32 v17, v15
	v_mul_f32_e32 v21, 0x3fb8aa3b, v20
	v_cmp_ngt_f32_e64 s1, 0xc2ce8ed0, v20
	v_add_f32_e32 v13, v19, v13
	v_fma_f32 v22, 0x3fb8aa3b, v20, -v21
	v_rndne_f32_e32 v23, v21
	v_fmac_f32_e32 v22, 0x32a5705f, v20
	v_sub_f32_e32 v21, v21, v23
	v_cvt_i32_f32_e32 v18, v23
	v_add_f32_e32 v21, v21, v22
	v_exp_f32_e32 v21, v21
	v_ldexp_f32 v14, v21, v18
	v_mul_f32_e32 v18, 0.5, v15
	v_cndmask_b32_e64 v14, 0, v14, s1
	v_cmp_nlt_f32_e64 s1, 0x42b17218, v20
	v_trunc_f32_e32 v21, v18
	v_cndmask_b32_e64 v14, 0x7f800000, v14, s1
	v_cmp_eq_f32_e64 s1, v17, v15
	v_cmp_neq_f32_e64 s2, v21, v18
	v_fma_f32 v13, v14, v13, v14
	v_cmp_class_f32_e64 s3, v14, 0x204
	s_and_b32 s2, s1, s2
	v_cndmask_b32_e64 v17, 1.0, v16, s2
	v_cndmask_b32_e64 v13, v13, v14, s3
	v_cmp_gt_f32_e64 s3, 0, v15
	v_cndmask_b32_e64 v14, 0x7f800000, 0, s25
	v_bfi_b32 v13, 0x7fffffff, v13, v17
	v_cndmask_b32_e64 v17, 0x7fc00000, v13, s1
	s_xor_b32 s1, s3, s6
	v_cndmask_b32_e64 v18, 0x7f800000, 0, s1
	v_cmp_neq_f32_e64 s1, |v16|, 1.0
	v_cndmask_b32_e64 v14, 1.0, v14, s1
	v_cmp_gt_f32_e64 s1, 0, v16
	v_cndmask_b32_e64 v13, v13, v17, s1
	v_cndmask_b32_e64 v17, 0, v16, s2
	v_cmp_class_f32_e64 s1, v15, 0x204
	v_cmp_class_f32_e64 s2, v16, 0x204
	v_cndmask_b32_e64 v13, v13, v14, s1
	v_bfi_b32 v14, 0x7fffffff, v18, v17
	s_or_b32 s1, s6, s2
	v_cndmask_b32_e64 v13, v13, v14, s1
	v_cmp_o_f32_e64 s1, v16, v15
	v_cndmask_b32_e64 v13, 0x7fc00000, v13, s1
	v_cvt_f16_f32_e32 v13, v13
	global_store_short v[3:4], v13, off
	s_or_b32 exec_lo, exec_lo, s24
	s_and_saveexec_b32 s6, s0
	s_cbranch_execz .LBB83_14
.LBB83_18:                              ;   in Loop: Header=BB83_4 Depth=1
	s_waitcnt vmcnt(0)
	v_cmp_neq_f16_e64 s0, 1.0, v12
	v_cvt_f32_f16_e32 v12, v12
	v_cndmask_b32_e64 v14, 1.0, s20, s0
	v_cmp_neq_f32_e64 s0, 0, v14
	v_cmp_neq_f32_e64 s24, v14, |v14|
	v_cndmask_b32_e64 v15, 1.0, v12, s0
	v_frexp_mant_f32_e64 v12, |v15|
	v_cmp_lt_f32_e64 s25, |v15|, 1.0
	v_cmp_eq_f32_e64 s3, 0, v15
	v_cmp_gt_f32_e64 s0, 0x3f2aaaab, v12
	s_xor_b32 s24, s24, s25
	v_cndmask_b32_e64 v13, 1.0, 2.0, s0
	v_mul_f32_e32 v12, v12, v13
	v_add_f32_e32 v13, 1.0, v12
	v_add_f32_e32 v17, -1.0, v12
	v_rcp_f32_e32 v16, v13
	v_add_f32_e32 v19, -1.0, v13
	v_sub_f32_e32 v12, v12, v19
	v_mul_f32_e32 v18, v17, v16
	v_mul_f32_e32 v20, v13, v18
	v_fma_f32 v13, v18, v13, -v20
	v_fmac_f32_e32 v13, v18, v12
	v_add_f32_e32 v12, v20, v13
	v_sub_f32_e32 v19, v17, v12
	v_sub_f32_e32 v20, v12, v20
	;; [unrolled: 1-line block ×5, first 2 shown]
	v_add_f32_e32 v12, v13, v12
	v_add_f32_e32 v12, v19, v12
	v_mul_f32_e32 v12, v16, v12
	v_add_f32_e32 v16, v18, v12
	v_sub_f32_e32 v13, v16, v18
	v_mul_f32_e32 v17, v16, v16
	v_sub_f32_e32 v18, v12, v13
	v_fma_f32 v12, v16, v16, -v17
	v_add_f32_e32 v13, v18, v18
	v_fmac_f32_e32 v12, v16, v13
	v_add_f32_e32 v19, v17, v12
	v_fmaak_f32 v13, s23, v19, 0x3e91f4c4
	v_sub_f32_e32 v17, v19, v17
	v_mul_f32_e32 v24, v16, v19
	v_fmaak_f32 v13, v19, v13, 0x3ecccdef
	v_sub_f32_e32 v17, v12, v17
	v_fma_f32 v25, v19, v16, -v24
	v_mul_f32_e32 v20, v19, v13
	v_fmac_f32_e32 v25, v19, v18
	v_ldexp_f32 v18, v18, 1
	v_fma_f32 v21, v19, v13, -v20
	v_fmac_f32_e32 v25, v17, v16
	v_fmac_f32_e32 v21, v17, v13
	v_cvt_f64_f32_e64 v[12:13], |v15|
	v_add_f32_e32 v22, v20, v21
	v_sub_f32_e32 v20, v22, v20
	v_add_f32_e32 v23, 0x3f2aaaaa, v22
	v_sub_f32_e32 v20, v21, v20
	v_add_f32_e32 v21, 0xbf2aaaaa, v23
	v_add_f32_e32 v20, 0x31739010, v20
	v_sub_f32_e32 v21, v22, v21
	v_frexp_exp_i32_f64_e32 v12, v[12:13]
	v_add_f32_e32 v19, v20, v21
	v_add_f32_e32 v20, v24, v25
	;; [unrolled: 1-line block ×3, first 2 shown]
	v_sub_f32_e32 v22, v20, v24
	v_sub_f32_e32 v13, v23, v17
	v_mul_f32_e32 v21, v20, v17
	v_sub_f32_e32 v22, v25, v22
	v_add_f32_e32 v13, v19, v13
	v_fma_f32 v19, v20, v17, -v21
	v_subrev_co_ci_u32_e64 v12, null, 0, v12, s0
	v_fmac_f32_e32 v19, v20, v13
	v_ldexp_f32 v13, v16, 1
	v_cvt_f32_i32_e32 v12, v12
	v_fmac_f32_e32 v19, v22, v17
	v_add_f32_e32 v16, v21, v19
	v_add_f32_e32 v17, v13, v16
	v_sub_f32_e32 v20, v16, v21
	v_mul_f32_e32 v21, 0x3f317218, v12
	v_sub_f32_e32 v13, v17, v13
	v_sub_f32_e32 v19, v19, v20
	v_fma_f32 v20, 0x3f317218, v12, -v21
	v_sub_f32_e32 v13, v16, v13
	v_add_f32_e32 v16, v18, v19
	v_fmac_f32_e32 v20, 0xb102e308, v12
	v_add_f32_e32 v12, v16, v13
	v_add_f32_e32 v13, v21, v20
	;; [unrolled: 1-line block ×3, first 2 shown]
	v_sub_f32_e32 v21, v13, v21
	v_add_f32_e32 v18, v13, v16
	v_sub_f32_e32 v17, v16, v17
	v_sub_f32_e32 v20, v20, v21
	;; [unrolled: 1-line block ×6, first 2 shown]
	v_add_f32_e32 v17, v20, v12
	v_sub_f32_e32 v13, v13, v22
	v_add_f32_e32 v13, v16, v13
	v_sub_f32_e32 v16, v17, v20
	;; [unrolled: 2-line block ×3, first 2 shown]
	v_sub_f32_e32 v12, v12, v16
	v_add_f32_e32 v19, v18, v13
	v_sub_f32_e32 v16, v20, v17
	v_sub_f32_e32 v17, v19, v18
	v_add_f32_e32 v12, v12, v16
	v_sub_f32_e32 v13, v13, v17
	v_add_f32_e32 v12, v12, v13
	v_add_f32_e32 v13, v19, v12
	v_sub_f32_e32 v16, v13, v19
	v_mul_f32_e32 v17, v14, v13
	v_sub_f32_e32 v12, v12, v16
	v_fma_f32 v13, v14, v13, -v17
	v_cmp_class_f32_e64 s0, v17, 0x204
	v_fmac_f32_e32 v13, v14, v12
	v_add_f32_e32 v12, v17, v13
	v_cndmask_b32_e64 v16, v12, v17, s0
	v_sub_f32_e32 v12, v12, v17
	v_cmp_eq_f32_e64 s0, 0x42b17218, v16
	v_sub_f32_e32 v12, v13, v12
	v_cndmask_b32_e64 v18, 0, 0x37000000, s0
	v_cmp_neq_f32_e64 s0, 0x7f800000, |v16|
	v_sub_f32_e32 v19, v16, v18
	v_cndmask_b32_e64 v12, 0, v12, s0
	v_trunc_f32_e32 v16, v14
	v_mul_f32_e32 v20, 0x3fb8aa3b, v19
	v_cmp_ngt_f32_e64 s0, 0xc2ce8ed0, v19
	v_add_f32_e32 v12, v18, v12
	v_fma_f32 v21, 0x3fb8aa3b, v19, -v20
	v_rndne_f32_e32 v22, v20
	v_fmac_f32_e32 v21, 0x32a5705f, v19
	v_sub_f32_e32 v20, v20, v22
	v_cvt_i32_f32_e32 v17, v22
	v_add_f32_e32 v20, v20, v21
	v_exp_f32_e32 v20, v20
	v_ldexp_f32 v13, v20, v17
	v_mul_f32_e32 v17, 0.5, v14
	v_cndmask_b32_e64 v13, 0, v13, s0
	v_cmp_nlt_f32_e64 s0, 0x42b17218, v19
	v_trunc_f32_e32 v20, v17
	v_cndmask_b32_e64 v13, 0x7f800000, v13, s0
	v_cmp_eq_f32_e64 s0, v16, v14
	v_cmp_neq_f32_e64 s1, v20, v17
	v_fma_f32 v12, v13, v12, v13
	v_cmp_class_f32_e64 s2, v13, 0x204
	s_and_b32 s1, s0, s1
	v_cndmask_b32_e64 v16, 1.0, v15, s1
	v_cndmask_b32_e64 v18, 0, v15, s1
	v_cndmask_b32_e64 v12, v12, v13, s2
	;; [unrolled: 1-line block ×3, first 2 shown]
	v_cmp_gt_f32_e64 s2, 0, v14
	v_cmp_class_f32_e64 s1, v15, 0x204
	v_bfi_b32 v12, 0x7fffffff, v12, v16
	s_xor_b32 s2, s2, s3
	v_cndmask_b32_e64 v16, 0x7f800000, 0, s2
	v_cndmask_b32_e64 v17, 0x7fc00000, v12, s0
	v_cmp_neq_f32_e64 s0, |v15|, 1.0
	v_bfi_b32 v16, 0x7fffffff, v16, v18
	v_cndmask_b32_e64 v13, 1.0, v13, s0
	v_cmp_gt_f32_e64 s0, 0, v15
	v_cndmask_b32_e64 v12, v12, v17, s0
	v_cmp_class_f32_e64 s0, v14, 0x204
	v_cndmask_b32_e64 v12, v12, v13, s0
	s_or_b32 s0, s3, s1
	v_cndmask_b32_e64 v12, v12, v16, s0
	v_cmp_o_f32_e64 s0, v15, v14
	v_cndmask_b32_e64 v12, 0x7fc00000, v12, s0
	v_cvt_f16_f32_e32 v14, v12
	v_add_co_u32 v12, s0, v1, s7
	v_add_co_ci_u32_e64 v13, null, 0, v2, s0
	global_store_short v[12:13], v14, off
	s_or_b32 exec_lo, exec_lo, s6
	s_and_saveexec_b32 s3, vcc_lo
	s_cbranch_execz .LBB83_3
.LBB83_19:                              ;   in Loop: Header=BB83_4 Depth=1
	s_waitcnt vmcnt(0)
	v_cmp_neq_f16_e32 vcc_lo, 1.0, v11
	v_cvt_f32_f16_e32 v11, v11
	v_cndmask_b32_e64 v13, 1.0, s20, vcc_lo
	v_cmp_neq_f32_e32 vcc_lo, 0, v13
	v_cmp_neq_f32_e64 s6, v13, |v13|
	v_cndmask_b32_e32 v14, 1.0, v11, vcc_lo
	v_frexp_mant_f32_e64 v11, |v14|
	v_cmp_lt_f32_e64 s24, |v14|, 1.0
	v_cmp_eq_f32_e64 s2, 0, v14
	v_cmp_gt_f32_e32 vcc_lo, 0x3f2aaaab, v11
	s_xor_b32 s6, s6, s24
	v_cndmask_b32_e64 v12, 1.0, 2.0, vcc_lo
	v_mul_f32_e32 v11, v11, v12
	v_add_f32_e32 v12, 1.0, v11
	v_add_f32_e32 v16, -1.0, v11
	v_rcp_f32_e32 v15, v12
	v_add_f32_e32 v18, -1.0, v12
	v_sub_f32_e32 v11, v11, v18
	v_mul_f32_e32 v17, v16, v15
	v_mul_f32_e32 v19, v12, v17
	v_fma_f32 v12, v17, v12, -v19
	v_fmac_f32_e32 v12, v17, v11
	v_add_f32_e32 v11, v19, v12
	v_sub_f32_e32 v18, v16, v11
	v_sub_f32_e32 v19, v11, v19
	;; [unrolled: 1-line block ×5, first 2 shown]
	v_add_f32_e32 v11, v12, v11
	v_add_f32_e32 v11, v18, v11
	v_mul_f32_e32 v11, v15, v11
	v_add_f32_e32 v15, v17, v11
	v_sub_f32_e32 v12, v15, v17
	v_mul_f32_e32 v16, v15, v15
	v_sub_f32_e32 v17, v11, v12
	v_fma_f32 v11, v15, v15, -v16
	v_add_f32_e32 v12, v17, v17
	v_fmac_f32_e32 v11, v15, v12
	v_add_f32_e32 v18, v16, v11
	v_fmaak_f32 v12, s23, v18, 0x3e91f4c4
	v_sub_f32_e32 v16, v18, v16
	v_mul_f32_e32 v23, v15, v18
	v_fmaak_f32 v12, v18, v12, 0x3ecccdef
	v_sub_f32_e32 v16, v11, v16
	v_fma_f32 v24, v18, v15, -v23
	v_mul_f32_e32 v19, v18, v12
	v_fmac_f32_e32 v24, v18, v17
	v_ldexp_f32 v17, v17, 1
	v_fma_f32 v20, v18, v12, -v19
	v_fmac_f32_e32 v24, v16, v15
	v_fmac_f32_e32 v20, v16, v12
	v_cvt_f64_f32_e64 v[11:12], |v14|
	v_add_f32_e32 v21, v19, v20
	v_sub_f32_e32 v19, v21, v19
	v_add_f32_e32 v22, 0x3f2aaaaa, v21
	v_sub_f32_e32 v19, v20, v19
	v_add_f32_e32 v20, 0xbf2aaaaa, v22
	v_add_f32_e32 v19, 0x31739010, v19
	v_sub_f32_e32 v20, v21, v20
	v_frexp_exp_i32_f64_e32 v11, v[11:12]
	v_add_f32_e32 v18, v19, v20
	v_add_f32_e32 v19, v23, v24
	;; [unrolled: 1-line block ×3, first 2 shown]
	v_sub_f32_e32 v21, v19, v23
	v_sub_f32_e32 v12, v22, v16
	v_mul_f32_e32 v20, v19, v16
	v_sub_f32_e32 v21, v24, v21
	v_add_f32_e32 v12, v18, v12
	v_fma_f32 v18, v19, v16, -v20
	v_subrev_co_ci_u32_e64 v11, null, 0, v11, vcc_lo
	v_fmac_f32_e32 v18, v19, v12
	v_ldexp_f32 v12, v15, 1
	v_cvt_f32_i32_e32 v11, v11
	v_fmac_f32_e32 v18, v21, v16
	v_add_f32_e32 v15, v20, v18
	v_add_f32_e32 v16, v12, v15
	v_sub_f32_e32 v19, v15, v20
	v_mul_f32_e32 v20, 0x3f317218, v11
	v_sub_f32_e32 v12, v16, v12
	v_sub_f32_e32 v18, v18, v19
	v_fma_f32 v19, 0x3f317218, v11, -v20
	v_sub_f32_e32 v12, v15, v12
	v_add_f32_e32 v15, v17, v18
	v_fmac_f32_e32 v19, 0xb102e308, v11
	v_add_f32_e32 v11, v15, v12
	v_add_f32_e32 v12, v20, v19
	;; [unrolled: 1-line block ×3, first 2 shown]
	v_sub_f32_e32 v20, v12, v20
	v_add_f32_e32 v17, v12, v15
	v_sub_f32_e32 v16, v15, v16
	v_sub_f32_e32 v19, v19, v20
	;; [unrolled: 1-line block ×6, first 2 shown]
	v_add_f32_e32 v16, v19, v11
	v_sub_f32_e32 v12, v12, v21
	v_add_f32_e32 v12, v15, v12
	v_sub_f32_e32 v15, v16, v19
	;; [unrolled: 2-line block ×3, first 2 shown]
	v_sub_f32_e32 v11, v11, v15
	v_add_f32_e32 v18, v17, v12
	v_sub_f32_e32 v15, v19, v16
	v_sub_f32_e32 v16, v18, v17
	v_add_f32_e32 v11, v11, v15
	v_sub_f32_e32 v12, v12, v16
	v_add_f32_e32 v11, v11, v12
	v_add_f32_e32 v12, v18, v11
	v_sub_f32_e32 v15, v12, v18
	v_mul_f32_e32 v16, v13, v12
	v_sub_f32_e32 v11, v11, v15
	v_fma_f32 v12, v13, v12, -v16
	v_cmp_class_f32_e64 vcc_lo, v16, 0x204
	v_fmac_f32_e32 v12, v13, v11
	v_add_f32_e32 v11, v16, v12
	v_cndmask_b32_e32 v15, v11, v16, vcc_lo
	v_sub_f32_e32 v11, v11, v16
	v_cmp_eq_f32_e32 vcc_lo, 0x42b17218, v15
	v_sub_f32_e32 v11, v12, v11
	v_cndmask_b32_e64 v17, 0, 0x37000000, vcc_lo
	v_cmp_neq_f32_e64 vcc_lo, 0x7f800000, |v15|
	v_sub_f32_e32 v18, v15, v17
	v_cndmask_b32_e32 v11, 0, v11, vcc_lo
	v_trunc_f32_e32 v15, v13
	v_mul_f32_e32 v19, 0x3fb8aa3b, v18
	v_cmp_ngt_f32_e32 vcc_lo, 0xc2ce8ed0, v18
	v_add_f32_e32 v11, v17, v11
	v_fma_f32 v20, 0x3fb8aa3b, v18, -v19
	v_rndne_f32_e32 v21, v19
	v_fmac_f32_e32 v20, 0x32a5705f, v18
	v_sub_f32_e32 v19, v19, v21
	v_cvt_i32_f32_e32 v16, v21
	v_add_f32_e32 v19, v19, v20
	v_exp_f32_e32 v19, v19
	v_ldexp_f32 v12, v19, v16
	v_mul_f32_e32 v16, 0.5, v13
	v_cndmask_b32_e32 v12, 0, v12, vcc_lo
	v_cmp_nlt_f32_e32 vcc_lo, 0x42b17218, v18
	v_trunc_f32_e32 v19, v16
	v_cndmask_b32_e32 v12, 0x7f800000, v12, vcc_lo
	v_cmp_eq_f32_e32 vcc_lo, v15, v13
	v_cmp_neq_f32_e64 s0, v19, v16
	v_fma_f32 v11, v12, v11, v12
	v_cmp_class_f32_e64 s1, v12, 0x204
	s_and_b32 s0, vcc_lo, s0
	v_cndmask_b32_e64 v15, 1.0, v14, s0
	v_cndmask_b32_e64 v17, 0, v14, s0
	v_cndmask_b32_e64 v11, v11, v12, s1
	;; [unrolled: 1-line block ×3, first 2 shown]
	v_cmp_gt_f32_e64 s1, 0, v13
	v_cmp_class_f32_e64 s0, v14, 0x204
	v_bfi_b32 v11, 0x7fffffff, v11, v15
	s_xor_b32 s1, s1, s2
	v_cndmask_b32_e64 v15, 0x7f800000, 0, s1
	v_cndmask_b32_e32 v16, 0x7fc00000, v11, vcc_lo
	v_cmp_neq_f32_e64 vcc_lo, |v14|, 1.0
	v_bfi_b32 v15, 0x7fffffff, v15, v17
	v_cndmask_b32_e32 v12, 1.0, v12, vcc_lo
	v_cmp_gt_f32_e32 vcc_lo, 0, v14
	v_cndmask_b32_e32 v11, v11, v16, vcc_lo
	v_cmp_class_f32_e64 vcc_lo, v13, 0x204
	v_cndmask_b32_e32 v11, v11, v12, vcc_lo
	s_or_b32 vcc_lo, s2, s0
	v_cndmask_b32_e32 v11, v11, v15, vcc_lo
	v_cmp_o_f32_e32 vcc_lo, v14, v13
	v_cndmask_b32_e32 v11, 0x7fc00000, v11, vcc_lo
	v_cvt_f16_f32_e32 v13, v11
	v_add_co_u32 v11, vcc_lo, v1, s22
	v_add_co_ci_u32_e64 v12, null, 0, v2, vcc_lo
	global_store_short v[11:12], v13, off
	s_branch .LBB83_3
.LBB83_20:
	s_cbranch_execz .LBB83_22
	s_branch .LBB83_25
.LBB83_21:
.LBB83_22:
	v_cmp_gt_i64_e64 s0, 0x10000, s[12:13]
	v_mov_b32_e32 v2, 0
	v_lshlrev_b32_e32 v1, 2, v0
	s_mov_b32 s18, 0
	s_and_b32 s0, s0, exec_lo
	s_cselect_b32 s17, s13, 0
	s_cselect_b32 s16, s12, 0x10000
	s_mov_b32 s0, exec_lo
	v_cmpx_gt_i64_e64 s[16:17], v[1:2]
	s_cbranch_execz .LBB83_25
; %bb.23:
	s_load_dword s0, s[4:5], 0xdd4
	v_lshlrev_b32_e32 v1, 3, v0
	s_mov_b32 s22, 0x3e76c4e1
	s_waitcnt lgkmcnt(0)
	s_and_b32 s19, s0, 0xffff
	s_add_u32 s0, s8, s10
	s_addc_u32 s1, s9, s11
	v_add_co_u32 v3, s0, s0, v1
	v_add_co_ci_u32_e64 v4, null, s1, 0, s0
	v_mov_b32_e32 v1, v2
	v_add_co_u32 v2, vcc_lo, v3, 4
	v_add_co_ci_u32_e64 v3, null, 0, v4, vcc_lo
	v_mov_b32_e32 v4, 0x3c00
	s_lshl_b32 s21, s19, 3
.LBB83_24:                              ; =>This Inner Loop Header: Depth=1
	s_clause 0x2
	global_load_dwordx2 v[5:6], v[2:3], off offset:-4
	global_load_dword v7, v[2:3], off offset:-2
	global_load_ushort v8, v[2:3], off offset:2
	s_waitcnt vmcnt(2)
	v_cmp_neq_f16_e32 vcc_lo, 1.0, v5
	v_cvt_f32_f16_e32 v9, v5
	s_waitcnt vmcnt(1)
	v_cmp_neq_f16_sdwa s0, v7, v4 src0_sel:WORD_1 src1_sel:DWORD
	s_waitcnt vmcnt(0)
	v_cvt_f32_f16_e32 v12, v8
	v_cvt_f32_f16_e32 v10, v7
	v_cndmask_b32_e64 v5, 1.0, s20, vcc_lo
	v_cmp_neq_f16_e32 vcc_lo, 1.0, v7
	v_cvt_f32_f16_sdwa v11, v7 dst_sel:DWORD dst_unused:UNUSED_PAD src0_sel:WORD_1
	v_cndmask_b32_e64 v7, 1.0, s20, s0
	v_cmp_neq_f32_e64 s13, v5, |v5|
	v_cndmask_b32_e64 v6, 1.0, s20, vcc_lo
	v_cmp_neq_f16_e32 vcc_lo, 1.0, v8
	v_cmp_gt_f32_e64 s9, 0, v5
	v_trunc_f32_e32 v13, v5
	v_mul_f32_e32 v14, 0.5, v5
	v_mul_f32_e32 v23, 0.5, v6
	v_cndmask_b32_e64 v8, 1.0, s20, vcc_lo
	v_cmp_neq_f32_e32 vcc_lo, 0, v5
	v_cmp_neq_f32_e64 s14, v6, |v6|
	v_mul_f32_e32 v24, 0.5, v7
	v_trunc_f32_e32 v29, v23
	v_trunc_f32_e32 v19, v6
	v_cndmask_b32_e32 v9, 1.0, v9, vcc_lo
	v_cmp_neq_f32_e32 vcc_lo, 0, v6
	v_trunc_f32_e32 v21, v7
	v_cmp_gt_f32_e64 s10, 0, v6
	v_cmp_neq_f32_e64 s15, v7, |v7|
	v_cmp_lt_f32_e64 s28, |v9|, 1.0
	v_cndmask_b32_e32 v10, 1.0, v10, vcc_lo
	v_cmp_neq_f32_e32 vcc_lo, 0, v7
	v_frexp_mant_f32_e64 v27, |v9|
	v_trunc_f32_e32 v25, v8
	s_xor_b32 s13, s13, s28
	v_cmp_lt_f32_e64 s29, |v10|, 1.0
	v_cndmask_b32_e32 v11, 1.0, v11, vcc_lo
	v_cmp_neq_f32_e32 vcc_lo, 0, v8
	v_frexp_mant_f32_e64 v28, |v10|
	v_cmp_eq_f32_e64 s0, 0, v10
	s_xor_b32 s14, s14, s29
	v_frexp_mant_f32_e64 v30, |v11|
	v_cndmask_b32_e32 v12, 1.0, v12, vcc_lo
	v_cmp_eq_f32_e32 vcc_lo, 0, v9
	v_cmp_lt_f32_e64 s30, |v11|, 1.0
	v_mul_f32_e32 v26, 0.5, v8
	v_cmp_eq_f32_e64 s3, v13, v5
	v_trunc_f32_e32 v13, v14
	s_xor_b32 s9, s9, vcc_lo
	v_trunc_f32_e32 v31, v24
	v_frexp_mant_f32_e64 v32, |v12|
	v_cmp_gt_f32_e64 s12, 0x3f2aaaab, v27
	v_cndmask_b32_e64 v34, 0x7f800000, 0, s13
	v_cndmask_b32_e64 v35, 0x7f800000, 0, s9
	v_cmp_gt_f32_e64 s13, 0x3f2aaaab, v28
	v_cmp_neq_f32_e64 s9, v29, v23
	v_cndmask_b32_e64 v23, 0x7f800000, 0, s14
	v_cmp_gt_f32_e64 s14, 0x3f2aaaab, v30
	v_cvt_f64_f32_e64 v[15:16], |v9|
	v_cvt_f64_f32_e64 v[17:18], |v10|
	v_cmp_eq_f32_e64 s4, v19, v6
	v_cvt_f64_f32_e64 v[19:20], |v11|
	v_cmp_eq_f32_e64 s5, v21, v7
	v_cvt_f64_f32_e64 v[21:22], |v12|
	v_cmp_gt_f32_e64 s11, 0, v7
	v_cmp_eq_f32_e64 s1, 0, v11
	s_xor_b32 s10, s10, s0
	s_xor_b32 s15, s15, s30
	v_cmp_eq_f32_e64 s6, v25, v8
	v_trunc_f32_e32 v25, v26
	v_cndmask_b32_e64 v33, 1.0, 2.0, s12
	v_cmp_neq_f32_e64 s8, v13, v14
	v_cndmask_b32_e64 v36, 1.0, 2.0, s13
	v_cndmask_b32_e64 v14, 0x7f800000, 0, s10
	v_cndmask_b32_e64 v29, 1.0, 2.0, s14
	v_cmp_neq_f32_e64 s10, v31, v24
	v_cndmask_b32_e64 v24, 0x7f800000, 0, s15
	v_cmp_gt_f32_e64 s15, 0x3f2aaaab, v32
	s_xor_b32 s11, s11, s1
	v_cmp_gt_f32_e64 s7, 0, v8
	v_cndmask_b32_e64 v13, 0x7f800000, 0, s11
	v_cmp_neq_f32_e64 s11, v25, v26
	v_cndmask_b32_e64 v31, 1.0, 2.0, s15
	v_mul_f32_e32 v25, v27, v33
	v_mul_f32_e32 v27, v28, v36
	v_mul_f32_e32 v28, v30, v29
	v_frexp_exp_i32_f64_e32 v15, v[15:16]
	v_mul_f32_e32 v29, v32, v31
	v_add_f32_e32 v31, 1.0, v25
	v_add_f32_e32 v33, 1.0, v27
	;; [unrolled: 1-line block ×3, first 2 shown]
	v_frexp_exp_i32_f64_e32 v17, v[17:18]
	v_add_f32_e32 v39, 1.0, v29
	v_rcp_f32_e32 v41, v31
	v_rcp_f32_e32 v43, v33
	;; [unrolled: 1-line block ×3, first 2 shown]
	v_frexp_exp_i32_f64_e32 v18, v[19:20]
	v_frexp_exp_i32_f64_e32 v19, v[21:22]
	v_add_f32_e32 v30, -1.0, v25
	v_add_f32_e32 v32, -1.0, v27
	;; [unrolled: 1-line block ×5, first 2 shown]
	v_rcp_f32_e32 v46, v39
	v_add_f32_e32 v38, -1.0, v29
	v_add_f32_e32 v44, -1.0, v37
	v_sub_f32_e32 v20, v25, v40
	v_sub_f32_e32 v21, v27, v42
	v_mul_f32_e32 v22, v30, v41
	v_mul_f32_e32 v25, v32, v43
	;; [unrolled: 1-line block ×3, first 2 shown]
	v_add_f32_e32 v16, -1.0, v39
	v_sub_f32_e32 v28, v28, v44
	v_mul_f32_e32 v40, v38, v46
	v_mul_f32_e32 v42, v31, v22
	;; [unrolled: 1-line block ×4, first 2 shown]
	v_sub_f32_e32 v16, v29, v16
	v_mul_f32_e32 v48, v39, v40
	v_fma_f32 v29, v22, v31, -v42
	v_fma_f32 v31, v25, v33, -v44
	;; [unrolled: 1-line block ×3, first 2 shown]
	v_subrev_co_ci_u32_e64 v15, null, 0, v15, s12
	v_fma_f32 v37, v40, v39, -v48
	v_subrev_co_ci_u32_e64 v17, null, 0, v17, s13
	v_subrev_co_ci_u32_e64 v18, null, 0, v18, s14
	;; [unrolled: 1-line block ×3, first 2 shown]
	v_fmac_f32_e32 v29, v22, v20
	v_fmac_f32_e32 v31, v25, v21
	;; [unrolled: 1-line block ×4, first 2 shown]
	v_cvt_f32_i32_e32 v15, v15
	v_cvt_f32_i32_e32 v16, v17
	;; [unrolled: 1-line block ×4, first 2 shown]
	v_add_f32_e32 v19, v42, v29
	v_add_f32_e32 v20, v44, v31
	;; [unrolled: 1-line block ×4, first 2 shown]
	v_mul_f32_e32 v39, 0x3f317218, v15
	v_mul_f32_e32 v49, 0x3f317218, v16
	;; [unrolled: 1-line block ×3, first 2 shown]
	v_sub_f32_e32 v52, v30, v19
	v_sub_f32_e32 v53, v32, v20
	;; [unrolled: 1-line block ×3, first 2 shown]
	v_mul_f32_e32 v51, 0x3f317218, v18
	v_sub_f32_e32 v42, v19, v42
	v_sub_f32_e32 v44, v20, v44
	;; [unrolled: 1-line block ×4, first 2 shown]
	v_fma_f32 v56, 0x3f317218, v15, -v39
	v_fma_f32 v57, 0x3f317218, v16, -v49
	;; [unrolled: 1-line block ×3, first 2 shown]
	v_sub_f32_e32 v30, v30, v52
	v_sub_f32_e32 v32, v32, v53
	;; [unrolled: 1-line block ×4, first 2 shown]
	v_fma_f32 v59, 0x3f317218, v18, -v51
	v_sub_f32_e32 v29, v42, v29
	v_sub_f32_e32 v31, v44, v31
	;; [unrolled: 1-line block ×4, first 2 shown]
	v_fmac_f32_e32 v56, 0xb102e308, v15
	v_fmac_f32_e32 v57, 0xb102e308, v16
	;; [unrolled: 1-line block ×3, first 2 shown]
	v_sub_f32_e32 v15, v30, v19
	v_sub_f32_e32 v16, v32, v20
	;; [unrolled: 1-line block ×4, first 2 shown]
	v_fmac_f32_e32 v59, 0xb102e308, v18
	v_sub_f32_e32 v18, v38, v28
	v_add_f32_e32 v15, v29, v15
	v_add_f32_e32 v16, v31, v16
	;; [unrolled: 1-line block ×8, first 2 shown]
	v_sub_f32_e32 v21, v19, v39
	v_add_f32_e32 v18, v55, v18
	v_mul_f32_e32 v15, v41, v15
	v_mul_f32_e32 v16, v43, v16
	;; [unrolled: 1-line block ×3, first 2 shown]
	v_add_f32_e32 v20, v49, v57
	v_mul_f32_e32 v18, v46, v18
	v_add_f32_e32 v28, v22, v15
	v_add_f32_e32 v30, v25, v16
	;; [unrolled: 1-line block ×3, first 2 shown]
	v_sub_f32_e32 v29, v20, v49
	v_add_f32_e32 v32, v40, v18
	v_sub_f32_e32 v22, v28, v22
	v_sub_f32_e32 v25, v30, v25
	v_sub_f32_e32 v27, v31, v27
	v_mul_f32_e32 v33, v28, v28
	v_mul_f32_e32 v36, v30, v30
	;; [unrolled: 1-line block ×3, first 2 shown]
	v_sub_f32_e32 v38, v32, v40
	v_sub_f32_e32 v15, v15, v22
	;; [unrolled: 1-line block ×4, first 2 shown]
	v_mul_f32_e32 v39, v32, v32
	v_fma_f32 v22, v28, v28, -v33
	v_fma_f32 v25, v30, v30, -v36
	;; [unrolled: 1-line block ×3, first 2 shown]
	v_sub_f32_e32 v18, v18, v38
	v_add_f32_e32 v38, v15, v15
	v_add_f32_e32 v41, v16, v16
	;; [unrolled: 1-line block ×3, first 2 shown]
	v_fma_f32 v40, v32, v32, -v39
	v_add_f32_e32 v43, v18, v18
	v_fmac_f32_e32 v22, v28, v38
	v_fmac_f32_e32 v25, v30, v41
	;; [unrolled: 1-line block ×3, first 2 shown]
	v_sub_f32_e32 v21, v56, v21
	v_fmac_f32_e32 v40, v32, v43
	v_add_f32_e32 v38, v33, v22
	v_add_f32_e32 v41, v36, v25
	v_add_f32_e32 v42, v37, v27
	v_sub_f32_e32 v29, v57, v29
	v_add_f32_e32 v43, v39, v40
	v_fmaak_f32 v44, s22, v38, 0x3e91f4c4
	v_fmaak_f32 v46, s22, v41, 0x3e91f4c4
	;; [unrolled: 1-line block ×3, first 2 shown]
	v_sub_f32_e32 v33, v38, v33
	v_mul_f32_e32 v45, v28, v38
	v_sub_f32_e32 v36, v41, v36
	v_mul_f32_e32 v47, v30, v41
	;; [unrolled: 2-line block ×3, first 2 shown]
	v_fmaak_f32 v52, s22, v43, 0x3e91f4c4
	v_fmaak_f32 v44, v38, v44, 0x3ecccdef
	;; [unrolled: 1-line block ×4, first 2 shown]
	v_sub_f32_e32 v39, v43, v39
	v_mul_f32_e32 v53, v32, v43
	v_sub_f32_e32 v22, v22, v33
	v_fma_f32 v33, v38, v28, -v45
	v_sub_f32_e32 v25, v25, v36
	v_fma_f32 v36, v41, v30, -v47
	;; [unrolled: 2-line block ×3, first 2 shown]
	v_fmaak_f32 v52, v43, v52, 0x3ecccdef
	v_mul_f32_e32 v54, v38, v44
	v_mul_f32_e32 v55, v41, v46
	;; [unrolled: 1-line block ×3, first 2 shown]
	v_sub_f32_e32 v39, v40, v39
	v_fma_f32 v40, v43, v32, -v53
	v_fmac_f32_e32 v33, v38, v15
	v_fmac_f32_e32 v36, v41, v16
	;; [unrolled: 1-line block ×3, first 2 shown]
	v_mul_f32_e32 v57, v43, v52
	v_fma_f32 v38, v38, v44, -v54
	v_fma_f32 v41, v41, v46, -v55
	;; [unrolled: 1-line block ×3, first 2 shown]
	v_fmac_f32_e32 v40, v43, v18
	v_fma_f32 v43, v43, v52, -v57
	v_fmac_f32_e32 v38, v22, v44
	v_fmac_f32_e32 v41, v25, v46
	;; [unrolled: 1-line block ×5, first 2 shown]
	v_add_f32_e32 v27, v54, v38
	v_fmac_f32_e32 v43, v39, v52
	v_add_f32_e32 v39, v55, v41
	v_add_f32_e32 v46, v56, v42
	v_fmac_f32_e32 v33, v22, v28
	v_sub_f32_e32 v48, v27, v54
	v_add_f32_e32 v52, 0x3f2aaaaa, v27
	v_sub_f32_e32 v54, v39, v55
	v_add_f32_e32 v55, 0x3f2aaaaa, v39
	v_sub_f32_e32 v56, v46, v56
	v_sub_f32_e32 v38, v38, v48
	v_add_f32_e32 v48, 0xbf2aaaaa, v52
	v_sub_f32_e32 v41, v41, v54
	v_add_f32_e32 v54, v57, v43
	;; [unrolled: 2-line block ×4, first 2 shown]
	v_add_f32_e32 v38, 0x31739010, v38
	v_add_f32_e32 v41, 0x31739010, v41
	v_sub_f32_e32 v39, v39, v56
	v_fmac_f32_e32 v36, v25, v30
	v_sub_f32_e32 v57, v54, v57
	v_add_f32_e32 v56, 0x3f2aaaaa, v54
	v_add_f32_e32 v27, v38, v27
	;; [unrolled: 1-line block ×6, first 2 shown]
	v_sub_f32_e32 v43, v43, v57
	v_add_f32_e32 v57, 0xbf2aaaaa, v56
	v_add_f32_e32 v41, 0x31739010, v42
	;; [unrolled: 1-line block ×3, first 2 shown]
	v_sub_f32_e32 v38, v46, v38
	v_add_f32_e32 v46, v55, v39
	v_add_f32_e32 v43, 0x31739010, v43
	v_sub_f32_e32 v54, v54, v57
	v_sub_f32_e32 v52, v52, v42
	v_mul_f32_e32 v57, v22, v42
	v_add_f32_e32 v38, v41, v38
	v_sub_f32_e32 v41, v55, v46
	v_mul_f32_e32 v55, v44, v46
	v_add_f32_e32 v25, v49, v37
	v_add_f32_e32 v27, v27, v52
	v_fma_f32 v52, v22, v42, -v57
	v_add_f32_e32 v43, v43, v54
	v_add_f32_e32 v54, v48, v38
	;; [unrolled: 1-line block ×3, first 2 shown]
	v_fma_f32 v41, v44, v46, -v55
	v_sub_f32_e32 v45, v22, v45
	v_fmac_f32_e32 v52, v22, v27
	v_add_f32_e32 v22, v56, v43
	v_add_f32_e32 v27, v53, v40
	v_sub_f32_e32 v48, v48, v54
	v_fmac_f32_e32 v41, v44, v39
	v_mul_f32_e32 v39, v25, v54
	v_sub_f32_e32 v56, v56, v22
	v_sub_f32_e32 v44, v44, v47
	v_mul_f32_e32 v47, v27, v22
	v_add_f32_e32 v38, v38, v48
	v_fma_f32 v48, v25, v54, -v39
	v_add_f32_e32 v43, v43, v56
	v_sub_f32_e32 v49, v25, v49
	v_sub_f32_e32 v33, v33, v45
	;; [unrolled: 1-line block ×3, first 2 shown]
	v_fmac_f32_e32 v48, v25, v38
	v_fma_f32 v25, v27, v22, -v47
	v_sub_f32_e32 v37, v37, v49
	v_fmac_f32_e32 v52, v33, v42
	v_ldexp_f32 v28, v28, 1
	v_fmac_f32_e32 v41, v36, v46
	v_fmac_f32_e32 v25, v27, v43
	v_sub_f32_e32 v27, v27, v53
	v_ldexp_f32 v30, v30, 1
	v_fmac_f32_e32 v48, v37, v54
	v_ldexp_f32 v31, v31, 1
	v_ldexp_f32 v32, v32, 1
	v_sub_f32_e32 v27, v40, v27
	v_ldexp_f32 v15, v15, 1
	v_add_f32_e32 v33, v39, v48
	v_ldexp_f32 v16, v16, 1
	v_ldexp_f32 v17, v17, 1
	v_fmac_f32_e32 v25, v27, v22
	v_add_f32_e32 v22, v57, v52
	v_add_f32_e32 v27, v55, v41
	v_sub_f32_e32 v39, v33, v39
	v_ldexp_f32 v18, v18, 1
	v_add_f32_e32 v36, v47, v25
	v_sub_f32_e32 v37, v22, v57
	v_add_f32_e32 v42, v28, v22
	v_sub_f32_e32 v46, v27, v55
	v_add_f32_e32 v54, v30, v27
	v_add_f32_e32 v55, v31, v33
	v_sub_f32_e32 v37, v52, v37
	v_sub_f32_e32 v28, v42, v28
	v_sub_f32_e32 v47, v36, v47
	v_add_f32_e32 v57, v32, v36
	v_sub_f32_e32 v41, v41, v46
	v_sub_f32_e32 v30, v54, v30
	v_sub_f32_e32 v22, v22, v28
	v_add_f32_e32 v15, v15, v37
	v_sub_f32_e32 v39, v48, v39
	v_sub_f32_e32 v31, v55, v31
	v_sub_f32_e32 v25, v25, v47
	v_sub_f32_e32 v32, v57, v32
	v_sub_f32_e32 v27, v27, v30
	v_add_f32_e32 v16, v16, v41
	v_add_f32_e32 v15, v15, v22
	v_sub_f32_e32 v28, v33, v31
	v_add_f32_e32 v17, v17, v39
	v_sub_f32_e32 v30, v36, v32
	v_add_f32_e32 v18, v18, v25
	v_add_f32_e32 v16, v16, v27
	;; [unrolled: 1-line block ×7, first 2 shown]
	v_sub_f32_e32 v32, v25, v42
	v_add_f32_e32 v33, v19, v25
	v_add_f32_e32 v49, v51, v59
	;; [unrolled: 1-line block ×4, first 2 shown]
	v_sub_f32_e32 v36, v28, v54
	v_add_f32_e32 v37, v20, v28
	v_sub_f32_e32 v15, v15, v32
	v_sub_f32_e32 v32, v33, v19
	;; [unrolled: 1-line block ×4, first 2 shown]
	v_add_f32_e32 v41, v44, v30
	v_sub_f32_e32 v42, v31, v57
	v_add_f32_e32 v46, v49, v31
	v_sub_f32_e32 v16, v16, v36
	v_sub_f32_e32 v36, v37, v20
	;; [unrolled: 1-line block ×4, first 2 shown]
	v_add_f32_e32 v32, v21, v15
	v_sub_f32_e32 v51, v49, v51
	v_sub_f32_e32 v22, v58, v50
	;; [unrolled: 1-line block ×8, first 2 shown]
	v_add_f32_e32 v36, v29, v16
	v_sub_f32_e32 v19, v19, v47
	v_sub_f32_e32 v47, v32, v21
	;; [unrolled: 1-line block ×5, first 2 shown]
	v_add_f32_e32 v39, v22, v17
	v_sub_f32_e32 v51, v46, v42
	v_sub_f32_e32 v20, v20, v48
	;; [unrolled: 1-line block ×3, first 2 shown]
	v_add_f32_e32 v19, v25, v19
	v_sub_f32_e32 v25, v32, v47
	v_sub_f32_e32 v31, v31, v42
	v_sub_f32_e32 v44, v44, v50
	v_sub_f32_e32 v50, v39, v22
	v_sub_f32_e32 v49, v49, v51
	v_sub_f32_e32 v15, v15, v47
	v_add_f32_e32 v20, v28, v20
	v_sub_f32_e32 v28, v36, v48
	v_sub_f32_e32 v21, v21, v25
	v_add_f32_e32 v19, v32, v19
	v_add_f32_e32 v42, v27, v18
	v_sub_f32_e32 v16, v16, v48
	v_add_f32_e32 v30, v30, v44
	v_sub_f32_e32 v44, v39, v50
	;; [unrolled: 2-line block ×3, first 2 shown]
	v_add_f32_e32 v20, v36, v20
	v_add_f32_e32 v15, v15, v21
	;; [unrolled: 1-line block ×3, first 2 shown]
	v_sub_f32_e32 v51, v42, v27
	v_sub_f32_e32 v17, v17, v50
	;; [unrolled: 1-line block ×3, first 2 shown]
	v_add_f32_e32 v28, v39, v30
	v_add_f32_e32 v29, v42, v31
	;; [unrolled: 1-line block ×4, first 2 shown]
	v_sub_f32_e32 v32, v21, v33
	v_sub_f32_e32 v47, v42, v51
	v_add_f32_e32 v30, v41, v28
	v_add_f32_e32 v31, v46, v29
	;; [unrolled: 1-line block ×3, first 2 shown]
	v_sub_f32_e32 v22, v25, v37
	v_sub_f32_e32 v19, v19, v32
	;; [unrolled: 1-line block ×7, first 2 shown]
	v_add_f32_e32 v15, v15, v19
	v_add_f32_e32 v18, v18, v27
	v_sub_f32_e32 v22, v28, v33
	v_sub_f32_e32 v27, v29, v36
	v_add_f32_e32 v16, v16, v20
	v_add_f32_e32 v20, v21, v15
	v_cmp_eq_f32_e64 s2, 0, v12
	v_add_f32_e32 v17, v17, v22
	v_add_f32_e32 v18, v18, v27
	;; [unrolled: 1-line block ×3, first 2 shown]
	v_sub_f32_e32 v21, v20, v21
	v_mul_f32_e32 v32, v5, v20
	v_add_f32_e32 v28, v30, v17
	v_add_f32_e32 v29, v31, v18
	v_sub_f32_e32 v25, v27, v25
	v_mul_f32_e32 v33, v6, v27
	v_sub_f32_e32 v15, v15, v21
	v_fma_f32 v20, v5, v20, -v32
	v_sub_f32_e32 v30, v28, v30
	v_mul_f32_e32 v36, v7, v28
	v_sub_f32_e32 v31, v29, v31
	v_mul_f32_e32 v37, v8, v29
	v_sub_f32_e32 v16, v16, v25
	v_fma_f32 v21, v6, v27, -v33
	v_fmac_f32_e32 v20, v5, v15
	s_xor_b32 s7, s7, s2
	v_sub_f32_e32 v17, v17, v30
	v_cndmask_b32_e64 v56, 0x7f800000, 0, s7
	s_and_b32 s7, s3, s8
	v_fma_f32 v25, v7, v28, -v36
	v_cndmask_b32_e64 v38, 1.0, v9, s7
	v_cndmask_b32_e64 v40, 0, v9, s7
	v_sub_f32_e32 v18, v18, v31
	v_fma_f32 v27, v8, v29, -v37
	v_fmac_f32_e32 v21, v6, v16
	v_add_f32_e32 v16, v32, v20
	v_cmp_class_f32_e64 s7, v32, 0x204
	v_fmac_f32_e32 v25, v7, v17
	v_fmac_f32_e32 v27, v8, v18
	v_add_f32_e32 v18, v33, v21
	v_sub_f32_e32 v30, v16, v32
	v_cndmask_b32_e64 v16, v16, v32, s7
	v_cmp_class_f32_e64 s7, v33, 0x204
	v_add_f32_e32 v28, v36, v25
	v_sub_f32_e32 v31, v18, v33
	v_add_f32_e32 v29, v37, v27
	v_sub_f32_e32 v20, v20, v30
	v_cndmask_b32_e64 v18, v18, v33, s7
	v_cmp_class_f32_e64 s7, v36, 0x204
	v_sub_f32_e32 v32, v28, v36
	v_sub_f32_e32 v33, v29, v37
	;; [unrolled: 1-line block ×3, first 2 shown]
	v_bfi_b32 v17, 0x7fffffff, v35, v40
	v_cndmask_b32_e64 v28, v28, v36, s7
	v_cmp_class_f32_e64 s7, v37, 0x204
	v_sub_f32_e32 v25, v25, v32
	v_sub_f32_e32 v27, v27, v33
	v_cmp_neq_f32_e64 s8, |v9|, 1.0
	v_cmp_neq_f32_e64 s27, v8, |v8|
	v_cndmask_b32_e64 v29, v29, v37, s7
	v_cmp_eq_f32_e64 s7, 0x42b17218, v16
	v_cmp_lt_f32_e64 s31, |v12|, 1.0
	v_cndmask_b32_e64 v34, 1.0, v34, s8
	s_and_b32 s8, s4, s9
	v_cmp_neq_f32_e64 s9, |v10|, 1.0
	v_cndmask_b32_e64 v30, 0, 0x37000000, s7
	v_cmp_eq_f32_e64 s7, 0x42b17218, v18
	v_cndmask_b32_e64 v19, 0, v10, s8
	v_cndmask_b32_e64 v43, 1.0, v10, s8
	v_cndmask_b32_e64 v23, 1.0, v23, s9
	s_and_b32 s9, s5, s10
	v_cndmask_b32_e64 v31, 0, 0x37000000, s7
	v_cmp_eq_f32_e64 s7, 0x42b17218, v28
	v_bfi_b32 v14, 0x7fffffff, v14, v19
	v_cmp_neq_f32_e64 s10, |v11|, 1.0
	v_cndmask_b32_e64 v53, 1.0, v11, s9
	v_cndmask_b32_e64 v22, 0, v11, s9
	v_cndmask_b32_e64 v32, 0, 0x37000000, s7
	v_cmp_eq_f32_e64 s7, 0x42b17218, v29
	v_cndmask_b32_e64 v24, 1.0, v24, s10
	s_and_b32 s10, s6, s11
	v_bfi_b32 v13, 0x7fffffff, v13, v22
	v_cndmask_b32_e64 v45, 1.0, v12, s10
	v_cndmask_b32_e64 v33, 0, 0x37000000, s7
	v_cmp_neq_f32_e64 s7, 0x7f800000, |v16|
	v_sub_f32_e32 v16, v16, v30
	s_xor_b32 s27, s27, s31
	v_cmp_neq_f32_e64 s11, |v12|, 1.0
	v_sub_f32_e32 v35, v29, v33
	v_cndmask_b32_e64 v20, 0, v20, s7
	v_cmp_neq_f32_e64 s7, 0x7f800000, |v18|
	v_sub_f32_e32 v18, v18, v31
	v_mul_f32_e32 v36, 0x3fb8aa3b, v16
	v_mul_f32_e32 v39, 0x3fb8aa3b, v35
	v_add_f32_e32 v20, v30, v20
	v_cndmask_b32_e64 v21, 0, v21, s7
	v_cmp_neq_f32_e64 s7, 0x7f800000, |v28|
	v_sub_f32_e32 v28, v28, v32
	v_fma_f32 v40, 0x3fb8aa3b, v16, -v36
	v_rndne_f32_e32 v41, v36
	v_fma_f32 v48, 0x3fb8aa3b, v35, -v39
	v_cndmask_b32_e64 v25, 0, v25, s7
	v_cmp_neq_f32_e64 s7, 0x7f800000, |v29|
	v_mul_f32_e32 v29, 0x3fb8aa3b, v18
	v_mul_f32_e32 v37, 0x3fb8aa3b, v28
	v_fmac_f32_e32 v40, 0x32a5705f, v16
	v_sub_f32_e32 v36, v36, v41
	v_rndne_f32_e32 v49, v39
	v_fma_f32 v42, 0x3fb8aa3b, v18, -v29
	v_rndne_f32_e32 v44, v29
	v_fma_f32 v46, 0x3fb8aa3b, v28, -v37
	v_rndne_f32_e32 v47, v37
	v_add_f32_e32 v30, v36, v40
	v_fmac_f32_e32 v42, 0x32a5705f, v18
	v_sub_f32_e32 v29, v29, v44
	v_fmac_f32_e32 v46, 0x32a5705f, v28
	v_sub_f32_e32 v37, v37, v47
	;; [unrolled: 2-line block ×3, first 2 shown]
	v_add_f32_e32 v29, v29, v42
	v_exp_f32_e32 v30, v30
	v_add_f32_e32 v36, v37, v46
	v_add_f32_e32 v25, v32, v25
	;; [unrolled: 1-line block ×3, first 2 shown]
	v_exp_f32_e32 v29, v29
	v_cvt_i32_f32_e32 v32, v41
	v_cndmask_b32_e64 v27, 0, v27, s7
	v_add_f32_e32 v21, v31, v21
	v_exp_f32_e32 v31, v36
	v_exp_f32_e32 v36, v37
	v_cvt_i32_f32_e32 v37, v44
	v_ldexp_f32 v30, v30, v32
	v_cmp_ngt_f32_e64 s7, 0xc2ce8ed0, v16
	v_cvt_i32_f32_e32 v39, v47
	v_cvt_i32_f32_e32 v40, v49
	v_ldexp_f32 v29, v29, v37
	v_add_f32_e32 v27, v33, v27
	v_cndmask_b32_e64 v30, 0, v30, s7
	v_cmp_ngt_f32_e64 s7, 0xc2ce8ed0, v18
	v_ldexp_f32 v31, v31, v39
	v_ldexp_f32 v32, v36, v40
	v_cndmask_b32_e64 v26, 0x7f800000, 0, s27
	v_cmp_class_f32_e64 s23, v9, 0x204
	v_cndmask_b32_e64 v29, 0, v29, s7
	v_cmp_ngt_f32_e64 s7, 0xc2ce8ed0, v28
	v_cmp_class_f32_e64 s24, v10, 0x204
	v_cndmask_b32_e64 v26, 1.0, v26, s11
	v_cndmask_b32_e64 v15, 0, v12, s10
	v_cmp_class_f32_e64 s25, v11, 0x204
	v_cndmask_b32_e64 v31, 0, v31, s7
	v_cmp_ngt_f32_e64 s7, 0xc2ce8ed0, v35
	s_or_b32 vcc_lo, vcc_lo, s23
	v_cmp_class_f32_e64 s26, v12, 0x204
	v_bfi_b32 v15, 0x7fffffff, v56, v15
	v_cndmask_b32_e64 v32, 0, v32, s7
	v_cmp_nlt_f32_e64 s7, 0x42b17218, v16
	v_cndmask_b32_e64 v16, 0x7f800000, v30, s7
	v_cmp_nlt_f32_e64 s7, 0x42b17218, v18
	v_fma_f32 v19, v16, v20, v16
	v_cndmask_b32_e64 v18, 0x7f800000, v29, s7
	v_cmp_nlt_f32_e64 s7, 0x42b17218, v28
	v_fma_f32 v20, v18, v21, v18
	;; [unrolled: 3-line block ×3, first 2 shown]
	v_cndmask_b32_e64 v29, 0x7f800000, v32, s7
	v_cmp_class_f32_e64 s7, v16, 0x204
	v_fma_f32 v25, v29, v27, v29
	v_cndmask_b32_e64 v16, v19, v16, s7
	v_cmp_class_f32_e64 s7, v18, 0x204
	v_bfi_b32 v16, 0x7fffffff, v16, v38
	v_cndmask_b32_e64 v18, v20, v18, s7
	v_cmp_class_f32_e64 s7, v28, 0x204
	v_bfi_b32 v18, 0x7fffffff, v18, v43
	v_cndmask_b32_e64 v19, v21, v28, s7
	v_cmp_class_f32_e64 s7, v29, 0x204
	v_cndmask_b32_e64 v21, 0x7fc00000, v16, s3
	v_cmp_gt_f32_e64 s3, 0, v9
	v_cndmask_b32_e64 v22, 0x7fc00000, v18, s4
	v_bfi_b32 v19, 0x7fffffff, v19, v53
	v_cndmask_b32_e64 v20, v25, v29, s7
	v_cndmask_b32_e64 v16, v16, v21, s3
	v_cmp_gt_f32_e64 s3, 0, v10
	v_cndmask_b32_e64 v25, 0x7fc00000, v19, s5
	v_bfi_b32 v20, 0x7fffffff, v20, v45
	v_cndmask_b32_e64 v18, v18, v22, s3
	v_cmp_gt_f32_e64 s3, 0, v11
	v_cndmask_b32_e64 v27, 0x7fc00000, v20, s6
	v_cndmask_b32_e64 v19, v19, v25, s3
	v_cmp_gt_f32_e64 s3, 0, v12
	v_cndmask_b32_e64 v20, v20, v27, s3
	v_cmp_class_f32_e64 s3, v5, 0x204
	v_cndmask_b32_e64 v16, v16, v34, s3
	v_cmp_class_f32_e64 s3, v6, 0x204
	v_cndmask_b32_e32 v16, v16, v17, vcc_lo
	v_cndmask_b32_e64 v18, v18, v23, s3
	v_cmp_class_f32_e64 s3, v7, 0x204
	s_or_b32 vcc_lo, s0, s24
	v_cndmask_b32_e32 v14, v18, v14, vcc_lo
	v_cndmask_b32_e64 v19, v19, v24, s3
	v_cmp_class_f32_e64 s3, v8, 0x204
	s_or_b32 vcc_lo, s1, s25
	v_cndmask_b32_e32 v13, v19, v13, vcc_lo
	v_cndmask_b32_e64 v20, v20, v26, s3
	s_or_b32 vcc_lo, s2, s26
	v_cndmask_b32_e32 v15, v20, v15, vcc_lo
	v_cmp_o_f32_e32 vcc_lo, v9, v5
	v_cndmask_b32_e32 v5, 0x7fc00000, v16, vcc_lo
	v_cmp_o_f32_e32 vcc_lo, v10, v6
	v_cvt_f16_f32_e32 v9, v5
	v_cndmask_b32_e32 v6, 0x7fc00000, v14, vcc_lo
	v_cmp_o_f32_e32 vcc_lo, v11, v7
	v_cvt_f16_f32_e32 v10, v6
	;; [unrolled: 3-line block ×3, first 2 shown]
	v_cndmask_b32_e32 v8, 0x7fc00000, v15, vcc_lo
	v_add_co_u32 v0, vcc_lo, v0, s19
	v_add_co_ci_u32_e64 v1, null, 0, v1, vcc_lo
	v_cvt_f16_f32_e32 v8, v8
	v_pack_b32_f16 v7, v9, v10
	v_lshlrev_b64 v[5:6], 2, v[0:1]
	v_pack_b32_f16 v8, v11, v8
	v_cmp_le_i64_e32 vcc_lo, s[16:17], v[5:6]
	global_store_dwordx2 v[2:3], v[7:8], off offset:-4
	v_add_co_u32 v2, s0, v2, s21
	v_add_co_ci_u32_e64 v3, null, 0, v3, s0
	s_or_b32 s18, vcc_lo, s18
	s_andn2_b32 exec_lo, exec_lo, s18
	s_cbranch_execnz .LBB83_24
.LBB83_25:
	s_endpgm
	.section	.rodata,"a",@progbits
	.p2align	6, 0x0
	.amdhsa_kernel _ZN2at6native12_GLOBAL__N_125multi_tensor_apply_kernelINS1_28TensorListScalarListMetadataIfLi1EEENS1_25BinaryOpScalarListFunctorIN3c104HalfELi1ELi1ELi0EEEJNS1_13power_functorIfEEEEEvT_T0_DpT1_
		.amdhsa_group_segment_fixed_size 0
		.amdhsa_private_segment_fixed_size 0
		.amdhsa_kernarg_size 3784
		.amdhsa_user_sgpr_count 6
		.amdhsa_user_sgpr_private_segment_buffer 1
		.amdhsa_user_sgpr_dispatch_ptr 0
		.amdhsa_user_sgpr_queue_ptr 0
		.amdhsa_user_sgpr_kernarg_segment_ptr 1
		.amdhsa_user_sgpr_dispatch_id 0
		.amdhsa_user_sgpr_flat_scratch_init 0
		.amdhsa_user_sgpr_private_segment_size 0
		.amdhsa_wavefront_size32 1
		.amdhsa_uses_dynamic_stack 0
		.amdhsa_system_sgpr_private_segment_wavefront_offset 0
		.amdhsa_system_sgpr_workgroup_id_x 1
		.amdhsa_system_sgpr_workgroup_id_y 0
		.amdhsa_system_sgpr_workgroup_id_z 0
		.amdhsa_system_sgpr_workgroup_info 0
		.amdhsa_system_vgpr_workitem_id 0
		.amdhsa_next_free_vgpr 60
		.amdhsa_next_free_sgpr 32
		.amdhsa_reserve_vcc 1
		.amdhsa_reserve_flat_scratch 0
		.amdhsa_float_round_mode_32 0
		.amdhsa_float_round_mode_16_64 0
		.amdhsa_float_denorm_mode_32 3
		.amdhsa_float_denorm_mode_16_64 3
		.amdhsa_dx10_clamp 1
		.amdhsa_ieee_mode 1
		.amdhsa_fp16_overflow 0
		.amdhsa_workgroup_processor_mode 1
		.amdhsa_memory_ordered 1
		.amdhsa_forward_progress 1
		.amdhsa_shared_vgpr_count 0
		.amdhsa_exception_fp_ieee_invalid_op 0
		.amdhsa_exception_fp_denorm_src 0
		.amdhsa_exception_fp_ieee_div_zero 0
		.amdhsa_exception_fp_ieee_overflow 0
		.amdhsa_exception_fp_ieee_underflow 0
		.amdhsa_exception_fp_ieee_inexact 0
		.amdhsa_exception_int_div_zero 0
	.end_amdhsa_kernel
	.section	.text._ZN2at6native12_GLOBAL__N_125multi_tensor_apply_kernelINS1_28TensorListScalarListMetadataIfLi1EEENS1_25BinaryOpScalarListFunctorIN3c104HalfELi1ELi1ELi0EEEJNS1_13power_functorIfEEEEEvT_T0_DpT1_,"axG",@progbits,_ZN2at6native12_GLOBAL__N_125multi_tensor_apply_kernelINS1_28TensorListScalarListMetadataIfLi1EEENS1_25BinaryOpScalarListFunctorIN3c104HalfELi1ELi1ELi0EEEJNS1_13power_functorIfEEEEEvT_T0_DpT1_,comdat
.Lfunc_end83:
	.size	_ZN2at6native12_GLOBAL__N_125multi_tensor_apply_kernelINS1_28TensorListScalarListMetadataIfLi1EEENS1_25BinaryOpScalarListFunctorIN3c104HalfELi1ELi1ELi0EEEJNS1_13power_functorIfEEEEEvT_T0_DpT1_, .Lfunc_end83-_ZN2at6native12_GLOBAL__N_125multi_tensor_apply_kernelINS1_28TensorListScalarListMetadataIfLi1EEENS1_25BinaryOpScalarListFunctorIN3c104HalfELi1ELi1ELi0EEEJNS1_13power_functorIfEEEEEvT_T0_DpT1_
                                        ; -- End function
	.set _ZN2at6native12_GLOBAL__N_125multi_tensor_apply_kernelINS1_28TensorListScalarListMetadataIfLi1EEENS1_25BinaryOpScalarListFunctorIN3c104HalfELi1ELi1ELi0EEEJNS1_13power_functorIfEEEEEvT_T0_DpT1_.num_vgpr, 60
	.set _ZN2at6native12_GLOBAL__N_125multi_tensor_apply_kernelINS1_28TensorListScalarListMetadataIfLi1EEENS1_25BinaryOpScalarListFunctorIN3c104HalfELi1ELi1ELi0EEEJNS1_13power_functorIfEEEEEvT_T0_DpT1_.num_agpr, 0
	.set _ZN2at6native12_GLOBAL__N_125multi_tensor_apply_kernelINS1_28TensorListScalarListMetadataIfLi1EEENS1_25BinaryOpScalarListFunctorIN3c104HalfELi1ELi1ELi0EEEJNS1_13power_functorIfEEEEEvT_T0_DpT1_.numbered_sgpr, 32
	.set _ZN2at6native12_GLOBAL__N_125multi_tensor_apply_kernelINS1_28TensorListScalarListMetadataIfLi1EEENS1_25BinaryOpScalarListFunctorIN3c104HalfELi1ELi1ELi0EEEJNS1_13power_functorIfEEEEEvT_T0_DpT1_.num_named_barrier, 0
	.set _ZN2at6native12_GLOBAL__N_125multi_tensor_apply_kernelINS1_28TensorListScalarListMetadataIfLi1EEENS1_25BinaryOpScalarListFunctorIN3c104HalfELi1ELi1ELi0EEEJNS1_13power_functorIfEEEEEvT_T0_DpT1_.private_seg_size, 0
	.set _ZN2at6native12_GLOBAL__N_125multi_tensor_apply_kernelINS1_28TensorListScalarListMetadataIfLi1EEENS1_25BinaryOpScalarListFunctorIN3c104HalfELi1ELi1ELi0EEEJNS1_13power_functorIfEEEEEvT_T0_DpT1_.uses_vcc, 1
	.set _ZN2at6native12_GLOBAL__N_125multi_tensor_apply_kernelINS1_28TensorListScalarListMetadataIfLi1EEENS1_25BinaryOpScalarListFunctorIN3c104HalfELi1ELi1ELi0EEEJNS1_13power_functorIfEEEEEvT_T0_DpT1_.uses_flat_scratch, 0
	.set _ZN2at6native12_GLOBAL__N_125multi_tensor_apply_kernelINS1_28TensorListScalarListMetadataIfLi1EEENS1_25BinaryOpScalarListFunctorIN3c104HalfELi1ELi1ELi0EEEJNS1_13power_functorIfEEEEEvT_T0_DpT1_.has_dyn_sized_stack, 0
	.set _ZN2at6native12_GLOBAL__N_125multi_tensor_apply_kernelINS1_28TensorListScalarListMetadataIfLi1EEENS1_25BinaryOpScalarListFunctorIN3c104HalfELi1ELi1ELi0EEEJNS1_13power_functorIfEEEEEvT_T0_DpT1_.has_recursion, 0
	.set _ZN2at6native12_GLOBAL__N_125multi_tensor_apply_kernelINS1_28TensorListScalarListMetadataIfLi1EEENS1_25BinaryOpScalarListFunctorIN3c104HalfELi1ELi1ELi0EEEJNS1_13power_functorIfEEEEEvT_T0_DpT1_.has_indirect_call, 0
	.section	.AMDGPU.csdata,"",@progbits
; Kernel info:
; codeLenInByte = 9048
; TotalNumSgprs: 34
; NumVgprs: 60
; ScratchSize: 0
; MemoryBound: 0
; FloatMode: 240
; IeeeMode: 1
; LDSByteSize: 0 bytes/workgroup (compile time only)
; SGPRBlocks: 0
; VGPRBlocks: 7
; NumSGPRsForWavesPerEU: 34
; NumVGPRsForWavesPerEU: 60
; Occupancy: 16
; WaveLimiterHint : 0
; COMPUTE_PGM_RSRC2:SCRATCH_EN: 0
; COMPUTE_PGM_RSRC2:USER_SGPR: 6
; COMPUTE_PGM_RSRC2:TRAP_HANDLER: 0
; COMPUTE_PGM_RSRC2:TGID_X_EN: 1
; COMPUTE_PGM_RSRC2:TGID_Y_EN: 0
; COMPUTE_PGM_RSRC2:TGID_Z_EN: 0
; COMPUTE_PGM_RSRC2:TIDIG_COMP_CNT: 0
	.section	.text._ZN2at6native12_GLOBAL__N_125multi_tensor_apply_kernelINS1_28TensorListScalarListMetadataIfLi1EEENS1_25BinaryOpScalarListFunctorIN3c108BFloat16ELi1ELi1ELi0EEEJNS1_13power_functorIfEEEEEvT_T0_DpT1_,"axG",@progbits,_ZN2at6native12_GLOBAL__N_125multi_tensor_apply_kernelINS1_28TensorListScalarListMetadataIfLi1EEENS1_25BinaryOpScalarListFunctorIN3c108BFloat16ELi1ELi1ELi0EEEJNS1_13power_functorIfEEEEEvT_T0_DpT1_,comdat
	.globl	_ZN2at6native12_GLOBAL__N_125multi_tensor_apply_kernelINS1_28TensorListScalarListMetadataIfLi1EEENS1_25BinaryOpScalarListFunctorIN3c108BFloat16ELi1ELi1ELi0EEEJNS1_13power_functorIfEEEEEvT_T0_DpT1_ ; -- Begin function _ZN2at6native12_GLOBAL__N_125multi_tensor_apply_kernelINS1_28TensorListScalarListMetadataIfLi1EEENS1_25BinaryOpScalarListFunctorIN3c108BFloat16ELi1ELi1ELi0EEEJNS1_13power_functorIfEEEEEvT_T0_DpT1_
	.p2align	8
	.type	_ZN2at6native12_GLOBAL__N_125multi_tensor_apply_kernelINS1_28TensorListScalarListMetadataIfLi1EEENS1_25BinaryOpScalarListFunctorIN3c108BFloat16ELi1ELi1ELi0EEEJNS1_13power_functorIfEEEEEvT_T0_DpT1_,@function
_ZN2at6native12_GLOBAL__N_125multi_tensor_apply_kernelINS1_28TensorListScalarListMetadataIfLi1EEENS1_25BinaryOpScalarListFunctorIN3c108BFloat16ELi1ELi1ELi0EEEJNS1_13power_functorIfEEEEEvT_T0_DpT1_: ; @_ZN2at6native12_GLOBAL__N_125multi_tensor_apply_kernelINS1_28TensorListScalarListMetadataIfLi1EEENS1_25BinaryOpScalarListFunctorIN3c108BFloat16ELi1ELi1ELi0EEEJNS1_13power_functorIfEEEEEvT_T0_DpT1_
; %bb.0:
	v_mov_b32_e32 v1, s6
	s_add_u32 s0, s4, s6
	s_mul_i32 s1, s6, 3
	s_mul_hi_u32 s2, s6, 3
	s_addc_u32 s3, s5, 0
	global_load_ubyte v1, v1, s[4:5] offset:1920
	s_add_u32 s0, s0, s1
	s_addc_u32 s1, s3, s2
	s_load_dword s0, s[0:1], 0x8c0
	s_waitcnt vmcnt(0)
	v_readfirstlane_b32 s1, v1
	v_lshlrev_b32_e32 v1, 2, v1
	s_lshl_b32 s6, s1, 3
	v_sub_co_u32 v1, s1, 0, v1
	v_sub_co_ci_u32_e64 v2, null, 0, 0, s1
	s_waitcnt lgkmcnt(0)
	s_ashr_i32 s1, s0, 31
	s_clause 0x1
	s_load_dwordx2 s[2:3], s[4:5], s6 offset:0x300
	s_load_dwordx2 s[8:9], s[4:5], s6 offset:0x0
	s_add_u32 s6, s4, s6
	s_addc_u32 s7, s5, 0
	v_add_co_u32 v1, vcc_lo, s6, v1
	v_add_co_ci_u32_e64 v2, null, s7, v2, vcc_lo
	s_lshl_b64 s[10:11], s[0:1], 17
	v_readfirstlane_b32 s6, v1
	s_lshl_b64 s[0:1], s[0:1], 16
	v_readfirstlane_b32 s7, v2
	s_load_dword s20, s[6:7], 0x600
	s_mov_b32 s7, 0
	s_waitcnt lgkmcnt(0)
	s_and_b32 s6, s8, 7
	s_sub_u32 s12, s2, s0
	s_subb_u32 s13, s3, s1
	s_and_b32 s0, s2, 3
	s_mov_b32 s1, s7
	s_or_b64 s[0:1], s[6:7], s[0:1]
	s_cmp_eq_u64 s[0:1], 0
	s_cbranch_scc1 .LBB84_21
; %bb.1:
	v_cmp_lt_i64_e64 s0, s[12:13], 1
	s_and_b32 vcc_lo, exec_lo, s0
	s_cbranch_vccnz .LBB84_20
; %bb.2:
	s_load_dword s0, s[4:5], 0xdd4
	v_cmp_gt_i64_e64 s1, 0x10000, s[12:13]
	v_cmp_gt_u64_e64 s2, 0x10000, s[12:13]
	v_lshlrev_b32_e32 v1, 1, v0
	v_mov_b32_e32 v11, 0x7fc0
	s_mov_b32 s23, 0x3e76c4e1
	s_and_b32 s1, s1, exec_lo
	s_cselect_b32 s15, s13, 0
	s_cselect_b32 s14, s12, 0x10000
	s_waitcnt lgkmcnt(0)
	s_and_b32 s0, s0, 0xffff
	s_and_b32 s1, s2, exec_lo
	v_add_co_u32 v5, s3, v0, s0
	s_cselect_b32 s17, s13, 0
	s_cselect_b32 s16, s12, 0x10000
	s_lshl_b32 s1, s0, 1
	v_lshlrev_b32_e32 v3, 1, v5
	s_mul_i32 s2, s0, 3
	s_lshl_b32 s7, s0, 2
	s_add_u32 s6, s8, s10
	v_add_co_u32 v6, s2, s2, v0
	v_add_co_u32 v9, s1, s1, v0
	s_addc_u32 s18, s9, s11
	v_add_co_ci_u32_e64 v7, null, 0, 0, s2
	v_add_co_u32 v1, s2, s6, v1
	v_add_co_ci_u32_e64 v10, null, 0, 0, s1
	v_add_co_u32 v3, s1, s6, v3
	v_add_co_ci_u32_e64 v2, null, s18, 0, s2
	v_add_co_ci_u32_e64 v8, null, 0, 0, s3
	;; [unrolled: 1-line block ×3, first 2 shown]
	s_lshl_b32 s21, s0, 3
	s_mul_i32 s22, s0, 6
	s_mov_b64 s[18:19], 0
	s_branch .LBB84_4
.LBB84_3:                               ;   in Loop: Header=BB84_4 Depth=1
	s_or_b32 exec_lo, exec_lo, s3
	s_add_u32 s18, s18, s7
	s_addc_u32 s19, s19, 0
	v_add_co_u32 v1, vcc_lo, v1, s21
	v_cmp_lt_i64_e64 s0, s[18:19], s[14:15]
	v_add_co_ci_u32_e64 v2, null, 0, v2, vcc_lo
	v_add_co_u32 v3, vcc_lo, v3, s21
	v_add_co_ci_u32_e64 v4, null, 0, v4, vcc_lo
	s_and_b32 vcc_lo, exec_lo, s0
	s_cbranch_vccz .LBB84_20
.LBB84_4:                               ; =>This Inner Loop Header: Depth=1
	v_add_co_u32 v12, s0, v0, s18
	v_add_co_ci_u32_e64 v13, null, 0, s19, s0
	v_mov_b32_e32 v15, 0
	v_cmp_gt_u64_e32 vcc_lo, s[16:17], v[12:13]
	s_and_saveexec_b32 s0, vcc_lo
	s_cbranch_execz .LBB84_6
; %bb.5:                                ;   in Loop: Header=BB84_4 Depth=1
	global_load_ushort v12, v[1:2], off
	s_waitcnt vmcnt(0)
	v_lshlrev_b32_e32 v15, 16, v12
.LBB84_6:                               ;   in Loop: Header=BB84_4 Depth=1
	s_or_b32 exec_lo, exec_lo, s0
	v_add_co_u32 v12, s0, v5, s18
	v_add_co_ci_u32_e64 v13, null, s19, v8, s0
	v_mov_b32_e32 v14, 0
	v_cmp_gt_u64_e64 s2, s[16:17], v[12:13]
	v_mov_b32_e32 v13, 0
	s_and_saveexec_b32 s0, s2
	s_cbranch_execz .LBB84_8
; %bb.7:                                ;   in Loop: Header=BB84_4 Depth=1
	global_load_ushort v12, v[3:4], off
	s_waitcnt vmcnt(0)
	v_lshlrev_b32_e32 v14, 16, v12
.LBB84_8:                               ;   in Loop: Header=BB84_4 Depth=1
	s_or_b32 exec_lo, exec_lo, s0
	v_add_co_u32 v16, s0, v9, s18
	v_add_co_ci_u32_e64 v17, null, s19, v10, s0
	v_cmp_gt_u64_e64 s1, s[16:17], v[16:17]
	s_and_saveexec_b32 s3, s1
	s_cbranch_execz .LBB84_10
; %bb.9:                                ;   in Loop: Header=BB84_4 Depth=1
	v_add_co_u32 v12, s0, v1, s7
	v_add_co_ci_u32_e64 v13, null, 0, v2, s0
	global_load_ushort v12, v[12:13], off
	s_waitcnt vmcnt(0)
	v_lshlrev_b32_e32 v13, 16, v12
.LBB84_10:                              ;   in Loop: Header=BB84_4 Depth=1
	s_or_b32 exec_lo, exec_lo, s3
	v_add_co_u32 v16, s0, v6, s18
	v_add_co_ci_u32_e64 v17, null, s19, v7, s0
	v_mov_b32_e32 v12, 0
	v_cmp_gt_u64_e64 s0, s[16:17], v[16:17]
	s_and_saveexec_b32 s6, s0
	s_cbranch_execnz .LBB84_15
; %bb.11:                               ;   in Loop: Header=BB84_4 Depth=1
	s_or_b32 exec_lo, exec_lo, s6
	s_and_saveexec_b32 s24, vcc_lo
	s_cbranch_execnz .LBB84_16
.LBB84_12:                              ;   in Loop: Header=BB84_4 Depth=1
	s_or_b32 exec_lo, exec_lo, s24
	s_and_saveexec_b32 s24, s2
	s_cbranch_execnz .LBB84_17
.LBB84_13:                              ;   in Loop: Header=BB84_4 Depth=1
	s_or_b32 exec_lo, exec_lo, s24
	s_and_saveexec_b32 s6, s1
	s_cbranch_execnz .LBB84_18
.LBB84_14:                              ;   in Loop: Header=BB84_4 Depth=1
	s_or_b32 exec_lo, exec_lo, s6
	s_and_saveexec_b32 s3, s0
	s_cbranch_execz .LBB84_3
	s_branch .LBB84_19
.LBB84_15:                              ;   in Loop: Header=BB84_4 Depth=1
	v_add_co_u32 v16, s3, v1, s22
	v_add_co_ci_u32_e64 v17, null, 0, v2, s3
	global_load_ushort v12, v[16:17], off
	s_waitcnt vmcnt(0)
	v_lshlrev_b32_e32 v12, 16, v12
	s_or_b32 exec_lo, exec_lo, s6
	s_and_saveexec_b32 s24, vcc_lo
	s_cbranch_execz .LBB84_12
.LBB84_16:                              ;   in Loop: Header=BB84_4 Depth=1
	v_cmp_neq_f32_e32 vcc_lo, 1.0, v15
	v_cndmask_b32_e64 v17, 1.0, s20, vcc_lo
	v_cmp_neq_f32_e32 vcc_lo, 0, v17
	v_cmp_neq_f32_e64 s25, v17, |v17|
	v_cndmask_b32_e32 v18, 1.0, v15, vcc_lo
	v_cvt_f64_f32_e64 v[15:16], |v18|
	v_cmp_lt_f32_e64 s26, |v18|, 1.0
	v_cmp_eq_f32_e64 s6, 0, v18
	s_xor_b32 s25, s25, s26
	v_frexp_exp_i32_f64_e32 v15, v[15:16]
	v_frexp_mant_f32_e64 v16, |v18|
	v_cmp_gt_f32_e32 vcc_lo, 0x3f2aaaab, v16
	v_cndmask_b32_e64 v19, 1.0, 2.0, vcc_lo
	v_mul_f32_e32 v16, v16, v19
	v_add_f32_e32 v19, 1.0, v16
	v_add_f32_e32 v21, -1.0, v16
	v_subrev_co_ci_u32_e64 v15, null, 0, v15, vcc_lo
	v_rcp_f32_e32 v20, v19
	v_add_f32_e32 v23, -1.0, v19
	v_cvt_f32_i32_e32 v15, v15
	v_sub_f32_e32 v16, v16, v23
	v_mul_f32_e32 v22, v21, v20
	v_mul_f32_e32 v24, v19, v22
	v_fma_f32 v19, v22, v19, -v24
	v_fmac_f32_e32 v19, v22, v16
	v_add_f32_e32 v16, v24, v19
	v_sub_f32_e32 v23, v21, v16
	v_sub_f32_e32 v24, v16, v24
	;; [unrolled: 1-line block ×5, first 2 shown]
	v_add_f32_e32 v16, v19, v16
	v_add_f32_e32 v16, v23, v16
	v_mul_f32_e32 v16, v20, v16
	v_add_f32_e32 v19, v22, v16
	v_sub_f32_e32 v20, v19, v22
	v_mul_f32_e32 v21, v19, v19
	v_sub_f32_e32 v16, v16, v20
	v_fma_f32 v20, v19, v19, -v21
	v_add_f32_e32 v22, v16, v16
	v_fmac_f32_e32 v20, v19, v22
	v_add_f32_e32 v22, v21, v20
	v_fmaak_f32 v23, s23, v22, 0x3e91f4c4
	v_sub_f32_e32 v21, v22, v21
	v_mul_f32_e32 v26, v19, v22
	v_fmaak_f32 v23, v22, v23, 0x3ecccdef
	v_sub_f32_e32 v20, v20, v21
	v_fma_f32 v27, v22, v19, -v26
	v_mul_f32_e32 v24, v22, v23
	v_fmac_f32_e32 v27, v22, v16
	v_ldexp_f32 v16, v16, 1
	v_fma_f32 v21, v22, v23, -v24
	v_fmac_f32_e32 v27, v20, v19
	v_ldexp_f32 v19, v19, 1
	v_fmac_f32_e32 v21, v20, v23
	v_add_f32_e32 v22, v26, v27
	v_add_f32_e32 v23, v24, v21
	v_sub_f32_e32 v24, v23, v24
	v_add_f32_e32 v25, 0x3f2aaaaa, v23
	v_sub_f32_e32 v21, v21, v24
	v_add_f32_e32 v24, 0xbf2aaaaa, v25
	v_add_f32_e32 v21, 0x31739010, v21
	v_sub_f32_e32 v23, v23, v24
	v_add_f32_e32 v21, v21, v23
	v_add_f32_e32 v20, v25, v21
	v_sub_f32_e32 v23, v25, v20
	v_mul_f32_e32 v24, v22, v20
	v_sub_f32_e32 v25, v22, v26
	v_add_f32_e32 v21, v21, v23
	v_fma_f32 v23, v22, v20, -v24
	v_sub_f32_e32 v25, v27, v25
	v_fmac_f32_e32 v23, v22, v21
	v_fmac_f32_e32 v23, v25, v20
	v_add_f32_e32 v20, v24, v23
	v_sub_f32_e32 v21, v20, v24
	v_add_f32_e32 v22, v19, v20
	v_mul_f32_e32 v24, 0x3f317218, v15
	v_sub_f32_e32 v21, v23, v21
	v_sub_f32_e32 v19, v22, v19
	v_fma_f32 v23, 0x3f317218, v15, -v24
	v_add_f32_e32 v16, v16, v21
	v_sub_f32_e32 v19, v20, v19
	v_fmac_f32_e32 v23, 0xb102e308, v15
	v_add_f32_e32 v15, v16, v19
	v_add_f32_e32 v16, v24, v23
	;; [unrolled: 1-line block ×3, first 2 shown]
	v_sub_f32_e32 v24, v16, v24
	v_add_f32_e32 v20, v16, v19
	v_sub_f32_e32 v22, v19, v22
	v_sub_f32_e32 v23, v23, v24
	;; [unrolled: 1-line block ×6, first 2 shown]
	v_add_f32_e32 v21, v23, v15
	v_sub_f32_e32 v16, v16, v25
	v_add_f32_e32 v16, v19, v16
	v_sub_f32_e32 v19, v21, v23
	;; [unrolled: 2-line block ×3, first 2 shown]
	v_sub_f32_e32 v15, v15, v19
	v_add_f32_e32 v22, v20, v16
	v_sub_f32_e32 v19, v23, v21
	v_sub_f32_e32 v20, v22, v20
	v_add_f32_e32 v15, v15, v19
	v_sub_f32_e32 v16, v16, v20
	v_add_f32_e32 v15, v15, v16
	v_add_f32_e32 v16, v22, v15
	v_sub_f32_e32 v19, v16, v22
	v_mul_f32_e32 v20, v17, v16
	v_sub_f32_e32 v15, v15, v19
	v_fma_f32 v16, v17, v16, -v20
	v_cmp_class_f32_e64 vcc_lo, v20, 0x204
	v_fmac_f32_e32 v16, v17, v15
	v_add_f32_e32 v15, v20, v16
	v_cndmask_b32_e32 v19, v15, v20, vcc_lo
	v_sub_f32_e32 v15, v15, v20
	v_cmp_eq_f32_e32 vcc_lo, 0x42b17218, v19
	v_sub_f32_e32 v15, v16, v15
	v_trunc_f32_e32 v16, v17
	v_cndmask_b32_e64 v21, 0, 0x37000000, vcc_lo
	v_cmp_neq_f32_e64 vcc_lo, 0x7f800000, |v19|
	v_sub_f32_e32 v22, v19, v21
	v_cndmask_b32_e32 v15, 0, v15, vcc_lo
	v_mul_f32_e32 v23, 0x3fb8aa3b, v22
	v_cmp_ngt_f32_e32 vcc_lo, 0xc2ce8ed0, v22
	v_cmp_nlt_f32_e64 s3, 0x42b17218, v22
	v_add_f32_e32 v15, v21, v15
	v_fma_f32 v24, 0x3fb8aa3b, v22, -v23
	v_rndne_f32_e32 v25, v23
	v_fmac_f32_e32 v24, 0x32a5705f, v22
	v_sub_f32_e32 v23, v23, v25
	v_cvt_i32_f32_e32 v20, v25
	v_add_f32_e32 v23, v23, v24
	v_exp_f32_e32 v23, v23
	v_ldexp_f32 v20, v23, v20
	v_mul_f32_e32 v23, 0.5, v17
	v_cndmask_b32_e32 v19, 0, v20, vcc_lo
	v_trunc_f32_e32 v20, v23
	v_cmp_eq_f32_e32 vcc_lo, v16, v17
	v_cndmask_b32_e64 v16, 0x7f800000, v19, s3
	v_cmp_neq_f32_e64 s3, v20, v23
	v_fma_f32 v15, v16, v15, v16
	s_and_b32 s3, vcc_lo, s3
	v_cndmask_b32_e64 v19, 0, v18, s3
	v_cndmask_b32_e64 v20, 1.0, v18, s3
	v_cmp_class_f32_e64 s3, v16, 0x204
	v_cndmask_b32_e64 v15, v15, v16, s3
	v_cndmask_b32_e64 v16, 0x7f800000, 0, s25
	v_cmp_gt_f32_e64 s3, 0, v17
	v_bfi_b32 v15, 0x7fffffff, v15, v20
	s_xor_b32 s3, s3, s6
	v_cndmask_b32_e64 v21, 0x7f800000, 0, s3
	v_cndmask_b32_e32 v20, 0x7fc00000, v15, vcc_lo
	v_cmp_neq_f32_e64 vcc_lo, |v18|, 1.0
	v_cmp_class_f32_e64 s3, v18, 0x204
	v_bfi_b32 v19, 0x7fffffff, v21, v19
	v_cndmask_b32_e32 v16, 1.0, v16, vcc_lo
	v_cmp_gt_f32_e32 vcc_lo, 0, v18
	v_cndmask_b32_e32 v15, v15, v20, vcc_lo
	v_cmp_class_f32_e64 vcc_lo, v17, 0x204
	v_cndmask_b32_e32 v15, v15, v16, vcc_lo
	s_or_b32 vcc_lo, s6, s3
	v_cndmask_b32_e32 v15, v15, v19, vcc_lo
	v_cmp_o_f32_e32 vcc_lo, v18, v17
	v_cndmask_b32_e32 v15, 0x7fc00000, v15, vcc_lo
	v_bfe_u32 v16, v15, 16, 1
	v_cmp_o_f32_e32 vcc_lo, v15, v15
	v_add3_u32 v15, v15, v16, 0x7fff
	v_cndmask_b32_sdwa v15, v11, v15, vcc_lo dst_sel:DWORD dst_unused:UNUSED_PAD src0_sel:DWORD src1_sel:WORD_1
	global_store_short v[1:2], v15, off
	s_or_b32 exec_lo, exec_lo, s24
	s_and_saveexec_b32 s24, s2
	s_cbranch_execz .LBB84_13
.LBB84_17:                              ;   in Loop: Header=BB84_4 Depth=1
	v_cmp_neq_f32_e32 vcc_lo, 1.0, v14
	v_cndmask_b32_e64 v16, 1.0, s20, vcc_lo
	v_cmp_neq_f32_e32 vcc_lo, 0, v16
	v_cmp_neq_f32_e64 s25, v16, |v16|
	v_cndmask_b32_e32 v17, 1.0, v14, vcc_lo
	v_frexp_mant_f32_e64 v14, |v17|
	v_cmp_lt_f32_e64 s26, |v17|, 1.0
	v_cmp_eq_f32_e64 s6, 0, v17
	v_cmp_gt_f32_e32 vcc_lo, 0x3f2aaaab, v14
	s_xor_b32 s25, s25, s26
	v_cndmask_b32_e64 v15, 1.0, 2.0, vcc_lo
	v_mul_f32_e32 v14, v14, v15
	v_add_f32_e32 v15, 1.0, v14
	v_add_f32_e32 v19, -1.0, v14
	v_rcp_f32_e32 v18, v15
	v_add_f32_e32 v21, -1.0, v15
	v_sub_f32_e32 v14, v14, v21
	v_mul_f32_e32 v20, v19, v18
	v_mul_f32_e32 v22, v15, v20
	v_fma_f32 v15, v20, v15, -v22
	v_fmac_f32_e32 v15, v20, v14
	v_add_f32_e32 v14, v22, v15
	v_sub_f32_e32 v21, v19, v14
	v_sub_f32_e32 v22, v14, v22
	;; [unrolled: 1-line block ×5, first 2 shown]
	v_add_f32_e32 v14, v15, v14
	v_add_f32_e32 v14, v21, v14
	v_mul_f32_e32 v14, v18, v14
	v_add_f32_e32 v18, v20, v14
	v_sub_f32_e32 v15, v18, v20
	v_mul_f32_e32 v19, v18, v18
	v_sub_f32_e32 v20, v14, v15
	v_fma_f32 v14, v18, v18, -v19
	v_add_f32_e32 v15, v20, v20
	v_fmac_f32_e32 v14, v18, v15
	v_add_f32_e32 v21, v19, v14
	v_fmaak_f32 v15, s23, v21, 0x3e91f4c4
	v_sub_f32_e32 v19, v21, v19
	v_mul_f32_e32 v26, v18, v21
	v_fmaak_f32 v15, v21, v15, 0x3ecccdef
	v_sub_f32_e32 v19, v14, v19
	v_fma_f32 v27, v21, v18, -v26
	v_mul_f32_e32 v22, v21, v15
	v_fmac_f32_e32 v27, v21, v20
	v_ldexp_f32 v20, v20, 1
	v_fma_f32 v23, v21, v15, -v22
	v_fmac_f32_e32 v27, v19, v18
	v_fmac_f32_e32 v23, v19, v15
	v_cvt_f64_f32_e64 v[14:15], |v17|
	v_add_f32_e32 v24, v22, v23
	v_sub_f32_e32 v22, v24, v22
	v_add_f32_e32 v25, 0x3f2aaaaa, v24
	v_sub_f32_e32 v22, v23, v22
	v_add_f32_e32 v23, 0xbf2aaaaa, v25
	v_add_f32_e32 v22, 0x31739010, v22
	v_sub_f32_e32 v23, v24, v23
	v_frexp_exp_i32_f64_e32 v14, v[14:15]
	v_add_f32_e32 v21, v22, v23
	v_add_f32_e32 v22, v26, v27
	;; [unrolled: 1-line block ×3, first 2 shown]
	v_sub_f32_e32 v24, v22, v26
	v_sub_f32_e32 v15, v25, v19
	v_mul_f32_e32 v23, v22, v19
	v_sub_f32_e32 v24, v27, v24
	v_add_f32_e32 v15, v21, v15
	v_fma_f32 v21, v22, v19, -v23
	v_subrev_co_ci_u32_e64 v14, null, 0, v14, vcc_lo
	v_fmac_f32_e32 v21, v22, v15
	v_ldexp_f32 v15, v18, 1
	v_cvt_f32_i32_e32 v14, v14
	v_fmac_f32_e32 v21, v24, v19
	v_add_f32_e32 v18, v23, v21
	v_add_f32_e32 v19, v15, v18
	v_sub_f32_e32 v22, v18, v23
	v_mul_f32_e32 v23, 0x3f317218, v14
	v_sub_f32_e32 v15, v19, v15
	v_sub_f32_e32 v21, v21, v22
	v_fma_f32 v22, 0x3f317218, v14, -v23
	v_sub_f32_e32 v15, v18, v15
	v_add_f32_e32 v18, v20, v21
	v_fmac_f32_e32 v22, 0xb102e308, v14
	v_add_f32_e32 v14, v18, v15
	v_add_f32_e32 v15, v23, v22
	;; [unrolled: 1-line block ×3, first 2 shown]
	v_sub_f32_e32 v23, v15, v23
	v_add_f32_e32 v20, v15, v18
	v_sub_f32_e32 v19, v18, v19
	v_sub_f32_e32 v22, v22, v23
	;; [unrolled: 1-line block ×6, first 2 shown]
	v_add_f32_e32 v19, v22, v14
	v_sub_f32_e32 v15, v15, v24
	v_add_f32_e32 v15, v18, v15
	v_sub_f32_e32 v18, v19, v22
	v_add_f32_e32 v15, v19, v15
	v_sub_f32_e32 v19, v19, v18
	v_sub_f32_e32 v14, v14, v18
	v_add_f32_e32 v21, v20, v15
	v_sub_f32_e32 v18, v22, v19
	v_sub_f32_e32 v19, v21, v20
	v_add_f32_e32 v14, v14, v18
	v_sub_f32_e32 v15, v15, v19
	v_add_f32_e32 v14, v14, v15
	v_add_f32_e32 v15, v21, v14
	v_sub_f32_e32 v18, v15, v21
	v_mul_f32_e32 v19, v16, v15
	v_sub_f32_e32 v14, v14, v18
	v_fma_f32 v15, v16, v15, -v19
	v_cmp_class_f32_e64 vcc_lo, v19, 0x204
	v_fmac_f32_e32 v15, v16, v14
	v_add_f32_e32 v14, v19, v15
	v_cndmask_b32_e32 v18, v14, v19, vcc_lo
	v_sub_f32_e32 v14, v14, v19
	v_cmp_eq_f32_e32 vcc_lo, 0x42b17218, v18
	v_sub_f32_e32 v14, v15, v14
	v_cndmask_b32_e64 v20, 0, 0x37000000, vcc_lo
	v_cmp_neq_f32_e64 vcc_lo, 0x7f800000, |v18|
	v_sub_f32_e32 v21, v18, v20
	v_cndmask_b32_e32 v14, 0, v14, vcc_lo
	v_trunc_f32_e32 v18, v16
	v_mul_f32_e32 v22, 0x3fb8aa3b, v21
	v_cmp_ngt_f32_e32 vcc_lo, 0xc2ce8ed0, v21
	v_add_f32_e32 v14, v20, v14
	v_fma_f32 v23, 0x3fb8aa3b, v21, -v22
	v_rndne_f32_e32 v24, v22
	v_fmac_f32_e32 v23, 0x32a5705f, v21
	v_sub_f32_e32 v22, v22, v24
	v_cvt_i32_f32_e32 v19, v24
	v_add_f32_e32 v22, v22, v23
	v_exp_f32_e32 v22, v22
	v_ldexp_f32 v15, v22, v19
	v_mul_f32_e32 v19, 0.5, v16
	v_cndmask_b32_e32 v15, 0, v15, vcc_lo
	v_cmp_nlt_f32_e32 vcc_lo, 0x42b17218, v21
	v_trunc_f32_e32 v22, v19
	v_cndmask_b32_e32 v15, 0x7f800000, v15, vcc_lo
	v_cmp_eq_f32_e32 vcc_lo, v18, v16
	v_cmp_neq_f32_e64 s2, v22, v19
	v_fma_f32 v14, v15, v14, v15
	v_cmp_class_f32_e64 s3, v15, 0x204
	s_and_b32 s2, vcc_lo, s2
	v_cndmask_b32_e64 v18, 1.0, v17, s2
	v_cndmask_b32_e64 v14, v14, v15, s3
	v_cndmask_b32_e64 v15, 0x7f800000, 0, s25
	v_cmp_gt_f32_e64 s3, 0, v16
	v_bfi_b32 v14, 0x7fffffff, v14, v18
	s_xor_b32 s3, s3, s6
	v_cndmask_b32_e64 v19, 0x7f800000, 0, s3
	v_cndmask_b32_e32 v18, 0x7fc00000, v14, vcc_lo
	v_cmp_neq_f32_e64 vcc_lo, |v17|, 1.0
	v_cndmask_b32_e32 v15, 1.0, v15, vcc_lo
	v_cmp_gt_f32_e32 vcc_lo, 0, v17
	v_cndmask_b32_e32 v14, v14, v18, vcc_lo
	v_cndmask_b32_e64 v18, 0, v17, s2
	v_cmp_class_f32_e64 vcc_lo, v16, 0x204
	v_cmp_class_f32_e64 s2, v17, 0x204
	v_cndmask_b32_e32 v14, v14, v15, vcc_lo
	v_bfi_b32 v15, 0x7fffffff, v19, v18
	s_or_b32 vcc_lo, s6, s2
	v_cndmask_b32_e32 v14, v14, v15, vcc_lo
	v_cmp_o_f32_e32 vcc_lo, v17, v16
	v_cndmask_b32_e32 v14, 0x7fc00000, v14, vcc_lo
	v_bfe_u32 v15, v14, 16, 1
	v_cmp_o_f32_e32 vcc_lo, v14, v14
	v_add3_u32 v14, v14, v15, 0x7fff
	v_cndmask_b32_sdwa v14, v11, v14, vcc_lo dst_sel:DWORD dst_unused:UNUSED_PAD src0_sel:DWORD src1_sel:WORD_1
	global_store_short v[3:4], v14, off
	s_or_b32 exec_lo, exec_lo, s24
	s_and_saveexec_b32 s6, s1
	s_cbranch_execz .LBB84_14
.LBB84_18:                              ;   in Loop: Header=BB84_4 Depth=1
	v_cmp_neq_f32_e32 vcc_lo, 1.0, v13
	v_cndmask_b32_e64 v15, 1.0, s20, vcc_lo
	v_cmp_neq_f32_e32 vcc_lo, 0, v15
	v_cmp_neq_f32_e64 s24, v15, |v15|
	v_cndmask_b32_e32 v16, 1.0, v13, vcc_lo
	v_frexp_mant_f32_e64 v13, |v16|
	v_cmp_lt_f32_e64 s25, |v16|, 1.0
	v_cmp_eq_f32_e64 s3, 0, v16
	v_cmp_gt_f32_e32 vcc_lo, 0x3f2aaaab, v13
	s_xor_b32 s24, s24, s25
	v_cndmask_b32_e64 v14, 1.0, 2.0, vcc_lo
	v_mul_f32_e32 v13, v13, v14
	v_add_f32_e32 v14, 1.0, v13
	v_add_f32_e32 v18, -1.0, v13
	v_rcp_f32_e32 v17, v14
	v_add_f32_e32 v20, -1.0, v14
	v_sub_f32_e32 v13, v13, v20
	v_mul_f32_e32 v19, v18, v17
	v_mul_f32_e32 v21, v14, v19
	v_fma_f32 v14, v19, v14, -v21
	v_fmac_f32_e32 v14, v19, v13
	v_add_f32_e32 v13, v21, v14
	v_sub_f32_e32 v20, v18, v13
	v_sub_f32_e32 v21, v13, v21
	;; [unrolled: 1-line block ×5, first 2 shown]
	v_add_f32_e32 v13, v14, v13
	v_add_f32_e32 v13, v20, v13
	v_mul_f32_e32 v13, v17, v13
	v_add_f32_e32 v17, v19, v13
	v_sub_f32_e32 v14, v17, v19
	v_mul_f32_e32 v18, v17, v17
	v_sub_f32_e32 v19, v13, v14
	v_fma_f32 v13, v17, v17, -v18
	v_add_f32_e32 v14, v19, v19
	v_fmac_f32_e32 v13, v17, v14
	v_add_f32_e32 v20, v18, v13
	v_fmaak_f32 v14, s23, v20, 0x3e91f4c4
	v_sub_f32_e32 v18, v20, v18
	v_mul_f32_e32 v25, v17, v20
	v_fmaak_f32 v14, v20, v14, 0x3ecccdef
	v_sub_f32_e32 v18, v13, v18
	v_fma_f32 v26, v20, v17, -v25
	v_mul_f32_e32 v21, v20, v14
	v_fmac_f32_e32 v26, v20, v19
	v_ldexp_f32 v19, v19, 1
	v_fma_f32 v22, v20, v14, -v21
	v_fmac_f32_e32 v26, v18, v17
	v_fmac_f32_e32 v22, v18, v14
	v_cvt_f64_f32_e64 v[13:14], |v16|
	v_add_f32_e32 v23, v21, v22
	v_sub_f32_e32 v21, v23, v21
	v_add_f32_e32 v24, 0x3f2aaaaa, v23
	v_sub_f32_e32 v21, v22, v21
	v_add_f32_e32 v22, 0xbf2aaaaa, v24
	v_add_f32_e32 v21, 0x31739010, v21
	v_sub_f32_e32 v22, v23, v22
	v_frexp_exp_i32_f64_e32 v13, v[13:14]
	v_add_f32_e32 v20, v21, v22
	v_add_f32_e32 v21, v25, v26
	;; [unrolled: 1-line block ×3, first 2 shown]
	v_sub_f32_e32 v23, v21, v25
	v_sub_f32_e32 v14, v24, v18
	v_mul_f32_e32 v22, v21, v18
	v_sub_f32_e32 v23, v26, v23
	v_add_f32_e32 v14, v20, v14
	v_fma_f32 v20, v21, v18, -v22
	v_subrev_co_ci_u32_e64 v13, null, 0, v13, vcc_lo
	v_fmac_f32_e32 v20, v21, v14
	v_ldexp_f32 v14, v17, 1
	v_cvt_f32_i32_e32 v13, v13
	v_fmac_f32_e32 v20, v23, v18
	v_add_f32_e32 v17, v22, v20
	v_add_f32_e32 v18, v14, v17
	v_sub_f32_e32 v21, v17, v22
	v_mul_f32_e32 v22, 0x3f317218, v13
	v_sub_f32_e32 v14, v18, v14
	v_sub_f32_e32 v20, v20, v21
	v_fma_f32 v21, 0x3f317218, v13, -v22
	v_sub_f32_e32 v14, v17, v14
	v_add_f32_e32 v17, v19, v20
	v_fmac_f32_e32 v21, 0xb102e308, v13
	v_add_f32_e32 v13, v17, v14
	v_add_f32_e32 v14, v22, v21
	v_add_f32_e32 v17, v18, v13
	v_sub_f32_e32 v22, v14, v22
	v_add_f32_e32 v19, v14, v17
	v_sub_f32_e32 v18, v17, v18
	v_sub_f32_e32 v21, v21, v22
	;; [unrolled: 1-line block ×6, first 2 shown]
	v_add_f32_e32 v18, v21, v13
	v_sub_f32_e32 v14, v14, v23
	v_add_f32_e32 v14, v17, v14
	v_sub_f32_e32 v17, v18, v21
	;; [unrolled: 2-line block ×3, first 2 shown]
	v_sub_f32_e32 v13, v13, v17
	v_add_f32_e32 v20, v19, v14
	v_sub_f32_e32 v17, v21, v18
	v_sub_f32_e32 v18, v20, v19
	v_add_f32_e32 v13, v13, v17
	v_sub_f32_e32 v14, v14, v18
	v_add_f32_e32 v13, v13, v14
	v_add_f32_e32 v14, v20, v13
	v_sub_f32_e32 v17, v14, v20
	v_mul_f32_e32 v18, v15, v14
	v_sub_f32_e32 v13, v13, v17
	v_fma_f32 v14, v15, v14, -v18
	v_cmp_class_f32_e64 vcc_lo, v18, 0x204
	v_fmac_f32_e32 v14, v15, v13
	v_add_f32_e32 v13, v18, v14
	v_cndmask_b32_e32 v17, v13, v18, vcc_lo
	v_sub_f32_e32 v13, v13, v18
	v_cmp_eq_f32_e32 vcc_lo, 0x42b17218, v17
	v_sub_f32_e32 v13, v14, v13
	v_cndmask_b32_e64 v19, 0, 0x37000000, vcc_lo
	v_cmp_neq_f32_e64 vcc_lo, 0x7f800000, |v17|
	v_sub_f32_e32 v20, v17, v19
	v_cndmask_b32_e32 v13, 0, v13, vcc_lo
	v_trunc_f32_e32 v17, v15
	v_mul_f32_e32 v21, 0x3fb8aa3b, v20
	v_cmp_ngt_f32_e32 vcc_lo, 0xc2ce8ed0, v20
	v_add_f32_e32 v13, v19, v13
	v_fma_f32 v22, 0x3fb8aa3b, v20, -v21
	v_rndne_f32_e32 v23, v21
	v_fmac_f32_e32 v22, 0x32a5705f, v20
	v_sub_f32_e32 v21, v21, v23
	v_cvt_i32_f32_e32 v18, v23
	v_add_f32_e32 v21, v21, v22
	v_exp_f32_e32 v21, v21
	v_ldexp_f32 v14, v21, v18
	v_mul_f32_e32 v18, 0.5, v15
	v_cndmask_b32_e32 v14, 0, v14, vcc_lo
	v_cmp_nlt_f32_e32 vcc_lo, 0x42b17218, v20
	v_trunc_f32_e32 v21, v18
	v_cndmask_b32_e32 v14, 0x7f800000, v14, vcc_lo
	v_cmp_eq_f32_e32 vcc_lo, v17, v15
	v_cmp_neq_f32_e64 s1, v21, v18
	v_fma_f32 v13, v14, v13, v14
	v_cmp_class_f32_e64 s2, v14, 0x204
	s_and_b32 s1, vcc_lo, s1
	v_cndmask_b32_e64 v17, 1.0, v16, s1
	v_cndmask_b32_e64 v19, 0, v16, s1
	v_cndmask_b32_e64 v13, v13, v14, s2
	;; [unrolled: 1-line block ×3, first 2 shown]
	v_cmp_gt_f32_e64 s2, 0, v15
	v_cmp_class_f32_e64 s1, v16, 0x204
	v_bfi_b32 v13, 0x7fffffff, v13, v17
	s_xor_b32 s2, s2, s3
	v_cndmask_b32_e64 v17, 0x7f800000, 0, s2
	v_cndmask_b32_e32 v18, 0x7fc00000, v13, vcc_lo
	v_cmp_neq_f32_e64 vcc_lo, |v16|, 1.0
	v_bfi_b32 v17, 0x7fffffff, v17, v19
	v_cndmask_b32_e32 v14, 1.0, v14, vcc_lo
	v_cmp_gt_f32_e32 vcc_lo, 0, v16
	v_cndmask_b32_e32 v13, v13, v18, vcc_lo
	v_cmp_class_f32_e64 vcc_lo, v15, 0x204
	v_cndmask_b32_e32 v13, v13, v14, vcc_lo
	s_or_b32 vcc_lo, s3, s1
	v_cndmask_b32_e32 v13, v13, v17, vcc_lo
	v_cmp_o_f32_e32 vcc_lo, v16, v15
	v_cndmask_b32_e32 v13, 0x7fc00000, v13, vcc_lo
	v_bfe_u32 v14, v13, 16, 1
	v_cmp_o_f32_e32 vcc_lo, v13, v13
	v_add3_u32 v13, v13, v14, 0x7fff
	v_cndmask_b32_sdwa v15, v11, v13, vcc_lo dst_sel:DWORD dst_unused:UNUSED_PAD src0_sel:DWORD src1_sel:WORD_1
	v_add_co_u32 v13, vcc_lo, v1, s7
	v_add_co_ci_u32_e64 v14, null, 0, v2, vcc_lo
	global_store_short v[13:14], v15, off
	s_or_b32 exec_lo, exec_lo, s6
	s_and_saveexec_b32 s3, s0
	s_cbranch_execz .LBB84_3
.LBB84_19:                              ;   in Loop: Header=BB84_4 Depth=1
	v_cmp_neq_f32_e32 vcc_lo, 1.0, v12
	v_cndmask_b32_e64 v14, 1.0, s20, vcc_lo
	v_cmp_neq_f32_e32 vcc_lo, 0, v14
	v_cmp_neq_f32_e64 s6, v14, |v14|
	v_cndmask_b32_e32 v15, 1.0, v12, vcc_lo
	v_frexp_mant_f32_e64 v12, |v15|
	v_cmp_lt_f32_e64 s24, |v15|, 1.0
	v_cmp_eq_f32_e64 s2, 0, v15
	v_cmp_gt_f32_e32 vcc_lo, 0x3f2aaaab, v12
	s_xor_b32 s6, s6, s24
	v_cndmask_b32_e64 v13, 1.0, 2.0, vcc_lo
	v_mul_f32_e32 v12, v12, v13
	v_add_f32_e32 v13, 1.0, v12
	v_add_f32_e32 v17, -1.0, v12
	v_rcp_f32_e32 v16, v13
	v_add_f32_e32 v19, -1.0, v13
	v_sub_f32_e32 v12, v12, v19
	v_mul_f32_e32 v18, v17, v16
	v_mul_f32_e32 v20, v13, v18
	v_fma_f32 v13, v18, v13, -v20
	v_fmac_f32_e32 v13, v18, v12
	v_add_f32_e32 v12, v20, v13
	v_sub_f32_e32 v19, v17, v12
	v_sub_f32_e32 v20, v12, v20
	;; [unrolled: 1-line block ×5, first 2 shown]
	v_add_f32_e32 v12, v13, v12
	v_add_f32_e32 v12, v19, v12
	v_mul_f32_e32 v12, v16, v12
	v_add_f32_e32 v16, v18, v12
	v_sub_f32_e32 v13, v16, v18
	v_mul_f32_e32 v17, v16, v16
	v_sub_f32_e32 v18, v12, v13
	v_fma_f32 v12, v16, v16, -v17
	v_add_f32_e32 v13, v18, v18
	v_fmac_f32_e32 v12, v16, v13
	v_add_f32_e32 v19, v17, v12
	v_fmaak_f32 v13, s23, v19, 0x3e91f4c4
	v_sub_f32_e32 v17, v19, v17
	v_mul_f32_e32 v24, v16, v19
	v_fmaak_f32 v13, v19, v13, 0x3ecccdef
	v_sub_f32_e32 v17, v12, v17
	v_fma_f32 v25, v19, v16, -v24
	v_mul_f32_e32 v20, v19, v13
	v_fmac_f32_e32 v25, v19, v18
	v_ldexp_f32 v18, v18, 1
	v_fma_f32 v21, v19, v13, -v20
	v_fmac_f32_e32 v25, v17, v16
	v_fmac_f32_e32 v21, v17, v13
	v_cvt_f64_f32_e64 v[12:13], |v15|
	v_add_f32_e32 v22, v20, v21
	v_sub_f32_e32 v20, v22, v20
	v_add_f32_e32 v23, 0x3f2aaaaa, v22
	v_sub_f32_e32 v20, v21, v20
	v_add_f32_e32 v21, 0xbf2aaaaa, v23
	v_add_f32_e32 v20, 0x31739010, v20
	v_sub_f32_e32 v21, v22, v21
	v_frexp_exp_i32_f64_e32 v12, v[12:13]
	v_add_f32_e32 v19, v20, v21
	v_add_f32_e32 v20, v24, v25
	;; [unrolled: 1-line block ×3, first 2 shown]
	v_sub_f32_e32 v22, v20, v24
	v_sub_f32_e32 v13, v23, v17
	v_mul_f32_e32 v21, v20, v17
	v_sub_f32_e32 v22, v25, v22
	v_add_f32_e32 v13, v19, v13
	v_fma_f32 v19, v20, v17, -v21
	v_subrev_co_ci_u32_e64 v12, null, 0, v12, vcc_lo
	v_fmac_f32_e32 v19, v20, v13
	v_ldexp_f32 v13, v16, 1
	v_cvt_f32_i32_e32 v12, v12
	v_fmac_f32_e32 v19, v22, v17
	v_add_f32_e32 v16, v21, v19
	v_add_f32_e32 v17, v13, v16
	v_sub_f32_e32 v20, v16, v21
	v_mul_f32_e32 v21, 0x3f317218, v12
	v_sub_f32_e32 v13, v17, v13
	v_sub_f32_e32 v19, v19, v20
	v_fma_f32 v20, 0x3f317218, v12, -v21
	v_sub_f32_e32 v13, v16, v13
	v_add_f32_e32 v16, v18, v19
	v_fmac_f32_e32 v20, 0xb102e308, v12
	v_add_f32_e32 v12, v16, v13
	v_add_f32_e32 v13, v21, v20
	v_add_f32_e32 v16, v17, v12
	v_sub_f32_e32 v21, v13, v21
	v_add_f32_e32 v18, v13, v16
	v_sub_f32_e32 v17, v16, v17
	v_sub_f32_e32 v20, v20, v21
	;; [unrolled: 1-line block ×6, first 2 shown]
	v_add_f32_e32 v17, v20, v12
	v_sub_f32_e32 v13, v13, v22
	v_add_f32_e32 v13, v16, v13
	v_sub_f32_e32 v16, v17, v20
	;; [unrolled: 2-line block ×3, first 2 shown]
	v_sub_f32_e32 v12, v12, v16
	v_add_f32_e32 v19, v18, v13
	v_sub_f32_e32 v16, v20, v17
	v_sub_f32_e32 v17, v19, v18
	v_add_f32_e32 v12, v12, v16
	v_sub_f32_e32 v13, v13, v17
	v_add_f32_e32 v12, v12, v13
	v_add_f32_e32 v13, v19, v12
	v_sub_f32_e32 v16, v13, v19
	v_mul_f32_e32 v17, v14, v13
	v_sub_f32_e32 v12, v12, v16
	v_fma_f32 v13, v14, v13, -v17
	v_cmp_class_f32_e64 vcc_lo, v17, 0x204
	v_fmac_f32_e32 v13, v14, v12
	v_add_f32_e32 v12, v17, v13
	v_cndmask_b32_e32 v16, v12, v17, vcc_lo
	v_sub_f32_e32 v12, v12, v17
	v_cmp_eq_f32_e32 vcc_lo, 0x42b17218, v16
	v_sub_f32_e32 v12, v13, v12
	v_cndmask_b32_e64 v18, 0, 0x37000000, vcc_lo
	v_cmp_neq_f32_e64 vcc_lo, 0x7f800000, |v16|
	v_sub_f32_e32 v19, v16, v18
	v_cndmask_b32_e32 v12, 0, v12, vcc_lo
	v_trunc_f32_e32 v16, v14
	v_mul_f32_e32 v20, 0x3fb8aa3b, v19
	v_cmp_ngt_f32_e32 vcc_lo, 0xc2ce8ed0, v19
	v_add_f32_e32 v12, v18, v12
	v_fma_f32 v21, 0x3fb8aa3b, v19, -v20
	v_rndne_f32_e32 v22, v20
	v_fmac_f32_e32 v21, 0x32a5705f, v19
	v_sub_f32_e32 v20, v20, v22
	v_cvt_i32_f32_e32 v17, v22
	v_add_f32_e32 v20, v20, v21
	v_exp_f32_e32 v20, v20
	v_ldexp_f32 v13, v20, v17
	v_mul_f32_e32 v17, 0.5, v14
	v_cndmask_b32_e32 v13, 0, v13, vcc_lo
	v_cmp_nlt_f32_e32 vcc_lo, 0x42b17218, v19
	v_trunc_f32_e32 v20, v17
	v_cndmask_b32_e32 v13, 0x7f800000, v13, vcc_lo
	v_cmp_eq_f32_e32 vcc_lo, v16, v14
	v_cmp_neq_f32_e64 s0, v20, v17
	v_fma_f32 v12, v13, v12, v13
	v_cmp_class_f32_e64 s1, v13, 0x204
	s_and_b32 s0, vcc_lo, s0
	v_cndmask_b32_e64 v16, 1.0, v15, s0
	v_cndmask_b32_e64 v18, 0, v15, s0
	v_cndmask_b32_e64 v12, v12, v13, s1
	;; [unrolled: 1-line block ×3, first 2 shown]
	v_cmp_gt_f32_e64 s1, 0, v14
	v_cmp_class_f32_e64 s0, v15, 0x204
	v_bfi_b32 v12, 0x7fffffff, v12, v16
	s_xor_b32 s1, s1, s2
	v_cndmask_b32_e64 v16, 0x7f800000, 0, s1
	v_cndmask_b32_e32 v17, 0x7fc00000, v12, vcc_lo
	v_cmp_neq_f32_e64 vcc_lo, |v15|, 1.0
	v_bfi_b32 v16, 0x7fffffff, v16, v18
	v_cndmask_b32_e32 v13, 1.0, v13, vcc_lo
	v_cmp_gt_f32_e32 vcc_lo, 0, v15
	v_cndmask_b32_e32 v12, v12, v17, vcc_lo
	v_cmp_class_f32_e64 vcc_lo, v14, 0x204
	v_cndmask_b32_e32 v12, v12, v13, vcc_lo
	s_or_b32 vcc_lo, s2, s0
	v_cndmask_b32_e32 v12, v12, v16, vcc_lo
	v_cmp_o_f32_e32 vcc_lo, v15, v14
	v_cndmask_b32_e32 v12, 0x7fc00000, v12, vcc_lo
	v_bfe_u32 v13, v12, 16, 1
	v_cmp_o_f32_e32 vcc_lo, v12, v12
	v_add3_u32 v12, v12, v13, 0x7fff
	v_cndmask_b32_sdwa v14, v11, v12, vcc_lo dst_sel:DWORD dst_unused:UNUSED_PAD src0_sel:DWORD src1_sel:WORD_1
	v_add_co_u32 v12, vcc_lo, v1, s22
	v_add_co_ci_u32_e64 v13, null, 0, v2, vcc_lo
	global_store_short v[12:13], v14, off
	s_branch .LBB84_3
.LBB84_20:
	s_cbranch_execz .LBB84_22
	s_branch .LBB84_25
.LBB84_21:
.LBB84_22:
	v_cmp_gt_i64_e64 s0, 0x10000, s[12:13]
	v_mov_b32_e32 v2, 0
	v_lshlrev_b32_e32 v1, 2, v0
	s_mov_b32 s18, 0
	s_and_b32 s0, s0, exec_lo
	s_cselect_b32 s17, s13, 0
	s_cselect_b32 s16, s12, 0x10000
	s_mov_b32 s0, exec_lo
	v_cmpx_gt_i64_e64 s[16:17], v[1:2]
	s_cbranch_execz .LBB84_25
; %bb.23:
	s_load_dword s0, s[4:5], 0xdd4
	v_mov_b32_e32 v1, v2
	v_lshlrev_b32_e32 v2, 3, v0
	s_mov_b32 s22, 0x3e76c4e1
	s_waitcnt lgkmcnt(0)
	s_and_b32 s19, s0, 0xffff
	s_add_u32 s0, s8, s10
	s_addc_u32 s1, s9, s11
	v_add_co_u32 v2, s0, s0, v2
	v_add_co_ci_u32_e64 v3, null, s1, 0, s0
	s_lshl_b32 s21, s19, 3
.LBB84_24:                              ; =>This Inner Loop Header: Depth=1
	global_load_dwordx2 v[4:5], v[2:3], off
	s_waitcnt vmcnt(0)
	v_lshlrev_b32_e32 v7, 16, v4
	v_and_b32_e32 v8, 0xffff0000, v4
	v_and_b32_e32 v10, 0xffff0000, v5
	v_alignbit_b32 v9, v5, v4, 16
	v_cmp_neq_f32_e32 vcc_lo, 1.0, v7
	v_and_b32_e32 v11, 0xffff0000, v9
	v_cndmask_b32_e64 v6, 1.0, s20, vcc_lo
	v_cmp_neq_f32_e32 vcc_lo, 1.0, v8
	v_trunc_f32_e32 v12, v6
	v_cndmask_b32_e64 v4, 1.0, s20, vcc_lo
	v_cmp_neq_f32_e32 vcc_lo, 1.0, v10
	v_mul_f32_e32 v13, 0.5, v6
	v_cmp_neq_f32_e64 s12, v6, |v6|
	v_cmp_gt_f32_e64 s6, 0, v6
	v_trunc_f32_e32 v14, v4
	v_cndmask_b32_e64 v5, 1.0, s20, vcc_lo
	v_cmp_neq_f32_e32 vcc_lo, 0, v6
	v_mul_f32_e32 v15, 0.5, v4
	v_cmp_neq_f32_e64 s8, v4, |v4|
	v_cmp_eq_f32_e64 s2, v12, v6
	v_cmp_gt_f32_e64 s9, 0, v5
	v_cndmask_b32_e32 v7, 1.0, v7, vcc_lo
	v_cmp_neq_f32_e32 vcc_lo, 0, v4
	v_trunc_f32_e32 v12, v13
	v_cmp_eq_f32_e64 s3, v14, v4
	v_trunc_f32_e32 v14, v15
	v_frexp_mant_f32_e64 v26, |v7|
	v_cndmask_b32_e32 v8, 1.0, v8, vcc_lo
	v_cmp_neq_f32_e32 vcc_lo, 1.0, v11
	v_cmp_lt_f32_e64 s13, |v7|, 1.0
	v_cvt_f64_f32_e64 v[18:19], |v7|
	v_cmp_gt_f32_e64 s10, 0x3f2aaaab, v26
	v_frexp_mant_f32_e64 v27, |v8|
	v_cndmask_b32_e64 v9, 1.0, s20, vcc_lo
	v_cmp_neq_f32_e32 vcc_lo, 0, v5
	v_cmp_lt_f32_e64 s14, |v8|, 1.0
	v_cvt_f64_f32_e64 v[20:21], |v8|
	v_cmp_neq_f32_e64 s15, v5, |v5|
	v_cmp_neq_f32_e64 s1, 0, v9
	v_cndmask_b32_e32 v10, 1.0, v10, vcc_lo
	v_cmp_eq_f32_e32 vcc_lo, 0, v7
	s_xor_b32 s12, s12, s13
	v_trunc_f32_e32 v28, v9
	v_cndmask_b32_e64 v11, 1.0, v11, s1
	v_cmp_eq_f32_e64 s1, 0, v10
	v_frexp_mant_f32_e64 v30, |v10|
	v_cmp_lt_f32_e64 s29, |v10|, 1.0
	s_xor_b32 s6, s6, vcc_lo
	v_mul_f32_e32 v29, 0.5, v9
	s_xor_b32 s9, s9, s1
	v_cndmask_b32_e64 v31, 1.0, 2.0, s10
	v_cmp_neq_f32_e64 s11, v12, v13
	v_cndmask_b32_e64 v12, 0x7f800000, 0, s12
	v_cndmask_b32_e64 v32, 0x7f800000, 0, s6
	v_cmp_gt_f32_e64 s12, 0x3f2aaaab, v27
	v_cmp_neq_f32_e64 s13, v14, v15
	s_xor_b32 s6, s8, s14
	v_frexp_mant_f32_e64 v15, |v11|
	v_cmp_gt_f32_e64 s14, 0x3f2aaaab, v30
	v_cndmask_b32_e64 v36, 0x7f800000, 0, s9
	v_cmp_neq_f32_e64 s9, |v7|, 1.0
	v_cvt_f64_f32_e64 v[22:23], |v10|
	v_cvt_f64_f32_e64 v[24:25], |v11|
	v_cmp_gt_f32_e64 s4, 0, v4
	v_cmp_eq_f32_e64 s0, 0, v8
	s_xor_b32 s15, s15, s29
	v_cndmask_b32_e64 v13, 1.0, 2.0, s12
	v_cndmask_b32_e64 v14, 0x7f800000, 0, s6
	v_cmp_eq_f32_e64 s6, v28, v9
	v_trunc_f32_e32 v28, v29
	v_cndmask_b32_e64 v34, 1.0, 2.0, s14
	v_cndmask_b32_e64 v35, 0x7f800000, 0, s15
	v_mul_f32_e32 v26, v26, v31
	v_cndmask_b32_e64 v12, 1.0, v12, s9
	v_cmp_neq_f32_e64 s9, |v8|, 1.0
	v_cmp_gt_f32_e64 s15, 0x3f2aaaab, v15
	s_xor_b32 s4, s4, s0
	s_and_b32 s13, s3, s13
	v_cndmask_b32_e64 v33, 0x7f800000, 0, s4
	v_mul_f32_e32 v27, v27, v13
	v_cndmask_b32_e64 v13, 1.0, v14, s9
	v_cndmask_b32_e64 v14, 1.0, 2.0, s15
	v_cmp_neq_f32_e64 s9, v28, v29
	v_mul_f32_e32 v28, v30, v34
	v_cndmask_b32_e64 v30, 0, v8, s13
	v_add_f32_e32 v34, 1.0, v26
	s_and_b32 s11, s2, s11
	v_add_f32_e32 v38, 1.0, v27
	v_cndmask_b32_e64 v29, 0, v7, s11
	v_mul_f32_e32 v39, v15, v14
	v_add_f32_e32 v41, 1.0, v28
	v_bfi_b32 v14, 0x7fffffff, v33, v30
	v_rcp_f32_e32 v30, v34
	v_frexp_exp_i32_f64_e32 v18, v[18:19]
	v_frexp_exp_i32_f64_e32 v19, v[20:21]
	v_add_f32_e32 v31, -1.0, v26
	v_bfi_b32 v15, 0x7fffffff, v32, v29
	v_add_f32_e32 v32, -1.0, v38
	v_rcp_f32_e32 v33, v38
	v_add_f32_e32 v43, 1.0, v39
	v_rcp_f32_e32 v45, v41
	v_frexp_exp_i32_f64_e32 v20, v[22:23]
	v_frexp_exp_i32_f64_e32 v24, v[24:25]
	v_add_f32_e32 v37, -1.0, v27
	v_add_f32_e32 v40, -1.0, v28
	;; [unrolled: 1-line block ×3, first 2 shown]
	v_rcp_f32_e32 v22, v43
	v_sub_f32_e32 v23, v27, v32
	v_mul_f32_e32 v27, v31, v30
	v_add_f32_e32 v42, -1.0, v39
	v_add_f32_e32 v44, -1.0, v41
	v_sub_f32_e32 v21, v26, v29
	v_mul_f32_e32 v29, v37, v33
	v_mul_f32_e32 v32, v40, v45
	;; [unrolled: 1-line block ×3, first 2 shown]
	v_add_f32_e32 v26, -1.0, v43
	v_sub_f32_e32 v28, v28, v44
	v_mul_f32_e32 v44, v38, v29
	v_mul_f32_e32 v46, v42, v22
	;; [unrolled: 1-line block ×3, first 2 shown]
	v_fma_f32 v34, v27, v34, -v25
	v_sub_f32_e32 v26, v39, v26
	v_fma_f32 v38, v29, v38, -v44
	v_mul_f32_e32 v39, v43, v46
	v_fma_f32 v41, v32, v41, -v47
	v_subrev_co_ci_u32_e64 v19, null, 0, v19, s12
	v_fmac_f32_e32 v34, v27, v21
	v_subrev_co_ci_u32_e64 v18, null, 0, v18, s10
	v_subrev_co_ci_u32_e64 v20, null, 0, v20, s14
	v_fmac_f32_e32 v38, v29, v23
	v_fma_f32 v21, v46, v43, -v39
	v_fmac_f32_e32 v41, v32, v28
	v_cvt_f32_i32_e32 v19, v19
	v_subrev_co_ci_u32_e64 v23, null, 0, v24, s15
	v_add_f32_e32 v24, v25, v34
	v_cvt_f32_i32_e32 v18, v18
	v_cvt_f32_i32_e32 v20, v20
	v_add_f32_e32 v28, v44, v38
	v_fmac_f32_e32 v21, v46, v26
	v_add_f32_e32 v26, v47, v41
	v_mul_f32_e32 v48, 0x3f317218, v19
	v_sub_f32_e32 v50, v31, v24
	v_mul_f32_e32 v43, 0x3f317218, v18
	v_mul_f32_e32 v49, 0x3f317218, v20
	v_sub_f32_e32 v25, v24, v25
	v_sub_f32_e32 v44, v28, v44
	;; [unrolled: 1-line block ×3, first 2 shown]
	v_add_f32_e32 v52, v39, v21
	v_sub_f32_e32 v53, v40, v26
	v_fma_f32 v55, 0x3f317218, v19, -v48
	v_sub_f32_e32 v31, v31, v50
	v_sub_f32_e32 v47, v26, v47
	v_fma_f32 v54, 0x3f317218, v18, -v43
	v_fma_f32 v57, 0x3f317218, v20, -v49
	v_sub_f32_e32 v25, v25, v34
	v_sub_f32_e32 v34, v37, v51
	;; [unrolled: 1-line block ×6, first 2 shown]
	v_fmac_f32_e32 v55, 0xb102e308, v19
	v_sub_f32_e32 v19, v31, v24
	v_sub_f32_e32 v41, v47, v41
	v_fmac_f32_e32 v54, 0xb102e308, v18
	v_fmac_f32_e32 v57, 0xb102e308, v20
	v_sub_f32_e32 v20, v34, v28
	v_sub_f32_e32 v24, v42, v39
	;; [unrolled: 1-line block ×3, first 2 shown]
	v_add_f32_e32 v19, v25, v19
	v_sub_f32_e32 v21, v38, v21
	v_add_f32_e32 v28, v43, v54
	v_add_f32_e32 v20, v37, v20
	v_sub_f32_e32 v24, v24, v52
	v_add_f32_e32 v25, v41, v26
	;; [unrolled: 3-line block ×3, first 2 shown]
	v_add_f32_e32 v21, v21, v24
	v_add_f32_e32 v24, v53, v25
	v_mul_f32_e32 v19, v30, v19
	v_add_f32_e32 v31, v48, v55
	v_sub_f32_e32 v25, v54, v26
	v_mul_f32_e32 v20, v33, v20
	v_add_f32_e32 v21, v39, v21
	v_mul_f32_e32 v24, v45, v24
	v_add_f32_e32 v26, v27, v19
	v_sub_f32_e32 v34, v31, v48
	v_add_f32_e32 v33, v29, v20
	v_mul_f32_e32 v21, v22, v21
	v_add_f32_e32 v22, v32, v24
	v_sub_f32_e32 v27, v26, v27
	v_sub_f32_e32 v30, v55, v34
	v_mul_f32_e32 v34, v26, v26
	v_sub_f32_e32 v29, v33, v29
	v_add_f32_e32 v39, v46, v21
	v_sub_f32_e32 v32, v22, v32
	v_sub_f32_e32 v19, v19, v27
	v_mul_f32_e32 v38, v33, v33
	v_mul_f32_e32 v40, v22, v22
	v_fma_f32 v27, v26, v26, -v34
	v_sub_f32_e32 v20, v20, v29
	v_sub_f32_e32 v41, v39, v46
	;; [unrolled: 1-line block ×3, first 2 shown]
	v_add_f32_e32 v32, v19, v19
	v_cvt_f32_i32_e32 v23, v23
	v_fma_f32 v29, v33, v33, -v38
	v_mul_f32_e32 v42, v39, v39
	v_fma_f32 v43, v22, v22, -v40
	v_add_f32_e32 v44, v20, v20
	v_sub_f32_e32 v21, v21, v41
	v_add_f32_e32 v41, v24, v24
	v_fmac_f32_e32 v27, v26, v32
	v_mul_f32_e32 v56, 0x3f317218, v23
	v_fma_f32 v32, v39, v39, -v42
	v_fmac_f32_e32 v29, v33, v44
	v_add_f32_e32 v44, v21, v21
	v_fmac_f32_e32 v43, v22, v41
	v_add_f32_e32 v41, v34, v27
	v_fma_f32 v18, 0x3f317218, v23, -v56
	v_add_f32_e32 v45, v38, v29
	v_fmac_f32_e32 v32, v39, v44
	v_add_f32_e32 v44, v40, v43
	v_fmaak_f32 v46, s22, v41, 0x3e91f4c4
	v_fmac_f32_e32 v18, 0xb102e308, v23
	v_add_f32_e32 v23, v49, v57
	v_sub_f32_e32 v34, v41, v34
	v_mul_f32_e32 v47, v26, v41
	v_fmaak_f32 v48, s22, v45, 0x3e91f4c4
	v_add_f32_e32 v50, v42, v32
	v_fmaak_f32 v46, v41, v46, 0x3ecccdef
	v_sub_f32_e32 v37, v23, v49
	v_sub_f32_e32 v38, v45, v38
	v_mul_f32_e32 v49, v33, v45
	v_fmaak_f32 v51, s22, v44, 0x3e91f4c4
	v_sub_f32_e32 v27, v27, v34
	v_fma_f32 v34, v41, v26, -v47
	v_fmaak_f32 v48, v45, v48, 0x3ecccdef
	v_fmaak_f32 v53, s22, v50, 0x3e91f4c4
	v_mul_f32_e32 v55, v41, v46
	v_sub_f32_e32 v37, v57, v37
	v_sub_f32_e32 v40, v44, v40
	v_mul_f32_e32 v52, v22, v44
	v_sub_f32_e32 v29, v29, v38
	v_fma_f32 v38, v45, v33, -v49
	v_sub_f32_e32 v42, v50, v42
	v_mul_f32_e32 v54, v39, v50
	v_fmaak_f32 v51, v44, v51, 0x3ecccdef
	v_fmac_f32_e32 v34, v41, v19
	v_mul_f32_e32 v57, v45, v48
	v_fmaak_f32 v53, v50, v53, 0x3ecccdef
	v_fma_f32 v41, v41, v46, -v55
	v_sub_f32_e32 v40, v43, v40
	v_fma_f32 v43, v44, v22, -v52
	v_fmac_f32_e32 v38, v45, v20
	v_sub_f32_e32 v32, v32, v42
	v_fma_f32 v42, v50, v39, -v54
	v_mul_f32_e32 v58, v44, v51
	v_fma_f32 v45, v45, v48, -v57
	v_mul_f32_e32 v59, v50, v53
	v_fmac_f32_e32 v41, v27, v46
	v_fmac_f32_e32 v43, v44, v24
	;; [unrolled: 1-line block ×4, first 2 shown]
	v_fma_f32 v44, v44, v51, -v58
	v_fmac_f32_e32 v45, v29, v48
	v_fma_f32 v29, v50, v53, -v59
	v_add_f32_e32 v48, v55, v41
	v_fmac_f32_e32 v43, v40, v22
	v_fmac_f32_e32 v42, v32, v39
	;; [unrolled: 1-line block ×3, first 2 shown]
	v_add_f32_e32 v40, v57, v45
	v_fmac_f32_e32 v29, v32, v53
	v_sub_f32_e32 v32, v48, v55
	v_add_f32_e32 v50, 0x3f2aaaaa, v48
	v_add_f32_e32 v51, v58, v44
	;; [unrolled: 1-line block ×3, first 2 shown]
	v_sub_f32_e32 v55, v40, v57
	v_sub_f32_e32 v32, v41, v32
	v_add_f32_e32 v41, 0xbf2aaaaa, v50
	v_sub_f32_e32 v58, v51, v58
	v_fmac_f32_e32 v34, v27, v26
	v_sub_f32_e32 v45, v45, v55
	v_add_f32_e32 v55, 0xbf2aaaaa, v53
	v_sub_f32_e32 v41, v48, v41
	v_add_f32_e32 v48, 0x3f2aaaaa, v51
	v_add_f32_e32 v32, 0x31739010, v32
	v_sub_f32_e32 v44, v44, v58
	v_add_f32_e32 v45, 0x31739010, v45
	v_sub_f32_e32 v40, v40, v55
	v_add_f32_e32 v55, 0xbf2aaaaa, v48
	v_add_f32_e32 v32, v32, v41
	;; [unrolled: 1-line block ×5, first 2 shown]
	v_sub_f32_e32 v45, v51, v55
	v_add_f32_e32 v27, v47, v34
	v_sub_f32_e32 v55, v41, v59
	v_add_f32_e32 v51, v50, v32
	v_add_f32_e32 v58, v53, v40
	;; [unrolled: 1-line block ×4, first 2 shown]
	v_sub_f32_e32 v29, v29, v55
	v_sub_f32_e32 v45, v50, v51
	;; [unrolled: 1-line block ×3, first 2 shown]
	v_add_f32_e32 v55, v48, v44
	v_mul_f32_e32 v50, v27, v51
	v_sub_f32_e32 v47, v27, v47
	v_add_f32_e32 v32, v32, v45
	v_add_f32_e32 v40, v40, v53
	;; [unrolled: 1-line block ×3, first 2 shown]
	v_sub_f32_e32 v48, v48, v55
	v_fma_f32 v45, v27, v51, -v50
	v_add_f32_e32 v29, 0x31739010, v29
	v_add_f32_e32 v57, v52, v43
	v_mul_f32_e32 v59, v46, v58
	v_add_f32_e32 v44, v44, v48
	v_add_f32_e32 v48, 0xbf2aaaaa, v53
	v_fmac_f32_e32 v45, v27, v32
	v_sub_f32_e32 v34, v34, v47
	v_fma_f32 v27, v46, v58, -v59
	v_mul_f32_e32 v32, v57, v55
	v_sub_f32_e32 v41, v41, v48
	v_sub_f32_e32 v49, v46, v49
	v_fmac_f32_e32 v45, v34, v51
	v_add_f32_e32 v51, v54, v42
	v_fmac_f32_e32 v27, v46, v40
	v_add_f32_e32 v29, v29, v41
	v_fma_f32 v40, v57, v55, -v32
	v_sub_f32_e32 v52, v57, v52
	v_sub_f32_e32 v38, v38, v49
	;; [unrolled: 1-line block ×3, first 2 shown]
	v_add_f32_e32 v34, v53, v29
	v_fmac_f32_e32 v40, v57, v44
	v_sub_f32_e32 v43, v43, v52
	v_ldexp_f32 v26, v26, 1
	v_sub_f32_e32 v42, v42, v54
	v_sub_f32_e32 v49, v53, v34
	v_mul_f32_e32 v53, v51, v34
	v_fmac_f32_e32 v27, v38, v58
	v_fmac_f32_e32 v40, v43, v55
	v_ldexp_f32 v33, v33, 1
	v_add_f32_e32 v29, v29, v49
	v_fma_f32 v49, v51, v34, -v53
	v_ldexp_f32 v22, v22, 1
	v_add_f32_e32 v38, v59, v27
	v_ldexp_f32 v39, v39, 1
	v_ldexp_f32 v19, v19, 1
	v_fmac_f32_e32 v49, v51, v29
	v_add_f32_e32 v29, v50, v45
	v_add_f32_e32 v51, v33, v38
	v_ldexp_f32 v20, v20, 1
	v_ldexp_f32 v24, v24, 1
	v_fmac_f32_e32 v49, v42, v34
	v_add_f32_e32 v34, v32, v40
	v_sub_f32_e32 v42, v29, v50
	v_add_f32_e32 v43, v26, v29
	v_sub_f32_e32 v50, v38, v59
	;; [unrolled: 2-line block ×4, first 2 shown]
	v_sub_f32_e32 v26, v43, v26
	v_sub_f32_e32 v27, v27, v50
	;; [unrolled: 1-line block ×4, first 2 shown]
	v_add_f32_e32 v50, v39, v52
	v_sub_f32_e32 v32, v40, v32
	v_sub_f32_e32 v22, v54, v22
	;; [unrolled: 1-line block ×3, first 2 shown]
	v_add_f32_e32 v19, v19, v42
	v_ldexp_f32 v21, v21, 1
	v_sub_f32_e32 v29, v38, v33
	v_add_f32_e32 v20, v20, v27
	v_sub_f32_e32 v27, v49, v45
	v_sub_f32_e32 v33, v50, v39
	;; [unrolled: 1-line block ×3, first 2 shown]
	v_add_f32_e32 v24, v24, v32
	v_add_f32_e32 v19, v19, v26
	v_add_f32_e32 v20, v20, v29
	v_sub_f32_e32 v26, v52, v33
	v_add_f32_e32 v21, v21, v27
	v_add_f32_e32 v22, v24, v22
	;; [unrolled: 1-line block ×7, first 2 shown]
	v_sub_f32_e32 v29, v24, v43
	v_add_f32_e32 v32, v28, v24
	v_sub_f32_e32 v33, v27, v51
	v_add_f32_e32 v34, v31, v27
	;; [unrolled: 2-line block ×3, first 2 shown]
	v_sub_f32_e32 v19, v19, v29
	v_sub_f32_e32 v29, v32, v28
	v_add_f32_e32 v38, v50, v21
	v_sub_f32_e32 v20, v20, v33
	v_sub_f32_e32 v33, v34, v31
	v_sub_f32_e32 v22, v22, v39
	v_sub_f32_e32 v39, v40, v23
	v_sub_f32_e32 v45, v32, v29
	v_sub_f32_e32 v24, v24, v29
	v_add_f32_e32 v29, v25, v19
	v_sub_f32_e32 v56, v47, v56
	v_sub_f32_e32 v42, v38, v50
	v_add_f32_e32 v43, v47, v38
	v_sub_f32_e32 v49, v34, v33
	v_sub_f32_e32 v27, v27, v33
	;; [unrolled: 3-line block ×3, first 2 shown]
	v_sub_f32_e32 v45, v29, v25
	v_sub_f32_e32 v18, v18, v56
	;; [unrolled: 1-line block ×8, first 2 shown]
	v_add_f32_e32 v24, v24, v28
	v_sub_f32_e32 v28, v29, v45
	v_add_f32_e32 v39, v37, v22
	v_sub_f32_e32 v51, v43, v42
	v_sub_f32_e32 v38, v38, v42
	v_add_f32_e32 v42, v18, v21
	v_sub_f32_e32 v19, v19, v45
	v_add_f32_e32 v27, v27, v31
	;; [unrolled: 2-line block ×4, first 2 shown]
	v_sub_f32_e32 v50, v39, v37
	v_sub_f32_e32 v20, v20, v49
	;; [unrolled: 1-line block ×5, first 2 shown]
	v_add_f32_e32 v27, v33, v27
	v_add_f32_e32 v23, v39, v23
	v_add_f32_e32 v19, v19, v25
	v_add_f32_e32 v25, v32, v24
	v_sub_f32_e32 v26, v39, v50
	v_add_f32_e32 v29, v38, v45
	v_sub_f32_e32 v30, v42, v47
	v_add_f32_e32 v20, v20, v28
	v_add_f32_e32 v28, v34, v27
	;; [unrolled: 1-line block ×3, first 2 shown]
	v_sub_f32_e32 v32, v25, v32
	v_sub_f32_e32 v22, v22, v50
	;; [unrolled: 1-line block ×3, first 2 shown]
	v_add_f32_e32 v29, v42, v29
	v_sub_f32_e32 v18, v18, v30
	v_sub_f32_e32 v30, v28, v34
	;; [unrolled: 1-line block ×4, first 2 shown]
	v_add_f32_e32 v33, v43, v29
	v_add_f32_e32 v22, v22, v26
	v_sub_f32_e32 v26, v27, v30
	v_sub_f32_e32 v23, v23, v34
	v_add_f32_e32 v19, v19, v24
	v_sub_f32_e32 v21, v21, v47
	v_sub_f32_e32 v27, v33, v43
	v_add_f32_e32 v20, v20, v26
	v_add_f32_e32 v22, v22, v23
	;; [unrolled: 1-line block ×3, first 2 shown]
	v_trunc_f32_e32 v16, v5
	v_mul_f32_e32 v17, 0.5, v5
	v_add_f32_e32 v18, v21, v18
	v_sub_f32_e32 v21, v29, v27
	v_add_f32_e32 v26, v28, v20
	v_sub_f32_e32 v25, v23, v25
	v_mul_f32_e32 v27, v6, v23
	v_cmp_eq_f32_e64 s5, v16, v5
	v_trunc_f32_e32 v16, v17
	v_cmp_gt_f32_e64 s7, 0, v9
	v_cmp_eq_f32_e64 s4, 0, v11
	v_add_f32_e32 v18, v18, v21
	v_add_f32_e32 v21, v31, v22
	v_sub_f32_e32 v28, v26, v28
	v_mul_f32_e32 v29, v4, v26
	v_sub_f32_e32 v19, v19, v25
	v_fma_f32 v23, v6, v23, -v27
	v_cmp_neq_f32_e64 s8, v16, v17
	s_xor_b32 s7, s7, s4
	v_add_f32_e32 v30, v33, v18
	v_sub_f32_e32 v31, v21, v31
	v_mul_f32_e32 v32, v5, v21
	v_sub_f32_e32 v20, v20, v28
	v_fma_f32 v25, v4, v26, -v29
	v_fmac_f32_e32 v23, v6, v19
	v_cndmask_b32_e64 v48, 0x7f800000, 0, s7
	s_and_b32 s7, s5, s8
	v_sub_f32_e32 v26, v30, v33
	v_cndmask_b32_e64 v44, 1.0, v10, s7
	v_cndmask_b32_e64 v57, 0, v10, s7
	s_and_b32 s7, s6, s9
	v_mul_f32_e32 v28, v9, v30
	v_cndmask_b32_e64 v41, 1.0, v11, s7
	v_cndmask_b32_e64 v24, 0, v11, s7
	v_sub_f32_e32 v22, v22, v31
	v_fma_f32 v21, v5, v21, -v32
	v_fmac_f32_e32 v25, v4, v20
	v_add_f32_e32 v20, v27, v23
	v_cmp_class_f32_e64 s7, v27, 0x204
	v_sub_f32_e32 v18, v18, v26
	v_fma_f32 v19, v9, v30, -v28
	v_fmac_f32_e32 v21, v5, v22
	v_add_f32_e32 v26, v29, v25
	v_sub_f32_e32 v30, v20, v27
	v_cndmask_b32_e64 v20, v20, v27, s7
	v_cmp_class_f32_e64 s7, v29, 0x204
	v_fmac_f32_e32 v19, v9, v18
	v_add_f32_e32 v18, v32, v21
	v_sub_f32_e32 v27, v26, v29
	v_sub_f32_e32 v23, v23, v30
	v_cndmask_b32_e64 v26, v26, v29, s7
	v_cmp_class_f32_e64 s7, v32, 0x204
	v_sub_f32_e32 v31, v18, v32
	v_add_f32_e32 v29, v28, v19
	v_sub_f32_e32 v25, v25, v27
	v_bfi_b32 v22, 0x7fffffff, v36, v57
	v_cndmask_b32_e64 v18, v18, v32, s7
	v_cmp_eq_f32_e64 s7, 0x42b17218, v20
	v_sub_f32_e32 v32, v29, v28
	v_sub_f32_e32 v21, v21, v31
	v_cndmask_b32_e64 v16, 1.0, v7, s11
	v_cndmask_b32_e64 v17, 1.0, v8, s13
	v_cndmask_b32_e64 v30, 0, 0x37000000, s7
	v_cmp_eq_f32_e64 s7, 0x42b17218, v26
	v_sub_f32_e32 v19, v19, v32
	v_cmp_neq_f32_e64 s27, v9, |v9|
	v_cmp_lt_f32_e64 s28, |v11|, 1.0
	v_cmp_neq_f32_e64 s8, |v10|, 1.0
	v_cndmask_b32_e64 v27, 0, 0x37000000, s7
	v_cmp_class_f32_e64 s7, v28, 0x204
	v_cmp_class_f32_e64 s23, v7, 0x204
	;; [unrolled: 1-line block ×3, first 2 shown]
	s_xor_b32 s10, s27, s28
	v_cndmask_b32_e64 v35, 1.0, v35, s8
	v_cndmask_b32_e64 v28, v29, v28, s7
	v_cmp_eq_f32_e64 s7, 0x42b17218, v18
	v_cndmask_b32_e64 v46, 0x7f800000, 0, s10
	v_cmp_neq_f32_e64 s8, |v11|, 1.0
	s_or_b32 vcc_lo, vcc_lo, s23
	v_cmp_class_f32_e64 s25, v10, 0x204
	v_cndmask_b32_e64 v29, 0, 0x37000000, s7
	v_cmp_neq_f32_e64 s7, 0x7f800000, |v20|
	v_sub_f32_e32 v20, v20, v30
	v_cndmask_b32_e64 v46, 1.0, v46, s8
	v_cmp_class_f32_e64 s26, v11, 0x204
	v_cndmask_b32_e64 v23, 0, v23, s7
	v_cmp_neq_f32_e64 s7, 0x7f800000, |v26|
	v_sub_f32_e32 v26, v26, v27
	v_add_f32_e32 v23, v30, v23
	v_cndmask_b32_e64 v25, 0, v25, s7
	v_cmp_eq_f32_e64 s7, 0x42b17218, v28
	v_mul_f32_e32 v30, 0x3fb8aa3b, v20
	v_add_f32_e32 v25, v27, v25
	v_cndmask_b32_e64 v31, 0, 0x37000000, s7
	v_cmp_neq_f32_e64 s7, 0x7f800000, |v18|
	v_sub_f32_e32 v18, v18, v29
	v_mul_f32_e32 v27, 0x3fb8aa3b, v26
	v_fma_f32 v34, 0x3fb8aa3b, v20, -v30
	v_rndne_f32_e32 v36, v30
	v_sub_f32_e32 v32, v28, v31
	v_mul_f32_e32 v33, 0x3fb8aa3b, v18
	v_fma_f32 v37, 0x3fb8aa3b, v26, -v27
	v_rndne_f32_e32 v38, v27
	v_fmac_f32_e32 v34, 0x32a5705f, v20
	v_sub_f32_e32 v30, v30, v36
	v_mul_f32_e32 v39, 0x3fb8aa3b, v32
	v_fma_f32 v40, 0x3fb8aa3b, v18, -v33
	v_rndne_f32_e32 v42, v33
	v_fmac_f32_e32 v37, 0x32a5705f, v26
	v_sub_f32_e32 v27, v27, v38
	v_add_f32_e32 v30, v30, v34
	v_cndmask_b32_e64 v21, 0, v21, s7
	v_fma_f32 v43, 0x3fb8aa3b, v32, -v39
	v_rndne_f32_e32 v45, v39
	v_fmac_f32_e32 v40, 0x32a5705f, v18
	v_sub_f32_e32 v33, v33, v42
	v_add_f32_e32 v27, v27, v37
	v_cmp_neq_f32_e64 s7, 0x7f800000, |v28|
	v_exp_f32_e32 v28, v30
	v_fmac_f32_e32 v43, 0x32a5705f, v32
	v_sub_f32_e32 v34, v39, v45
	v_add_f32_e32 v33, v33, v40
	v_exp_f32_e32 v27, v27
	v_add_f32_e32 v21, v29, v21
	v_cvt_i32_f32_e32 v29, v36
	v_cndmask_b32_e64 v19, 0, v19, s7
	v_add_f32_e32 v30, v34, v43
	v_exp_f32_e32 v33, v33
	v_cvt_i32_f32_e32 v34, v38
	v_ldexp_f32 v28, v28, v29
	v_cmp_ngt_f32_e64 s7, 0xc2ce8ed0, v20
	v_cvt_i32_f32_e32 v36, v42
	v_exp_f32_e32 v30, v30
	v_ldexp_f32 v27, v27, v34
	v_add_f32_e32 v19, v31, v19
	v_cndmask_b32_e64 v28, 0, v28, s7
	v_cmp_ngt_f32_e64 s7, 0xc2ce8ed0, v26
	v_cvt_i32_f32_e32 v29, v45
	v_ldexp_f32 v31, v33, v36
	v_cndmask_b32_e64 v27, 0, v27, s7
	v_cmp_ngt_f32_e64 s7, 0xc2ce8ed0, v18
	v_ldexp_f32 v29, v30, v29
	v_cndmask_b32_e64 v30, 0, v31, s7
	v_cmp_nlt_f32_e64 s7, 0x42b17218, v20
	v_cndmask_b32_e64 v20, 0x7f800000, v28, s7
	v_cmp_nlt_f32_e64 s7, 0x42b17218, v26
	v_fma_f32 v23, v20, v23, v20
	v_cndmask_b32_e64 v26, 0x7f800000, v27, s7
	v_cmp_ngt_f32_e64 s7, 0xc2ce8ed0, v32
	v_fma_f32 v25, v26, v25, v26
	v_cndmask_b32_e64 v27, 0, v29, s7
	v_cmp_nlt_f32_e64 s7, 0x42b17218, v18
	v_cndmask_b32_e64 v18, 0x7f800000, v30, s7
	v_cmp_nlt_f32_e64 s7, 0x42b17218, v32
	v_fma_f32 v21, v18, v21, v18
	v_cndmask_b32_e64 v27, 0x7f800000, v27, s7
	v_cmp_class_f32_e64 s7, v20, 0x204
	v_fma_f32 v19, v27, v19, v27
	v_cndmask_b32_e64 v20, v23, v20, s7
	v_cmp_class_f32_e64 s7, v26, 0x204
	v_bfi_b32 v16, 0x7fffffff, v20, v16
	v_cndmask_b32_e64 v23, v25, v26, s7
	v_cmp_class_f32_e64 s7, v18, 0x204
	v_bfi_b32 v20, 0x7fffffff, v48, v24
	v_bfi_b32 v17, 0x7fffffff, v23, v17
	v_cndmask_b32_e64 v18, v21, v18, s7
	v_cndmask_b32_e64 v21, 0x7fc00000, v16, s2
	v_cmp_gt_f32_e64 s2, 0, v7
	v_cmp_class_f32_e64 s7, v27, 0x204
	v_cndmask_b32_e64 v23, 0x7fc00000, v17, s3
	v_bfi_b32 v18, 0x7fffffff, v18, v44
	v_cndmask_b32_e64 v16, v16, v21, s2
	v_cmp_gt_f32_e64 s2, 0, v8
	v_cndmask_b32_e64 v19, v19, v27, s7
	v_cndmask_b32_e64 v24, 0x7fc00000, v18, s5
	;; [unrolled: 1-line block ×3, first 2 shown]
	v_cmp_gt_f32_e64 s2, 0, v10
	v_bfi_b32 v19, 0x7fffffff, v19, v41
	v_cndmask_b32_e64 v18, v18, v24, s2
	v_cmp_class_f32_e64 s2, v6, 0x204
	v_cndmask_b32_e64 v21, 0x7fc00000, v19, s6
	v_cndmask_b32_e64 v12, v16, v12, s2
	v_cmp_class_f32_e64 s2, v4, 0x204
	v_cndmask_b32_e32 v12, v12, v15, vcc_lo
	v_cndmask_b32_e64 v13, v17, v13, s2
	v_cmp_gt_f32_e64 s2, 0, v11
	s_or_b32 vcc_lo, s0, s24
	v_cndmask_b32_e32 v13, v13, v14, vcc_lo
	v_cndmask_b32_e64 v16, v19, v21, s2
	v_cmp_class_f32_e64 s2, v5, 0x204
	v_cmp_class_f32_e64 vcc_lo, v9, 0x204
	v_cndmask_b32_e64 v17, v18, v35, s2
	v_cndmask_b32_e32 v14, v16, v46, vcc_lo
	s_or_b32 vcc_lo, s1, s25
	v_cndmask_b32_e32 v15, v17, v22, vcc_lo
	v_cmp_o_f32_e32 vcc_lo, v7, v6
	v_cndmask_b32_e32 v6, 0x7fc00000, v12, vcc_lo
	s_or_b32 vcc_lo, s4, s26
	v_cndmask_b32_e32 v7, v14, v20, vcc_lo
	v_cmp_o_f32_e32 vcc_lo, v8, v4
	v_bfe_u32 v8, v6, 16, 1
	v_cndmask_b32_e32 v4, 0x7fc00000, v13, vcc_lo
	v_cmp_o_f32_e32 vcc_lo, v10, v5
	v_add3_u32 v8, v6, v8, 0x7fff
	v_cndmask_b32_e32 v5, 0x7fc00000, v15, vcc_lo
	v_cmp_o_f32_e32 vcc_lo, v11, v9
	v_bfe_u32 v9, v4, 16, 1
	v_lshrrev_b32_e32 v8, 16, v8
	v_bfe_u32 v10, v5, 16, 1
	v_cndmask_b32_e32 v7, 0x7fc00000, v7, vcc_lo
	v_add3_u32 v9, v4, v9, 0x7fff
	v_add_co_u32 v0, vcc_lo, v0, s19
	v_add_co_ci_u32_e64 v1, null, 0, v1, vcc_lo
	v_and_b32_e32 v9, 0xffff0000, v9
	v_cmp_o_f32_e32 vcc_lo, v4, v4
	v_bfe_u32 v11, v7, 16, 1
	v_add3_u32 v10, v5, v10, 0x7fff
	v_cndmask_b32_e32 v4, 0x7fc00000, v9, vcc_lo
	v_cmp_o_f32_e32 vcc_lo, v6, v6
	v_add3_u32 v11, v7, v11, 0x7fff
	v_and_b32_e32 v10, 0xffff0000, v10
	v_cndmask_b32_e32 v6, 0x7fc0, v8, vcc_lo
	v_cmp_o_f32_e32 vcc_lo, v5, v5
	v_lshrrev_b32_e32 v11, 16, v11
	v_or_b32_e32 v6, v6, v4
	v_cndmask_b32_e32 v8, 0x7fc00000, v10, vcc_lo
	v_cmp_o_f32_e32 vcc_lo, v7, v7
	v_lshlrev_b64 v[4:5], 2, v[0:1]
	v_or3_b32 v6, v6, 0, 0
	v_cndmask_b32_e32 v7, 0x7fc0, v11, vcc_lo
	v_cmp_le_i64_e32 vcc_lo, s[16:17], v[4:5]
	v_or3_b32 v7, 0, v7, v8
	s_or_b32 s18, vcc_lo, s18
	global_store_dwordx2 v[2:3], v[6:7], off
	v_add_co_u32 v2, s0, v2, s21
	v_add_co_ci_u32_e64 v3, null, 0, v3, s0
	s_andn2_b32 exec_lo, exec_lo, s18
	s_cbranch_execnz .LBB84_24
.LBB84_25:
	s_endpgm
	.section	.rodata,"a",@progbits
	.p2align	6, 0x0
	.amdhsa_kernel _ZN2at6native12_GLOBAL__N_125multi_tensor_apply_kernelINS1_28TensorListScalarListMetadataIfLi1EEENS1_25BinaryOpScalarListFunctorIN3c108BFloat16ELi1ELi1ELi0EEEJNS1_13power_functorIfEEEEEvT_T0_DpT1_
		.amdhsa_group_segment_fixed_size 0
		.amdhsa_private_segment_fixed_size 0
		.amdhsa_kernarg_size 3784
		.amdhsa_user_sgpr_count 6
		.amdhsa_user_sgpr_private_segment_buffer 1
		.amdhsa_user_sgpr_dispatch_ptr 0
		.amdhsa_user_sgpr_queue_ptr 0
		.amdhsa_user_sgpr_kernarg_segment_ptr 1
		.amdhsa_user_sgpr_dispatch_id 0
		.amdhsa_user_sgpr_flat_scratch_init 0
		.amdhsa_user_sgpr_private_segment_size 0
		.amdhsa_wavefront_size32 1
		.amdhsa_uses_dynamic_stack 0
		.amdhsa_system_sgpr_private_segment_wavefront_offset 0
		.amdhsa_system_sgpr_workgroup_id_x 1
		.amdhsa_system_sgpr_workgroup_id_y 0
		.amdhsa_system_sgpr_workgroup_id_z 0
		.amdhsa_system_sgpr_workgroup_info 0
		.amdhsa_system_vgpr_workitem_id 0
		.amdhsa_next_free_vgpr 60
		.amdhsa_next_free_sgpr 30
		.amdhsa_reserve_vcc 1
		.amdhsa_reserve_flat_scratch 0
		.amdhsa_float_round_mode_32 0
		.amdhsa_float_round_mode_16_64 0
		.amdhsa_float_denorm_mode_32 3
		.amdhsa_float_denorm_mode_16_64 3
		.amdhsa_dx10_clamp 1
		.amdhsa_ieee_mode 1
		.amdhsa_fp16_overflow 0
		.amdhsa_workgroup_processor_mode 1
		.amdhsa_memory_ordered 1
		.amdhsa_forward_progress 1
		.amdhsa_shared_vgpr_count 0
		.amdhsa_exception_fp_ieee_invalid_op 0
		.amdhsa_exception_fp_denorm_src 0
		.amdhsa_exception_fp_ieee_div_zero 0
		.amdhsa_exception_fp_ieee_overflow 0
		.amdhsa_exception_fp_ieee_underflow 0
		.amdhsa_exception_fp_ieee_inexact 0
		.amdhsa_exception_int_div_zero 0
	.end_amdhsa_kernel
	.section	.text._ZN2at6native12_GLOBAL__N_125multi_tensor_apply_kernelINS1_28TensorListScalarListMetadataIfLi1EEENS1_25BinaryOpScalarListFunctorIN3c108BFloat16ELi1ELi1ELi0EEEJNS1_13power_functorIfEEEEEvT_T0_DpT1_,"axG",@progbits,_ZN2at6native12_GLOBAL__N_125multi_tensor_apply_kernelINS1_28TensorListScalarListMetadataIfLi1EEENS1_25BinaryOpScalarListFunctorIN3c108BFloat16ELi1ELi1ELi0EEEJNS1_13power_functorIfEEEEEvT_T0_DpT1_,comdat
.Lfunc_end84:
	.size	_ZN2at6native12_GLOBAL__N_125multi_tensor_apply_kernelINS1_28TensorListScalarListMetadataIfLi1EEENS1_25BinaryOpScalarListFunctorIN3c108BFloat16ELi1ELi1ELi0EEEJNS1_13power_functorIfEEEEEvT_T0_DpT1_, .Lfunc_end84-_ZN2at6native12_GLOBAL__N_125multi_tensor_apply_kernelINS1_28TensorListScalarListMetadataIfLi1EEENS1_25BinaryOpScalarListFunctorIN3c108BFloat16ELi1ELi1ELi0EEEJNS1_13power_functorIfEEEEEvT_T0_DpT1_
                                        ; -- End function
	.set _ZN2at6native12_GLOBAL__N_125multi_tensor_apply_kernelINS1_28TensorListScalarListMetadataIfLi1EEENS1_25BinaryOpScalarListFunctorIN3c108BFloat16ELi1ELi1ELi0EEEJNS1_13power_functorIfEEEEEvT_T0_DpT1_.num_vgpr, 60
	.set _ZN2at6native12_GLOBAL__N_125multi_tensor_apply_kernelINS1_28TensorListScalarListMetadataIfLi1EEENS1_25BinaryOpScalarListFunctorIN3c108BFloat16ELi1ELi1ELi0EEEJNS1_13power_functorIfEEEEEvT_T0_DpT1_.num_agpr, 0
	.set _ZN2at6native12_GLOBAL__N_125multi_tensor_apply_kernelINS1_28TensorListScalarListMetadataIfLi1EEENS1_25BinaryOpScalarListFunctorIN3c108BFloat16ELi1ELi1ELi0EEEJNS1_13power_functorIfEEEEEvT_T0_DpT1_.numbered_sgpr, 30
	.set _ZN2at6native12_GLOBAL__N_125multi_tensor_apply_kernelINS1_28TensorListScalarListMetadataIfLi1EEENS1_25BinaryOpScalarListFunctorIN3c108BFloat16ELi1ELi1ELi0EEEJNS1_13power_functorIfEEEEEvT_T0_DpT1_.num_named_barrier, 0
	.set _ZN2at6native12_GLOBAL__N_125multi_tensor_apply_kernelINS1_28TensorListScalarListMetadataIfLi1EEENS1_25BinaryOpScalarListFunctorIN3c108BFloat16ELi1ELi1ELi0EEEJNS1_13power_functorIfEEEEEvT_T0_DpT1_.private_seg_size, 0
	.set _ZN2at6native12_GLOBAL__N_125multi_tensor_apply_kernelINS1_28TensorListScalarListMetadataIfLi1EEENS1_25BinaryOpScalarListFunctorIN3c108BFloat16ELi1ELi1ELi0EEEJNS1_13power_functorIfEEEEEvT_T0_DpT1_.uses_vcc, 1
	.set _ZN2at6native12_GLOBAL__N_125multi_tensor_apply_kernelINS1_28TensorListScalarListMetadataIfLi1EEENS1_25BinaryOpScalarListFunctorIN3c108BFloat16ELi1ELi1ELi0EEEJNS1_13power_functorIfEEEEEvT_T0_DpT1_.uses_flat_scratch, 0
	.set _ZN2at6native12_GLOBAL__N_125multi_tensor_apply_kernelINS1_28TensorListScalarListMetadataIfLi1EEENS1_25BinaryOpScalarListFunctorIN3c108BFloat16ELi1ELi1ELi0EEEJNS1_13power_functorIfEEEEEvT_T0_DpT1_.has_dyn_sized_stack, 0
	.set _ZN2at6native12_GLOBAL__N_125multi_tensor_apply_kernelINS1_28TensorListScalarListMetadataIfLi1EEENS1_25BinaryOpScalarListFunctorIN3c108BFloat16ELi1ELi1ELi0EEEJNS1_13power_functorIfEEEEEvT_T0_DpT1_.has_recursion, 0
	.set _ZN2at6native12_GLOBAL__N_125multi_tensor_apply_kernelINS1_28TensorListScalarListMetadataIfLi1EEENS1_25BinaryOpScalarListFunctorIN3c108BFloat16ELi1ELi1ELi0EEEJNS1_13power_functorIfEEEEEvT_T0_DpT1_.has_indirect_call, 0
	.section	.AMDGPU.csdata,"",@progbits
; Kernel info:
; codeLenInByte = 9036
; TotalNumSgprs: 32
; NumVgprs: 60
; ScratchSize: 0
; MemoryBound: 0
; FloatMode: 240
; IeeeMode: 1
; LDSByteSize: 0 bytes/workgroup (compile time only)
; SGPRBlocks: 0
; VGPRBlocks: 7
; NumSGPRsForWavesPerEU: 32
; NumVGPRsForWavesPerEU: 60
; Occupancy: 16
; WaveLimiterHint : 0
; COMPUTE_PGM_RSRC2:SCRATCH_EN: 0
; COMPUTE_PGM_RSRC2:USER_SGPR: 6
; COMPUTE_PGM_RSRC2:TRAP_HANDLER: 0
; COMPUTE_PGM_RSRC2:TGID_X_EN: 1
; COMPUTE_PGM_RSRC2:TGID_Y_EN: 0
; COMPUTE_PGM_RSRC2:TGID_Z_EN: 0
; COMPUTE_PGM_RSRC2:TIDIG_COMP_CNT: 0
	.section	.text._ZN2at6native12_GLOBAL__N_125multi_tensor_apply_kernelINS1_28TensorListScalarListMetadataIhLi2EEENS1_25BinaryOpScalarListFunctorIhLi2ELi1ELi1EEEJNS1_13power_functorIhEEEEEvT_T0_DpT1_,"axG",@progbits,_ZN2at6native12_GLOBAL__N_125multi_tensor_apply_kernelINS1_28TensorListScalarListMetadataIhLi2EEENS1_25BinaryOpScalarListFunctorIhLi2ELi1ELi1EEEJNS1_13power_functorIhEEEEEvT_T0_DpT1_,comdat
	.globl	_ZN2at6native12_GLOBAL__N_125multi_tensor_apply_kernelINS1_28TensorListScalarListMetadataIhLi2EEENS1_25BinaryOpScalarListFunctorIhLi2ELi1ELi1EEEJNS1_13power_functorIhEEEEEvT_T0_DpT1_ ; -- Begin function _ZN2at6native12_GLOBAL__N_125multi_tensor_apply_kernelINS1_28TensorListScalarListMetadataIhLi2EEENS1_25BinaryOpScalarListFunctorIhLi2ELi1ELi1EEEJNS1_13power_functorIhEEEEEvT_T0_DpT1_
	.p2align	8
	.type	_ZN2at6native12_GLOBAL__N_125multi_tensor_apply_kernelINS1_28TensorListScalarListMetadataIhLi2EEENS1_25BinaryOpScalarListFunctorIhLi2ELi1ELi1EEEJNS1_13power_functorIhEEEEEvT_T0_DpT1_,@function
_ZN2at6native12_GLOBAL__N_125multi_tensor_apply_kernelINS1_28TensorListScalarListMetadataIhLi2EEENS1_25BinaryOpScalarListFunctorIhLi2ELi1ELi1EEEJNS1_13power_functorIhEEEEEvT_T0_DpT1_: ; @_ZN2at6native12_GLOBAL__N_125multi_tensor_apply_kernelINS1_28TensorListScalarListMetadataIhLi2EEENS1_25BinaryOpScalarListFunctorIhLi2ELi1ELi1EEEJNS1_13power_functorIhEEEEEvT_T0_DpT1_
; %bb.0:
	v_mov_b32_e32 v1, s6
	s_mul_hi_u32 s1, s6, 3
	global_load_ubyte v3, v1, s[4:5] offset:1600
	s_waitcnt vmcnt(0)
	v_add_co_u32 v1, s0, s4, v3
	v_add_co_ci_u32_e64 v2, null, s5, 0, s0
	s_add_u32 s0, s4, s6
	s_mul_i32 s6, s6, 3
	s_addc_u32 s2, s5, 0
	global_load_ubyte v1, v[1:2], off offset:1536
	s_add_u32 s0, s0, s6
	s_addc_u32 s1, s2, s1
	v_readfirstlane_b32 s3, v3
	s_load_dword s0, s[0:1], 0x780
	s_lshl_b32 s1, s3, 3
	s_clause 0x2
	s_load_dwordx2 s[2:3], s[4:5], s1 offset:0x0
	s_load_dwordx2 s[6:7], s[4:5], s1 offset:0x200
	;; [unrolled: 1-line block ×3, first 2 shown]
	s_waitcnt lgkmcnt(0)
	s_ashr_i32 s1, s0, 31
	s_lshl_b64 s[0:1], s[0:1], 16
	s_add_u32 s14, s2, s0
	s_addc_u32 s15, s3, s1
	s_add_u32 s16, s6, s0
	s_addc_u32 s17, s7, s1
	s_sub_u32 s6, s8, s0
	s_subb_u32 s7, s9, s1
	s_or_b32 s0, s8, s16
	s_or_b32 s0, s0, s14
	s_and_b32 s0, s0, 3
	s_cmp_eq_u32 s0, 0
	s_mov_b32 s0, -1
	s_waitcnt vmcnt(0)
	v_readfirstlane_b32 s18, v1
	s_cbranch_scc1 .LBB85_33
; %bb.1:
	v_cmp_lt_i64_e64 s0, s[6:7], 1
	s_and_b32 vcc_lo, exec_lo, s0
	s_cbranch_vccnz .LBB85_32
; %bb.2:
	s_load_dword s0, s[4:5], 0xc94
	v_cmp_gt_i64_e64 s1, 0x10000, s[6:7]
	v_cmp_gt_u64_e64 s2, 0x10000, s[6:7]
	s_mov_b64 s[12:13], 0
	s_and_b32 s1, s1, exec_lo
	s_cselect_b32 s9, s7, 0
	s_cselect_b32 s8, s6, 0x10000
	s_waitcnt lgkmcnt(0)
	s_and_b32 s19, s0, 0xffff
	s_and_b32 s0, s2, exec_lo
	s_cselect_b32 s11, s7, 0
	s_cselect_b32 s10, s6, 0x10000
	s_and_b32 s0, s18, 0xff
	s_lshl_b32 s20, s19, 1
	s_cmp_lg_u32 s0, 0
	s_mul_i32 s22, s19, 3
	s_cselect_b32 s21, -1, 0
	s_lshl_b32 s23, s19, 2
	s_branch .LBB85_4
.LBB85_3:                               ;   in Loop: Header=BB85_4 Depth=1
	s_or_b32 exec_lo, exec_lo, s0
	s_add_u32 s12, s12, s23
	s_addc_u32 s13, s13, 0
	v_cmp_ge_i64_e64 s0, s[12:13], s[8:9]
	s_and_b32 vcc_lo, exec_lo, s0
	s_cbranch_vccnz .LBB85_32
.LBB85_4:                               ; =>This Loop Header: Depth=1
                                        ;     Child Loop BB85_14 Depth 2
                                        ;     Child Loop BB85_17 Depth 2
	;; [unrolled: 1-line block ×4, first 2 shown]
	v_add_co_u32 v1, s0, s12, v0
	v_add_co_ci_u32_e64 v2, null, s13, 0, s0
	v_mov_b32_e32 v12, 0
	v_cmp_gt_u64_e64 s0, s[10:11], v[1:2]
	s_and_saveexec_b32 s1, s0
	s_cbranch_execz .LBB85_6
; %bb.5:                                ;   in Loop: Header=BB85_4 Depth=1
	v_add_co_u32 v3, vcc_lo, s14, v1
	v_add_co_ci_u32_e64 v4, null, s15, v2, vcc_lo
	global_load_ubyte v12, v[3:4], off
.LBB85_6:                               ;   in Loop: Header=BB85_4 Depth=1
	s_or_b32 exec_lo, exec_lo, s1
	v_add_co_u32 v3, vcc_lo, v1, s19
	v_add_co_ci_u32_e64 v4, null, 0, v2, vcc_lo
	v_mov_b32_e32 v10, 0
	v_mov_b32_e32 v13, 0
	v_cmp_gt_u64_e64 s1, s[10:11], v[3:4]
	s_and_saveexec_b32 s2, s1
	s_cbranch_execz .LBB85_8
; %bb.7:                                ;   in Loop: Header=BB85_4 Depth=1
	v_add_co_u32 v5, vcc_lo, s14, v3
	v_add_co_ci_u32_e64 v6, null, s15, v4, vcc_lo
	global_load_ubyte v13, v[5:6], off
.LBB85_8:                               ;   in Loop: Header=BB85_4 Depth=1
	s_or_b32 exec_lo, exec_lo, s2
	v_add_co_u32 v5, vcc_lo, v1, s20
	v_add_co_ci_u32_e64 v6, null, 0, v2, vcc_lo
	v_cmp_gt_u64_e64 s2, s[10:11], v[5:6]
	s_and_saveexec_b32 s3, s2
	s_cbranch_execz .LBB85_10
; %bb.9:                                ;   in Loop: Header=BB85_4 Depth=1
	v_add_co_u32 v7, vcc_lo, s14, v5
	v_add_co_ci_u32_e64 v8, null, s15, v6, vcc_lo
	global_load_ubyte v10, v[7:8], off
.LBB85_10:                              ;   in Loop: Header=BB85_4 Depth=1
	s_or_b32 exec_lo, exec_lo, s3
	v_add_co_u32 v7, vcc_lo, v1, s22
	v_add_co_ci_u32_e64 v8, null, 0, v2, vcc_lo
	v_mov_b32_e32 v11, 0
	v_cmp_gt_u64_e64 s3, s[10:11], v[7:8]
	s_and_saveexec_b32 s24, s3
	s_cbranch_execz .LBB85_12
; %bb.11:                               ;   in Loop: Header=BB85_4 Depth=1
	v_add_co_u32 v14, vcc_lo, s14, v7
	v_add_co_ci_u32_e64 v15, null, s15, v8, vcc_lo
	global_load_ubyte v11, v[14:15], off
.LBB85_12:                              ;   in Loop: Header=BB85_4 Depth=1
	s_or_b32 exec_lo, exec_lo, s24
	v_mov_b32_e32 v9, 1
	s_andn2_b32 vcc_lo, exec_lo, s21
	s_cbranch_vccnz .LBB85_15
; %bb.13:                               ;   in Loop: Header=BB85_4 Depth=1
	s_mov_b32 s24, s18
.LBB85_14:                              ;   Parent Loop BB85_4 Depth=1
                                        ; =>  This Inner Loop Header: Depth=2
	s_and_b32 s25, s24, 0xff
	s_bitcmp1_b32 s24, 0
	s_cselect_b32 vcc_lo, -1, 0
	s_bfe_u32 s24, s24, 0x70001
	s_waitcnt vmcnt(0)
	v_cndmask_b32_e32 v14, 1, v12, vcc_lo
	v_mul_lo_u16 v12, v12, v12
	s_cmp_gt_u32 s25, 1
	v_mul_lo_u16 v9, v14, v9
	s_cbranch_scc1 .LBB85_14
.LBB85_15:                              ;   in Loop: Header=BB85_4 Depth=1
	s_andn2_b32 vcc_lo, exec_lo, s21
	s_cbranch_vccnz .LBB85_21
; %bb.16:                               ;   in Loop: Header=BB85_4 Depth=1
	s_waitcnt vmcnt(0)
	v_mov_b32_e32 v12, 1
	s_mov_b32 s24, s18
.LBB85_17:                              ;   Parent Loop BB85_4 Depth=1
                                        ; =>  This Inner Loop Header: Depth=2
	s_and_b32 s25, s24, 0xff
	s_bitcmp1_b32 s24, 0
	s_cselect_b32 vcc_lo, -1, 0
	s_bfe_u32 s24, s24, 0x70001
	v_cndmask_b32_e32 v14, 1, v13, vcc_lo
	v_mul_lo_u16 v13, v13, v13
	s_cmp_gt_u32 s25, 1
	v_mul_lo_u16 v12, v14, v12
	s_cbranch_scc1 .LBB85_17
; %bb.18:                               ;   in Loop: Header=BB85_4 Depth=1
	v_mov_b32_e32 v13, 1
	s_mov_b32 s24, s18
.LBB85_19:                              ;   Parent Loop BB85_4 Depth=1
                                        ; =>  This Inner Loop Header: Depth=2
	s_and_b32 s25, s24, 0xff
	s_bitcmp1_b32 s24, 0
	s_cselect_b32 vcc_lo, -1, 0
	s_bfe_u32 s24, s24, 0x70001
	v_cndmask_b32_e32 v14, 1, v10, vcc_lo
	v_mul_lo_u16 v10, v10, v10
	s_cmp_gt_u32 s25, 1
	v_mul_lo_u16 v13, v14, v13
	s_cbranch_scc1 .LBB85_19
; %bb.20:                               ;   in Loop: Header=BB85_4 Depth=1
	v_mov_b32_e32 v10, 1
	s_andn2_b32 vcc_lo, exec_lo, s21
	s_cbranch_vccz .LBB85_22
	s_branch .LBB85_24
.LBB85_21:                              ;   in Loop: Header=BB85_4 Depth=1
	s_waitcnt vmcnt(0)
	v_mov_b32_e32 v13, 1
	v_mov_b32_e32 v12, 1
	;; [unrolled: 1-line block ×3, first 2 shown]
	s_andn2_b32 vcc_lo, exec_lo, s21
	s_cbranch_vccnz .LBB85_24
.LBB85_22:                              ;   in Loop: Header=BB85_4 Depth=1
	s_mov_b32 s24, s18
.LBB85_23:                              ;   Parent Loop BB85_4 Depth=1
                                        ; =>  This Inner Loop Header: Depth=2
	s_and_b32 s25, s24, 0xff
	s_bitcmp1_b32 s24, 0
	s_cselect_b32 vcc_lo, -1, 0
	s_bfe_u32 s24, s24, 0x70001
	v_cndmask_b32_e32 v14, 1, v11, vcc_lo
	v_mul_lo_u16 v11, v11, v11
	s_cmp_gt_u32 s25, 1
	v_mul_lo_u16 v10, v14, v10
	s_cbranch_scc1 .LBB85_23
.LBB85_24:                              ;   in Loop: Header=BB85_4 Depth=1
	s_and_saveexec_b32 s24, s0
	s_xor_b32 s0, exec_lo, s24
	s_cbranch_execz .LBB85_26
; %bb.25:                               ;   in Loop: Header=BB85_4 Depth=1
	v_add_co_u32 v1, vcc_lo, s16, v1
	v_add_co_ci_u32_e64 v2, null, s17, v2, vcc_lo
	global_store_byte v[1:2], v9, off
.LBB85_26:                              ;   in Loop: Header=BB85_4 Depth=1
	s_or_b32 exec_lo, exec_lo, s0
	s_and_saveexec_b32 s0, s1
	s_cbranch_execnz .LBB85_29
; %bb.27:                               ;   in Loop: Header=BB85_4 Depth=1
	s_or_b32 exec_lo, exec_lo, s0
	s_and_saveexec_b32 s0, s2
	s_cbranch_execnz .LBB85_30
.LBB85_28:                              ;   in Loop: Header=BB85_4 Depth=1
	s_or_b32 exec_lo, exec_lo, s0
	s_and_saveexec_b32 s0, s3
	s_cbranch_execz .LBB85_3
	s_branch .LBB85_31
.LBB85_29:                              ;   in Loop: Header=BB85_4 Depth=1
	v_add_co_u32 v1, vcc_lo, s16, v3
	v_add_co_ci_u32_e64 v2, null, s17, v4, vcc_lo
	global_store_byte v[1:2], v12, off
	s_or_b32 exec_lo, exec_lo, s0
	s_and_saveexec_b32 s0, s2
	s_cbranch_execz .LBB85_28
.LBB85_30:                              ;   in Loop: Header=BB85_4 Depth=1
	v_add_co_u32 v1, vcc_lo, s16, v5
	v_add_co_ci_u32_e64 v2, null, s17, v6, vcc_lo
	global_store_byte v[1:2], v13, off
	s_or_b32 exec_lo, exec_lo, s0
	s_and_saveexec_b32 s0, s3
	s_cbranch_execz .LBB85_3
.LBB85_31:                              ;   in Loop: Header=BB85_4 Depth=1
	v_add_co_u32 v1, vcc_lo, s16, v7
	v_add_co_ci_u32_e64 v2, null, s17, v8, vcc_lo
	global_store_byte v[1:2], v10, off
	s_branch .LBB85_3
.LBB85_32:
	s_mov_b32 s0, 0
.LBB85_33:
	s_andn2_b32 vcc_lo, exec_lo, s0
	s_cbranch_vccnz .LBB85_49
; %bb.34:
	v_cmp_gt_i64_e64 s0, 0x10000, s[6:7]
	v_mov_b32_e32 v2, 0
	v_lshlrev_b32_e32 v1, 2, v0
	s_mov_b32 s1, 0
	s_and_b32 s0, s0, exec_lo
	s_cselect_b32 s3, s7, 0
	s_cselect_b32 s2, s6, 0x10000
	s_mov_b32 s0, exec_lo
	v_cmpx_gt_i64_e64 s[2:3], v[1:2]
	s_cbranch_execz .LBB85_49
; %bb.35:
	s_load_dword s0, s[4:5], 0xc94
	s_and_b32 s4, s18, 0xff
	v_mov_b32_e32 v1, v2
	s_cmp_lg_u32 s4, 0
	s_cselect_b32 s4, -1, 0
	s_waitcnt lgkmcnt(0)
	s_and_b32 s5, s0, 0xffff
	s_branch .LBB85_38
.LBB85_36:                              ;   in Loop: Header=BB85_38 Depth=1
	s_waitcnt vmcnt(0)
	v_mov_b32_e32 v6, 1
	v_mov_b32_e32 v7, 1
.LBB85_37:                              ;   in Loop: Header=BB85_38 Depth=1
	v_add_co_u32 v0, vcc_lo, v0, s5
	v_add_co_ci_u32_e64 v1, null, 0, v1, vcc_lo
	v_perm_b32 v8, v4, v5, 0xc0c0004
	v_perm_b32 v6, v7, v6, 0xc0c0004
	v_add_co_u32 v2, s0, s16, v2
	v_lshlrev_b64 v[4:5], 2, v[0:1]
	v_add_co_ci_u32_e64 v3, null, s17, v3, s0
	v_lshl_or_b32 v6, v6, 16, v8
	v_cmp_le_i64_e32 vcc_lo, s[2:3], v[4:5]
	global_store_dword v[2:3], v6, off
	s_or_b32 s1, vcc_lo, s1
	s_andn2_b32 exec_lo, exec_lo, s1
	s_cbranch_execz .LBB85_49
.LBB85_38:                              ; =>This Loop Header: Depth=1
                                        ;     Child Loop BB85_40 Depth 2
                                        ;     Child Loop BB85_42 Depth 2
	;; [unrolled: 1-line block ×4, first 2 shown]
	v_lshlrev_b64 v[2:3], 2, v[0:1]
	v_add_co_u32 v4, vcc_lo, s14, v2
	v_add_co_ci_u32_e64 v5, null, s15, v3, vcc_lo
	s_andn2_b32 vcc_lo, exec_lo, s4
	global_load_dword v6, v[4:5], off
	s_cbranch_vccnz .LBB85_44
; %bb.39:                               ;   in Loop: Header=BB85_38 Depth=1
	v_mov_b32_e32 v4, 1
	s_waitcnt vmcnt(0)
	v_mov_b32_e32 v5, v6
	s_mov_b32 s0, s18
.LBB85_40:                              ;   Parent Loop BB85_38 Depth=1
                                        ; =>  This Inner Loop Header: Depth=2
	s_and_b32 s6, s0, 0xff
	s_bitcmp1_b32 s0, 0
	s_cselect_b32 vcc_lo, -1, 0
	s_bfe_u32 s0, s0, 0x70001
	v_cndmask_b32_e32 v7, 1, v5, vcc_lo
	v_mul_lo_u16 v5, v5, v5
	s_cmp_gt_u32 s6, 1
	v_mul_lo_u16 v4, v7, v4
	s_cbranch_scc1 .LBB85_40
; %bb.41:                               ;   in Loop: Header=BB85_38 Depth=1
	v_lshrrev_b32_e32 v7, 8, v6
	v_mov_b32_e32 v5, 1
	s_mov_b32 s0, s18
.LBB85_42:                              ;   Parent Loop BB85_38 Depth=1
                                        ; =>  This Inner Loop Header: Depth=2
	s_and_b32 s6, s0, 0xff
	s_bitcmp1_b32 s0, 0
	s_cselect_b32 vcc_lo, -1, 0
	s_bfe_u32 s0, s0, 0x70001
	v_cndmask_b32_e32 v8, 1, v7, vcc_lo
	v_mul_lo_u16 v7, v7, v7
	s_cmp_gt_u32 s6, 1
	v_mul_lo_u16 v5, v8, v5
	s_cbranch_scc1 .LBB85_42
; %bb.43:                               ;   in Loop: Header=BB85_38 Depth=1
	s_andn2_b32 vcc_lo, exec_lo, s4
	s_cbranch_vccz .LBB85_45
	s_branch .LBB85_36
.LBB85_44:                              ;   in Loop: Header=BB85_38 Depth=1
	v_mov_b32_e32 v5, 1
	v_mov_b32_e32 v4, 1
	s_andn2_b32 vcc_lo, exec_lo, s4
	s_cbranch_vccnz .LBB85_36
.LBB85_45:                              ;   in Loop: Header=BB85_38 Depth=1
	s_waitcnt vmcnt(0)
	v_lshrrev_b32_e32 v8, 16, v6
	v_mov_b32_e32 v7, 1
	s_mov_b32 s0, s18
.LBB85_46:                              ;   Parent Loop BB85_38 Depth=1
                                        ; =>  This Inner Loop Header: Depth=2
	s_and_b32 s6, s0, 0xff
	s_bitcmp1_b32 s0, 0
	s_cselect_b32 vcc_lo, -1, 0
	s_bfe_u32 s0, s0, 0x70001
	v_cndmask_b32_e32 v9, 1, v8, vcc_lo
	v_mul_lo_u16 v8, v8, v8
	s_cmp_gt_u32 s6, 1
	v_mul_lo_u16 v7, v9, v7
	s_cbranch_scc1 .LBB85_46
; %bb.47:                               ;   in Loop: Header=BB85_38 Depth=1
	v_lshrrev_b32_e32 v8, 24, v6
	v_mov_b32_e32 v6, 1
	s_mov_b32 s0, s18
.LBB85_48:                              ;   Parent Loop BB85_38 Depth=1
                                        ; =>  This Inner Loop Header: Depth=2
	s_and_b32 s6, s0, 0xff
	s_bitcmp1_b32 s0, 0
	s_cselect_b32 vcc_lo, -1, 0
	s_bfe_u32 s0, s0, 0x70001
	v_cndmask_b32_e32 v9, 1, v8, vcc_lo
	v_mul_lo_u16 v8, v8, v8
	s_cmp_gt_u32 s6, 1
	v_mul_lo_u16 v6, v9, v6
	s_cbranch_scc1 .LBB85_48
	s_branch .LBB85_37
.LBB85_49:
	s_endpgm
	.section	.rodata,"a",@progbits
	.p2align	6, 0x0
	.amdhsa_kernel _ZN2at6native12_GLOBAL__N_125multi_tensor_apply_kernelINS1_28TensorListScalarListMetadataIhLi2EEENS1_25BinaryOpScalarListFunctorIhLi2ELi1ELi1EEEJNS1_13power_functorIhEEEEEvT_T0_DpT1_
		.amdhsa_group_segment_fixed_size 0
		.amdhsa_private_segment_fixed_size 0
		.amdhsa_kernarg_size 3464
		.amdhsa_user_sgpr_count 6
		.amdhsa_user_sgpr_private_segment_buffer 1
		.amdhsa_user_sgpr_dispatch_ptr 0
		.amdhsa_user_sgpr_queue_ptr 0
		.amdhsa_user_sgpr_kernarg_segment_ptr 1
		.amdhsa_user_sgpr_dispatch_id 0
		.amdhsa_user_sgpr_flat_scratch_init 0
		.amdhsa_user_sgpr_private_segment_size 0
		.amdhsa_wavefront_size32 1
		.amdhsa_uses_dynamic_stack 0
		.amdhsa_system_sgpr_private_segment_wavefront_offset 0
		.amdhsa_system_sgpr_workgroup_id_x 1
		.amdhsa_system_sgpr_workgroup_id_y 0
		.amdhsa_system_sgpr_workgroup_id_z 0
		.amdhsa_system_sgpr_workgroup_info 0
		.amdhsa_system_vgpr_workitem_id 0
		.amdhsa_next_free_vgpr 16
		.amdhsa_next_free_sgpr 26
		.amdhsa_reserve_vcc 1
		.amdhsa_reserve_flat_scratch 0
		.amdhsa_float_round_mode_32 0
		.amdhsa_float_round_mode_16_64 0
		.amdhsa_float_denorm_mode_32 3
		.amdhsa_float_denorm_mode_16_64 3
		.amdhsa_dx10_clamp 1
		.amdhsa_ieee_mode 1
		.amdhsa_fp16_overflow 0
		.amdhsa_workgroup_processor_mode 1
		.amdhsa_memory_ordered 1
		.amdhsa_forward_progress 1
		.amdhsa_shared_vgpr_count 0
		.amdhsa_exception_fp_ieee_invalid_op 0
		.amdhsa_exception_fp_denorm_src 0
		.amdhsa_exception_fp_ieee_div_zero 0
		.amdhsa_exception_fp_ieee_overflow 0
		.amdhsa_exception_fp_ieee_underflow 0
		.amdhsa_exception_fp_ieee_inexact 0
		.amdhsa_exception_int_div_zero 0
	.end_amdhsa_kernel
	.section	.text._ZN2at6native12_GLOBAL__N_125multi_tensor_apply_kernelINS1_28TensorListScalarListMetadataIhLi2EEENS1_25BinaryOpScalarListFunctorIhLi2ELi1ELi1EEEJNS1_13power_functorIhEEEEEvT_T0_DpT1_,"axG",@progbits,_ZN2at6native12_GLOBAL__N_125multi_tensor_apply_kernelINS1_28TensorListScalarListMetadataIhLi2EEENS1_25BinaryOpScalarListFunctorIhLi2ELi1ELi1EEEJNS1_13power_functorIhEEEEEvT_T0_DpT1_,comdat
.Lfunc_end85:
	.size	_ZN2at6native12_GLOBAL__N_125multi_tensor_apply_kernelINS1_28TensorListScalarListMetadataIhLi2EEENS1_25BinaryOpScalarListFunctorIhLi2ELi1ELi1EEEJNS1_13power_functorIhEEEEEvT_T0_DpT1_, .Lfunc_end85-_ZN2at6native12_GLOBAL__N_125multi_tensor_apply_kernelINS1_28TensorListScalarListMetadataIhLi2EEENS1_25BinaryOpScalarListFunctorIhLi2ELi1ELi1EEEJNS1_13power_functorIhEEEEEvT_T0_DpT1_
                                        ; -- End function
	.set _ZN2at6native12_GLOBAL__N_125multi_tensor_apply_kernelINS1_28TensorListScalarListMetadataIhLi2EEENS1_25BinaryOpScalarListFunctorIhLi2ELi1ELi1EEEJNS1_13power_functorIhEEEEEvT_T0_DpT1_.num_vgpr, 16
	.set _ZN2at6native12_GLOBAL__N_125multi_tensor_apply_kernelINS1_28TensorListScalarListMetadataIhLi2EEENS1_25BinaryOpScalarListFunctorIhLi2ELi1ELi1EEEJNS1_13power_functorIhEEEEEvT_T0_DpT1_.num_agpr, 0
	.set _ZN2at6native12_GLOBAL__N_125multi_tensor_apply_kernelINS1_28TensorListScalarListMetadataIhLi2EEENS1_25BinaryOpScalarListFunctorIhLi2ELi1ELi1EEEJNS1_13power_functorIhEEEEEvT_T0_DpT1_.numbered_sgpr, 26
	.set _ZN2at6native12_GLOBAL__N_125multi_tensor_apply_kernelINS1_28TensorListScalarListMetadataIhLi2EEENS1_25BinaryOpScalarListFunctorIhLi2ELi1ELi1EEEJNS1_13power_functorIhEEEEEvT_T0_DpT1_.num_named_barrier, 0
	.set _ZN2at6native12_GLOBAL__N_125multi_tensor_apply_kernelINS1_28TensorListScalarListMetadataIhLi2EEENS1_25BinaryOpScalarListFunctorIhLi2ELi1ELi1EEEJNS1_13power_functorIhEEEEEvT_T0_DpT1_.private_seg_size, 0
	.set _ZN2at6native12_GLOBAL__N_125multi_tensor_apply_kernelINS1_28TensorListScalarListMetadataIhLi2EEENS1_25BinaryOpScalarListFunctorIhLi2ELi1ELi1EEEJNS1_13power_functorIhEEEEEvT_T0_DpT1_.uses_vcc, 1
	.set _ZN2at6native12_GLOBAL__N_125multi_tensor_apply_kernelINS1_28TensorListScalarListMetadataIhLi2EEENS1_25BinaryOpScalarListFunctorIhLi2ELi1ELi1EEEJNS1_13power_functorIhEEEEEvT_T0_DpT1_.uses_flat_scratch, 0
	.set _ZN2at6native12_GLOBAL__N_125multi_tensor_apply_kernelINS1_28TensorListScalarListMetadataIhLi2EEENS1_25BinaryOpScalarListFunctorIhLi2ELi1ELi1EEEJNS1_13power_functorIhEEEEEvT_T0_DpT1_.has_dyn_sized_stack, 0
	.set _ZN2at6native12_GLOBAL__N_125multi_tensor_apply_kernelINS1_28TensorListScalarListMetadataIhLi2EEENS1_25BinaryOpScalarListFunctorIhLi2ELi1ELi1EEEJNS1_13power_functorIhEEEEEvT_T0_DpT1_.has_recursion, 0
	.set _ZN2at6native12_GLOBAL__N_125multi_tensor_apply_kernelINS1_28TensorListScalarListMetadataIhLi2EEENS1_25BinaryOpScalarListFunctorIhLi2ELi1ELi1EEEJNS1_13power_functorIhEEEEEvT_T0_DpT1_.has_indirect_call, 0
	.section	.AMDGPU.csdata,"",@progbits
; Kernel info:
; codeLenInByte = 1624
; TotalNumSgprs: 28
; NumVgprs: 16
; ScratchSize: 0
; MemoryBound: 0
; FloatMode: 240
; IeeeMode: 1
; LDSByteSize: 0 bytes/workgroup (compile time only)
; SGPRBlocks: 0
; VGPRBlocks: 1
; NumSGPRsForWavesPerEU: 28
; NumVGPRsForWavesPerEU: 16
; Occupancy: 16
; WaveLimiterHint : 0
; COMPUTE_PGM_RSRC2:SCRATCH_EN: 0
; COMPUTE_PGM_RSRC2:USER_SGPR: 6
; COMPUTE_PGM_RSRC2:TRAP_HANDLER: 0
; COMPUTE_PGM_RSRC2:TGID_X_EN: 1
; COMPUTE_PGM_RSRC2:TGID_Y_EN: 0
; COMPUTE_PGM_RSRC2:TGID_Z_EN: 0
; COMPUTE_PGM_RSRC2:TIDIG_COMP_CNT: 0
	.section	.text._ZN2at6native12_GLOBAL__N_125multi_tensor_apply_kernelINS1_28TensorListScalarListMetadataIaLi2EEENS1_25BinaryOpScalarListFunctorIaLi2ELi1ELi1EEEJNS1_13power_functorIaEEEEEvT_T0_DpT1_,"axG",@progbits,_ZN2at6native12_GLOBAL__N_125multi_tensor_apply_kernelINS1_28TensorListScalarListMetadataIaLi2EEENS1_25BinaryOpScalarListFunctorIaLi2ELi1ELi1EEEJNS1_13power_functorIaEEEEEvT_T0_DpT1_,comdat
	.globl	_ZN2at6native12_GLOBAL__N_125multi_tensor_apply_kernelINS1_28TensorListScalarListMetadataIaLi2EEENS1_25BinaryOpScalarListFunctorIaLi2ELi1ELi1EEEJNS1_13power_functorIaEEEEEvT_T0_DpT1_ ; -- Begin function _ZN2at6native12_GLOBAL__N_125multi_tensor_apply_kernelINS1_28TensorListScalarListMetadataIaLi2EEENS1_25BinaryOpScalarListFunctorIaLi2ELi1ELi1EEEJNS1_13power_functorIaEEEEEvT_T0_DpT1_
	.p2align	8
	.type	_ZN2at6native12_GLOBAL__N_125multi_tensor_apply_kernelINS1_28TensorListScalarListMetadataIaLi2EEENS1_25BinaryOpScalarListFunctorIaLi2ELi1ELi1EEEJNS1_13power_functorIaEEEEEvT_T0_DpT1_,@function
_ZN2at6native12_GLOBAL__N_125multi_tensor_apply_kernelINS1_28TensorListScalarListMetadataIaLi2EEENS1_25BinaryOpScalarListFunctorIaLi2ELi1ELi1EEEJNS1_13power_functorIaEEEEEvT_T0_DpT1_: ; @_ZN2at6native12_GLOBAL__N_125multi_tensor_apply_kernelINS1_28TensorListScalarListMetadataIaLi2EEENS1_25BinaryOpScalarListFunctorIaLi2ELi1ELi1EEEJNS1_13power_functorIaEEEEEvT_T0_DpT1_
; %bb.0:
	v_mov_b32_e32 v1, s6
	s_mul_hi_u32 s1, s6, 3
	global_load_ubyte v3, v1, s[4:5] offset:1600
	s_waitcnt vmcnt(0)
	v_add_co_u32 v1, s0, s4, v3
	v_add_co_ci_u32_e64 v2, null, s5, 0, s0
	s_add_u32 s0, s4, s6
	s_mul_i32 s6, s6, 3
	s_addc_u32 s2, s5, 0
	global_load_sbyte v1, v[1:2], off offset:1536
	s_add_u32 s0, s0, s6
	s_addc_u32 s1, s2, s1
	v_readfirstlane_b32 s3, v3
	s_load_dword s0, s[0:1], 0x780
	s_lshl_b32 s1, s3, 3
	s_clause 0x2
	s_load_dwordx2 s[2:3], s[4:5], s1 offset:0x0
	s_load_dwordx2 s[8:9], s[4:5], s1 offset:0x200
	;; [unrolled: 1-line block ×3, first 2 shown]
	s_waitcnt lgkmcnt(0)
	s_ashr_i32 s1, s0, 31
	s_lshl_b64 s[0:1], s[0:1], 16
	s_add_u32 s7, s2, s0
	s_addc_u32 s16, s3, s1
	s_add_u32 s17, s8, s0
	s_addc_u32 s18, s9, s1
	s_sub_u32 s8, s10, s0
	s_subb_u32 s9, s11, s1
	s_or_b32 s0, s10, s17
	s_or_b32 s0, s0, s7
	s_and_b32 s0, s0, 3
	s_cmp_eq_u32 s0, 0
	s_mov_b32 s0, -1
	s_waitcnt vmcnt(0)
	v_readfirstlane_b32 s19, v1
	s_cbranch_scc1 .LBB86_73
; %bb.1:
	v_cmp_lt_i64_e64 s0, s[8:9], 1
	s_and_b32 vcc_lo, exec_lo, s0
	s_cbranch_vccnz .LBB86_72
; %bb.2:
	s_load_dword s0, s[4:5], 0xc94
	v_cmp_gt_i64_e64 s1, 0x10000, s[8:9]
	v_cmp_gt_u64_e64 s2, 0x10000, s[8:9]
	s_sext_i32_i16 s3, s19
	v_mov_b32_e32 v9, 0xfe
	v_mov_b32_e32 v10, 1
	s_mov_b64 s[14:15], 0
	s_and_b32 s1, s1, exec_lo
	s_cselect_b32 s11, s9, 0
	s_cselect_b32 s10, s8, 0x10000
	s_waitcnt lgkmcnt(0)
	s_and_b32 s20, s0, 0xffff
	s_and_b32 s0, s2, exec_lo
	s_cselect_b32 s13, s9, 0
	s_cselect_b32 s12, s8, 0x10000
	s_lshl_b32 s21, s20, 1
	s_cmp_gt_i32 s3, -1
	s_mul_i32 s23, s20, 3
	s_cselect_b32 s22, -1, 0
	s_and_b32 s0, 0xffff, s19
	s_cmp_lg_u32 s0, 0
	s_cselect_b32 s24, -1, 0
	s_bitcmp0_b32 s19, 0
	v_cndmask_b32_e64 v11, 0, 1, s24
	s_cselect_b32 s25, 1, 0xffff
	s_lshl_b32 s26, s20, 2
	s_branch .LBB86_4
.LBB86_3:                               ;   in Loop: Header=BB86_4 Depth=1
	s_or_b32 exec_lo, exec_lo, s0
	s_add_u32 s14, s14, s26
	s_addc_u32 s15, s15, 0
	v_cmp_ge_i64_e64 s0, s[14:15], s[10:11]
	s_and_b32 vcc_lo, exec_lo, s0
	s_cbranch_vccnz .LBB86_72
.LBB86_4:                               ; =>This Loop Header: Depth=1
                                        ;     Child Loop BB86_15 Depth 2
                                        ;     Child Loop BB86_20 Depth 2
	;; [unrolled: 1-line block ×4, first 2 shown]
	v_add_co_u32 v1, s0, s14, v0
	v_add_co_ci_u32_e64 v2, null, s15, 0, s0
	s_waitcnt vmcnt(0)
	v_mov_b32_e32 v15, 0
	v_cmp_gt_u64_e64 s0, s[12:13], v[1:2]
	s_and_saveexec_b32 s1, s0
	s_cbranch_execz .LBB86_6
; %bb.5:                                ;   in Loop: Header=BB86_4 Depth=1
	v_add_co_u32 v3, vcc_lo, s7, v1
	v_add_co_ci_u32_e64 v4, null, s16, v2, vcc_lo
	global_load_ubyte v15, v[3:4], off
.LBB86_6:                               ;   in Loop: Header=BB86_4 Depth=1
	s_or_b32 exec_lo, exec_lo, s1
	v_add_co_u32 v3, vcc_lo, v1, s20
	v_add_co_ci_u32_e64 v4, null, 0, v2, vcc_lo
	v_mov_b32_e32 v14, 0
	v_mov_b32_e32 v16, 0
	v_cmp_gt_u64_e64 s1, s[12:13], v[3:4]
	s_and_saveexec_b32 s2, s1
	s_cbranch_execz .LBB86_8
; %bb.7:                                ;   in Loop: Header=BB86_4 Depth=1
	v_add_co_u32 v5, vcc_lo, s7, v3
	v_add_co_ci_u32_e64 v6, null, s16, v4, vcc_lo
	global_load_ubyte v16, v[5:6], off
.LBB86_8:                               ;   in Loop: Header=BB86_4 Depth=1
	s_or_b32 exec_lo, exec_lo, s2
	v_add_co_u32 v5, vcc_lo, v1, s21
	v_add_co_ci_u32_e64 v6, null, 0, v2, vcc_lo
	v_cmp_gt_u64_e64 s2, s[12:13], v[5:6]
	s_and_saveexec_b32 s3, s2
	s_cbranch_execz .LBB86_10
; %bb.9:                                ;   in Loop: Header=BB86_4 Depth=1
	v_add_co_u32 v7, vcc_lo, s7, v5
	v_add_co_ci_u32_e64 v8, null, s16, v6, vcc_lo
	global_load_ubyte v14, v[7:8], off
.LBB86_10:                              ;   in Loop: Header=BB86_4 Depth=1
	s_or_b32 exec_lo, exec_lo, s3
	v_add_co_u32 v7, vcc_lo, v1, s23
	v_add_co_ci_u32_e64 v8, null, 0, v2, vcc_lo
	v_mov_b32_e32 v12, 0
	v_cmp_gt_u64_e64 s3, s[12:13], v[7:8]
	s_and_saveexec_b32 s6, s3
	s_cbranch_execz .LBB86_12
; %bb.11:                               ;   in Loop: Header=BB86_4 Depth=1
	v_add_co_u32 v12, vcc_lo, s7, v7
	v_add_co_ci_u32_e64 v13, null, s16, v8, vcc_lo
	global_load_ubyte v12, v[12:13], off
.LBB86_12:                              ;   in Loop: Header=BB86_4 Depth=1
	s_or_b32 exec_lo, exec_lo, s6
	v_cmp_ne_u32_e64 s6, 1, v11
	s_and_b32 vcc_lo, exec_lo, s22
	s_mov_b32 s27, -1
                                        ; implicit-def: $vgpr13
	s_cbranch_vccz .LBB86_36
; %bb.13:                               ;   in Loop: Header=BB86_4 Depth=1
	v_mov_b32_e32 v13, 1
	s_and_b32 vcc_lo, exec_lo, s6
	s_cbranch_vccnz .LBB86_16
; %bb.14:                               ;   in Loop: Header=BB86_4 Depth=1
	s_waitcnt vmcnt(0)
	v_mov_b32_e32 v17, v15
	s_mov_b32 s6, s19
.LBB86_15:                              ;   Parent Loop BB86_4 Depth=1
                                        ; =>  This Inner Loop Header: Depth=2
	s_bfe_i32 s27, s6, 0x80000
	s_bitcmp1_b32 s6, 0
	s_sext_i32_i16 s27, s27
	s_cselect_b32 vcc_lo, -1, 0
	s_bfe_u32 s6, s6, 0x70001
	v_cndmask_b32_e32 v18, 1, v17, vcc_lo
	v_mul_lo_u16 v17, v17, v17
	s_cmp_gt_i32 s27, 1
	v_mul_lo_u16 v13, v18, v13
	s_cbranch_scc1 .LBB86_15
.LBB86_16:                              ;   in Loop: Header=BB86_4 Depth=1
	s_cbranch_execz .LBB86_37
.LBB86_17:                              ;   in Loop: Header=BB86_4 Depth=1
	s_andn2_b32 vcc_lo, exec_lo, s22
	s_mov_b32 s6, -1
                                        ; implicit-def: $vgpr15
	s_cbranch_vccnz .LBB86_44
.LBB86_18:                              ;   in Loop: Header=BB86_4 Depth=1
	s_waitcnt vmcnt(0)
	v_mov_b32_e32 v15, 1
	s_andn2_b32 vcc_lo, exec_lo, s24
	s_cbranch_vccnz .LBB86_21
; %bb.19:                               ;   in Loop: Header=BB86_4 Depth=1
	v_mov_b32_e32 v17, v16
	s_mov_b32 s6, s19
.LBB86_20:                              ;   Parent Loop BB86_4 Depth=1
                                        ; =>  This Inner Loop Header: Depth=2
	s_bfe_i32 s27, s6, 0x80000
	s_bitcmp1_b32 s6, 0
	s_sext_i32_i16 s27, s27
	s_cselect_b32 vcc_lo, -1, 0
	s_bfe_u32 s6, s6, 0x70001
	v_cndmask_b32_e32 v18, 1, v17, vcc_lo
	v_mul_lo_u16 v17, v17, v17
	s_cmp_lt_i32 s27, 2
	v_mul_lo_u16 v15, v18, v15
	s_cbranch_scc0 .LBB86_20
.LBB86_21:                              ;   in Loop: Header=BB86_4 Depth=1
	s_cbranch_execz .LBB86_45
.LBB86_22:                              ;   in Loop: Header=BB86_4 Depth=1
	s_andn2_b32 vcc_lo, exec_lo, s22
	s_mov_b32 s6, -1
                                        ; implicit-def: $vgpr16
	s_cbranch_vccnz .LBB86_52
.LBB86_23:                              ;   in Loop: Header=BB86_4 Depth=1
	s_waitcnt vmcnt(0)
	v_mov_b32_e32 v16, 1
	s_andn2_b32 vcc_lo, exec_lo, s24
	s_cbranch_vccnz .LBB86_26
; %bb.24:                               ;   in Loop: Header=BB86_4 Depth=1
	v_mov_b32_e32 v17, v14
	s_mov_b32 s6, s19
.LBB86_25:                              ;   Parent Loop BB86_4 Depth=1
                                        ; =>  This Inner Loop Header: Depth=2
	s_bfe_i32 s27, s6, 0x80000
	s_bitcmp1_b32 s6, 0
	s_sext_i32_i16 s27, s27
	s_cselect_b32 vcc_lo, -1, 0
	s_bfe_u32 s6, s6, 0x70001
	v_cndmask_b32_e32 v18, 1, v17, vcc_lo
	v_mul_lo_u16 v17, v17, v17
	s_cmp_lt_i32 s27, 2
	v_mul_lo_u16 v16, v18, v16
	s_cbranch_scc0 .LBB86_25
.LBB86_26:                              ;   in Loop: Header=BB86_4 Depth=1
	s_cbranch_execz .LBB86_53
.LBB86_27:                              ;   in Loop: Header=BB86_4 Depth=1
	s_andn2_b32 vcc_lo, exec_lo, s22
	s_mov_b32 s6, -1
                                        ; implicit-def: $vgpr14
	s_cbranch_vccnz .LBB86_60
.LBB86_28:                              ;   in Loop: Header=BB86_4 Depth=1
	s_waitcnt vmcnt(0)
	v_mov_b32_e32 v14, 1
	s_andn2_b32 vcc_lo, exec_lo, s24
	s_cbranch_vccnz .LBB86_31
; %bb.29:                               ;   in Loop: Header=BB86_4 Depth=1
	v_mov_b32_e32 v17, v12
	s_mov_b32 s6, s19
.LBB86_30:                              ;   Parent Loop BB86_4 Depth=1
                                        ; =>  This Inner Loop Header: Depth=2
	s_bfe_i32 s27, s6, 0x80000
	s_bitcmp1_b32 s6, 0
	s_sext_i32_i16 s27, s27
	s_cselect_b32 vcc_lo, -1, 0
	s_bfe_u32 s6, s6, 0x70001
	v_cndmask_b32_e32 v18, 1, v17, vcc_lo
	v_mul_lo_u16 v17, v17, v17
	s_cmp_lt_i32 s27, 2
	v_mul_lo_u16 v14, v18, v14
	s_cbranch_scc0 .LBB86_30
.LBB86_31:                              ;   in Loop: Header=BB86_4 Depth=1
	s_cbranch_execz .LBB86_61
.LBB86_32:                              ;   in Loop: Header=BB86_4 Depth=1
	s_and_saveexec_b32 s6, s0
	s_xor_b32 s0, exec_lo, s6
	s_cbranch_execz .LBB86_68
.LBB86_33:                              ;   in Loop: Header=BB86_4 Depth=1
	v_add_co_u32 v1, vcc_lo, s17, v1
	v_add_co_ci_u32_e64 v2, null, s18, v2, vcc_lo
	global_store_byte v[1:2], v13, off
	s_or_b32 exec_lo, exec_lo, s0
	s_and_saveexec_b32 s0, s1
	s_cbranch_execnz .LBB86_69
.LBB86_34:                              ;   in Loop: Header=BB86_4 Depth=1
	s_or_b32 exec_lo, exec_lo, s0
	s_and_saveexec_b32 s0, s2
	s_cbranch_execz .LBB86_70
.LBB86_35:                              ;   in Loop: Header=BB86_4 Depth=1
	v_add_co_u32 v1, vcc_lo, s17, v5
	v_add_co_ci_u32_e64 v2, null, s18, v6, vcc_lo
	s_waitcnt vmcnt(0)
	global_store_byte v[1:2], v16, off
	s_or_b32 exec_lo, exec_lo, s0
	s_and_saveexec_b32 s0, s3
	s_cbranch_execz .LBB86_3
	s_branch .LBB86_71
.LBB86_36:                              ;   in Loop: Header=BB86_4 Depth=1
	s_andn2_b32 vcc_lo, exec_lo, s27
	s_cbranch_vccnz .LBB86_17
.LBB86_37:                              ;   in Loop: Header=BB86_4 Depth=1
	s_waitcnt vmcnt(0)
	v_cmp_gt_i16_sdwa s6, v15, v9 src0_sel:BYTE_0 src1_sel:DWORD
	s_and_saveexec_b32 s27, s6
	s_xor_b32 s6, exec_lo, s27
; %bb.38:                               ;   in Loop: Header=BB86_4 Depth=1
                                        ; implicit-def: $vgpr15
; %bb.39:                               ;   in Loop: Header=BB86_4 Depth=1
	s_or_saveexec_b32 s6, s6
	v_mov_b32_e32 v13, s25
	s_xor_b32 exec_lo, exec_lo, s6
	s_cbranch_execz .LBB86_43
; %bb.40:                               ;   in Loop: Header=BB86_4 Depth=1
	v_mov_b32_e32 v13, 1
	v_cmp_ne_u16_sdwa s28, v15, v10 src0_sel:BYTE_0 src1_sel:DWORD
	s_and_saveexec_b32 s27, s28
; %bb.41:                               ;   in Loop: Header=BB86_4 Depth=1
	v_mov_b32_e32 v13, 0
; %bb.42:                               ;   in Loop: Header=BB86_4 Depth=1
	s_or_b32 exec_lo, exec_lo, s27
.LBB86_43:                              ;   in Loop: Header=BB86_4 Depth=1
	s_or_b32 exec_lo, exec_lo, s6
	s_andn2_b32 vcc_lo, exec_lo, s22
	s_mov_b32 s6, -1
                                        ; implicit-def: $vgpr15
	s_cbranch_vccz .LBB86_18
.LBB86_44:                              ;   in Loop: Header=BB86_4 Depth=1
	s_andn2_b32 vcc_lo, exec_lo, s6
	s_cbranch_vccnz .LBB86_22
.LBB86_45:                              ;   in Loop: Header=BB86_4 Depth=1
	s_waitcnt vmcnt(0)
	v_cmp_gt_i16_sdwa s6, v16, v9 src0_sel:BYTE_0 src1_sel:DWORD
	s_and_saveexec_b32 s27, s6
	s_xor_b32 s6, exec_lo, s27
; %bb.46:                               ;   in Loop: Header=BB86_4 Depth=1
                                        ; implicit-def: $vgpr16
; %bb.47:                               ;   in Loop: Header=BB86_4 Depth=1
	s_or_saveexec_b32 s6, s6
	v_mov_b32_e32 v15, s25
	s_xor_b32 exec_lo, exec_lo, s6
	s_cbranch_execz .LBB86_51
; %bb.48:                               ;   in Loop: Header=BB86_4 Depth=1
	v_mov_b32_e32 v15, 1
	v_cmp_ne_u16_sdwa s28, v16, v10 src0_sel:BYTE_0 src1_sel:DWORD
	s_and_saveexec_b32 s27, s28
; %bb.49:                               ;   in Loop: Header=BB86_4 Depth=1
	v_mov_b32_e32 v15, 0
; %bb.50:                               ;   in Loop: Header=BB86_4 Depth=1
	s_or_b32 exec_lo, exec_lo, s27
.LBB86_51:                              ;   in Loop: Header=BB86_4 Depth=1
	s_or_b32 exec_lo, exec_lo, s6
	s_andn2_b32 vcc_lo, exec_lo, s22
	s_mov_b32 s6, -1
                                        ; implicit-def: $vgpr16
	s_cbranch_vccz .LBB86_23
.LBB86_52:                              ;   in Loop: Header=BB86_4 Depth=1
	s_andn2_b32 vcc_lo, exec_lo, s6
	s_cbranch_vccnz .LBB86_27
.LBB86_53:                              ;   in Loop: Header=BB86_4 Depth=1
	s_waitcnt vmcnt(0)
	v_cmp_gt_i16_sdwa s6, v14, v9 src0_sel:BYTE_0 src1_sel:DWORD
	s_and_saveexec_b32 s27, s6
	s_xor_b32 s6, exec_lo, s27
; %bb.54:                               ;   in Loop: Header=BB86_4 Depth=1
                                        ; implicit-def: $vgpr14
; %bb.55:                               ;   in Loop: Header=BB86_4 Depth=1
	s_or_saveexec_b32 s6, s6
	v_mov_b32_e32 v16, s25
	s_xor_b32 exec_lo, exec_lo, s6
	s_cbranch_execz .LBB86_59
; %bb.56:                               ;   in Loop: Header=BB86_4 Depth=1
	v_mov_b32_e32 v16, 1
	v_cmp_ne_u16_sdwa s28, v14, v10 src0_sel:BYTE_0 src1_sel:DWORD
	s_and_saveexec_b32 s27, s28
; %bb.57:                               ;   in Loop: Header=BB86_4 Depth=1
	v_mov_b32_e32 v16, 0
; %bb.58:                               ;   in Loop: Header=BB86_4 Depth=1
	s_or_b32 exec_lo, exec_lo, s27
.LBB86_59:                              ;   in Loop: Header=BB86_4 Depth=1
	s_or_b32 exec_lo, exec_lo, s6
	s_andn2_b32 vcc_lo, exec_lo, s22
	s_mov_b32 s6, -1
                                        ; implicit-def: $vgpr14
	s_cbranch_vccz .LBB86_28
.LBB86_60:                              ;   in Loop: Header=BB86_4 Depth=1
	s_andn2_b32 vcc_lo, exec_lo, s6
	s_cbranch_vccnz .LBB86_32
.LBB86_61:                              ;   in Loop: Header=BB86_4 Depth=1
	s_waitcnt vmcnt(0)
	v_cmp_gt_i16_sdwa s6, v12, v9 src0_sel:BYTE_0 src1_sel:DWORD
	s_and_saveexec_b32 s27, s6
	s_xor_b32 s6, exec_lo, s27
; %bb.62:                               ;   in Loop: Header=BB86_4 Depth=1
                                        ; implicit-def: $vgpr12
; %bb.63:                               ;   in Loop: Header=BB86_4 Depth=1
	s_or_saveexec_b32 s6, s6
	v_mov_b32_e32 v14, s25
	s_xor_b32 exec_lo, exec_lo, s6
	s_cbranch_execz .LBB86_67
; %bb.64:                               ;   in Loop: Header=BB86_4 Depth=1
	v_mov_b32_e32 v14, 1
	v_cmp_ne_u16_sdwa s28, v12, v10 src0_sel:BYTE_0 src1_sel:DWORD
	s_and_saveexec_b32 s27, s28
; %bb.65:                               ;   in Loop: Header=BB86_4 Depth=1
	v_mov_b32_e32 v14, 0
; %bb.66:                               ;   in Loop: Header=BB86_4 Depth=1
	s_or_b32 exec_lo, exec_lo, s27
.LBB86_67:                              ;   in Loop: Header=BB86_4 Depth=1
	s_or_b32 exec_lo, exec_lo, s6
	s_and_saveexec_b32 s6, s0
	s_xor_b32 s0, exec_lo, s6
	s_cbranch_execnz .LBB86_33
.LBB86_68:                              ;   in Loop: Header=BB86_4 Depth=1
	s_or_b32 exec_lo, exec_lo, s0
	s_and_saveexec_b32 s0, s1
	s_cbranch_execz .LBB86_34
.LBB86_69:                              ;   in Loop: Header=BB86_4 Depth=1
	v_add_co_u32 v1, vcc_lo, s17, v3
	v_add_co_ci_u32_e64 v2, null, s18, v4, vcc_lo
	s_waitcnt vmcnt(0)
	global_store_byte v[1:2], v15, off
	s_or_b32 exec_lo, exec_lo, s0
	s_and_saveexec_b32 s0, s2
	s_cbranch_execnz .LBB86_35
.LBB86_70:                              ;   in Loop: Header=BB86_4 Depth=1
	s_or_b32 exec_lo, exec_lo, s0
	s_and_saveexec_b32 s0, s3
	s_cbranch_execz .LBB86_3
.LBB86_71:                              ;   in Loop: Header=BB86_4 Depth=1
	v_add_co_u32 v1, vcc_lo, s17, v7
	v_add_co_ci_u32_e64 v2, null, s18, v8, vcc_lo
	s_waitcnt vmcnt(0)
	global_store_byte v[1:2], v14, off
	s_branch .LBB86_3
.LBB86_72:
	s_mov_b32 s0, 0
.LBB86_73:
	s_andn2_b32 vcc_lo, exec_lo, s0
	s_cbranch_vccnz .LBB86_127
; %bb.74:
	v_cmp_gt_i64_e64 s0, 0x10000, s[8:9]
	v_mov_b32_e32 v2, 0
	v_lshlrev_b32_e32 v1, 2, v0
	s_mov_b32 s1, 0
	s_and_b32 s0, s0, exec_lo
	s_cselect_b32 s3, s9, 0
	s_cselect_b32 s2, s8, 0x10000
	s_mov_b32 s0, exec_lo
	v_cmpx_gt_i64_e64 s[2:3], v[1:2]
	s_cbranch_execz .LBB86_127
; %bb.75:
	s_load_dword s0, s[4:5], 0xc94
	s_sext_i32_i16 s4, s19
	v_mov_b32_e32 v1, v2
	s_cmp_gt_i32 s4, -1
	v_mov_b32_e32 v5, 0xfe
	s_cselect_b32 s4, -1, 0
	s_and_b32 s5, 0xffff, s19
	v_mov_b32_e32 v6, 1
	s_cmp_lg_u32 s5, 0
	s_cselect_b32 s5, -1, 0
	s_bitcmp0_b32 s19, 0
	v_cndmask_b32_e64 v4, 0, 1, s5
	s_cselect_b32 s6, 1, 0xffff
	s_waitcnt lgkmcnt(0)
	s_and_b32 s8, s0, 0xffff
	s_branch .LBB86_79
.LBB86_76:                              ;   in Loop: Header=BB86_79 Depth=1
	s_or_b32 exec_lo, exec_lo, s9
.LBB86_77:                              ;   in Loop: Header=BB86_79 Depth=1
	s_or_b32 exec_lo, exec_lo, s0
.LBB86_78:                              ;   in Loop: Header=BB86_79 Depth=1
	v_add_co_u32 v0, vcc_lo, v0, s8
	v_add_co_ci_u32_e64 v1, null, 0, v1, vcc_lo
	v_perm_b32 v7, v7, v9, 0xc0c0004
	v_perm_b32 v8, v10, v8, 0xc0c0004
	v_add_co_u32 v2, s0, s17, v2
	v_lshlrev_b64 v[11:12], 2, v[0:1]
	v_add_co_ci_u32_e64 v3, null, s18, v3, s0
	v_lshl_or_b32 v7, v8, 16, v7
	v_cmp_le_i64_e32 vcc_lo, s[2:3], v[11:12]
	global_store_dword v[2:3], v7, off
	s_or_b32 s1, vcc_lo, s1
	s_andn2_b32 exec_lo, exec_lo, s1
	s_cbranch_execz .LBB86_127
.LBB86_79:                              ; =>This Loop Header: Depth=1
                                        ;     Child Loop BB86_82 Depth 2
                                        ;     Child Loop BB86_87 Depth 2
	;; [unrolled: 1-line block ×4, first 2 shown]
	v_lshlrev_b64 v[2:3], 2, v[0:1]
	v_cmp_ne_u32_e64 s0, 1, v4
	s_mov_b32 s9, -1
	v_add_co_u32 v7, vcc_lo, s7, v2
	v_add_co_ci_u32_e64 v8, null, s16, v3, vcc_lo
	s_and_b32 vcc_lo, exec_lo, s4
	global_load_dword v8, v[7:8], off
                                        ; implicit-def: $vgpr7
	s_cbranch_vccz .LBB86_99
; %bb.80:                               ;   in Loop: Header=BB86_79 Depth=1
	v_mov_b32_e32 v7, 1
	s_and_b32 vcc_lo, exec_lo, s0
	s_cbranch_vccnz .LBB86_83
; %bb.81:                               ;   in Loop: Header=BB86_79 Depth=1
	s_waitcnt vmcnt(0)
	v_mov_b32_e32 v9, v8
	s_mov_b32 s0, s19
.LBB86_82:                              ;   Parent Loop BB86_79 Depth=1
                                        ; =>  This Inner Loop Header: Depth=2
	s_bfe_i32 s9, s0, 0x80000
	s_bitcmp1_b32 s0, 0
	s_sext_i32_i16 s9, s9
	s_cselect_b32 vcc_lo, -1, 0
	s_bfe_u32 s0, s0, 0x70001
	v_cndmask_b32_e32 v10, 1, v9, vcc_lo
	v_mul_lo_u16 v9, v9, v9
	s_cmp_gt_i32 s9, 1
	v_mul_lo_u16 v7, v10, v7
	s_cbranch_scc1 .LBB86_82
.LBB86_83:                              ;   in Loop: Header=BB86_79 Depth=1
	s_cbranch_execz .LBB86_100
.LBB86_84:                              ;   in Loop: Header=BB86_79 Depth=1
	s_waitcnt vmcnt(0)
	v_lshrrev_b32_e32 v10, 8, v8
	s_andn2_b32 vcc_lo, exec_lo, s4
	s_mov_b32 s0, -1
                                        ; implicit-def: $vgpr9
	s_cbranch_vccnz .LBB86_105
.LBB86_85:                              ;   in Loop: Header=BB86_79 Depth=1
	v_mov_b32_e32 v9, 1
	s_andn2_b32 vcc_lo, exec_lo, s5
	s_cbranch_vccnz .LBB86_88
; %bb.86:                               ;   in Loop: Header=BB86_79 Depth=1
	v_mov_b32_e32 v11, v10
	s_mov_b32 s0, s19
.LBB86_87:                              ;   Parent Loop BB86_79 Depth=1
                                        ; =>  This Inner Loop Header: Depth=2
	s_bfe_i32 s9, s0, 0x80000
	s_bitcmp1_b32 s0, 0
	s_sext_i32_i16 s9, s9
	s_cselect_b32 vcc_lo, -1, 0
	s_bfe_u32 s0, s0, 0x70001
	v_cndmask_b32_e32 v12, 1, v11, vcc_lo
	v_mul_lo_u16 v11, v11, v11
	s_cmp_lt_i32 s9, 2
	v_mul_lo_u16 v9, v12, v9
	s_cbranch_scc0 .LBB86_87
.LBB86_88:                              ;   in Loop: Header=BB86_79 Depth=1
	s_cbranch_execz .LBB86_106
.LBB86_89:                              ;   in Loop: Header=BB86_79 Depth=1
	v_lshrrev_b32_e32 v11, 16, v8
	s_andn2_b32 vcc_lo, exec_lo, s4
	s_mov_b32 s0, -1
                                        ; implicit-def: $vgpr10
	s_cbranch_vccnz .LBB86_113
.LBB86_90:                              ;   in Loop: Header=BB86_79 Depth=1
	v_mov_b32_e32 v10, 1
	s_andn2_b32 vcc_lo, exec_lo, s5
	s_cbranch_vccnz .LBB86_93
; %bb.91:                               ;   in Loop: Header=BB86_79 Depth=1
	v_mov_b32_e32 v12, v11
	s_mov_b32 s0, s19
.LBB86_92:                              ;   Parent Loop BB86_79 Depth=1
                                        ; =>  This Inner Loop Header: Depth=2
	s_bfe_i32 s9, s0, 0x80000
	s_bitcmp1_b32 s0, 0
	s_sext_i32_i16 s9, s9
	s_cselect_b32 vcc_lo, -1, 0
	s_bfe_u32 s0, s0, 0x70001
	v_cndmask_b32_e32 v13, 1, v12, vcc_lo
	v_mul_lo_u16 v12, v12, v12
	s_cmp_lt_i32 s9, 2
	v_mul_lo_u16 v10, v13, v10
	s_cbranch_scc0 .LBB86_92
.LBB86_93:                              ;   in Loop: Header=BB86_79 Depth=1
	s_cbranch_execz .LBB86_114
.LBB86_94:                              ;   in Loop: Header=BB86_79 Depth=1
	v_lshrrev_b32_e32 v11, 24, v8
	s_andn2_b32 vcc_lo, exec_lo, s4
	s_mov_b32 s0, -1
                                        ; implicit-def: $vgpr8
	s_cbranch_vccnz .LBB86_121
.LBB86_95:                              ;   in Loop: Header=BB86_79 Depth=1
	v_mov_b32_e32 v8, 1
	s_andn2_b32 vcc_lo, exec_lo, s5
	s_cbranch_vccnz .LBB86_98
; %bb.96:                               ;   in Loop: Header=BB86_79 Depth=1
	v_mov_b32_e32 v12, v11
	s_mov_b32 s0, s19
.LBB86_97:                              ;   Parent Loop BB86_79 Depth=1
                                        ; =>  This Inner Loop Header: Depth=2
	s_bfe_i32 s9, s0, 0x80000
	s_bitcmp1_b32 s0, 0
	s_sext_i32_i16 s9, s9
	s_cselect_b32 vcc_lo, -1, 0
	s_bfe_u32 s0, s0, 0x70001
	v_cndmask_b32_e32 v13, 1, v12, vcc_lo
	v_mul_lo_u16 v12, v12, v12
	s_cmp_lt_i32 s9, 2
	v_mul_lo_u16 v8, v13, v8
	s_cbranch_scc0 .LBB86_97
.LBB86_98:                              ;   in Loop: Header=BB86_79 Depth=1
	s_cbranch_execnz .LBB86_78
	s_branch .LBB86_122
.LBB86_99:                              ;   in Loop: Header=BB86_79 Depth=1
	s_andn2_b32 vcc_lo, exec_lo, s9
	s_cbranch_vccnz .LBB86_84
.LBB86_100:                             ;   in Loop: Header=BB86_79 Depth=1
	s_waitcnt vmcnt(0)
	v_cmp_gt_i16_sdwa s0, v8, v5 src0_sel:BYTE_0 src1_sel:DWORD
	s_and_saveexec_b32 s9, s0
	s_xor_b32 s0, exec_lo, s9
	s_or_saveexec_b32 s0, s0
	v_mov_b32_e32 v7, s6
	s_xor_b32 exec_lo, exec_lo, s0
	s_cbranch_execz .LBB86_104
; %bb.101:                              ;   in Loop: Header=BB86_79 Depth=1
	v_mov_b32_e32 v7, 1
	v_cmp_ne_u16_sdwa s10, v8, v6 src0_sel:BYTE_0 src1_sel:DWORD
	s_and_saveexec_b32 s9, s10
; %bb.102:                              ;   in Loop: Header=BB86_79 Depth=1
	v_mov_b32_e32 v7, 0
; %bb.103:                              ;   in Loop: Header=BB86_79 Depth=1
	s_or_b32 exec_lo, exec_lo, s9
.LBB86_104:                             ;   in Loop: Header=BB86_79 Depth=1
	s_or_b32 exec_lo, exec_lo, s0
	v_lshrrev_b32_e32 v10, 8, v8
	s_andn2_b32 vcc_lo, exec_lo, s4
	s_mov_b32 s0, -1
                                        ; implicit-def: $vgpr9
	s_cbranch_vccz .LBB86_85
.LBB86_105:                             ;   in Loop: Header=BB86_79 Depth=1
	s_andn2_b32 vcc_lo, exec_lo, s0
	s_cbranch_vccnz .LBB86_89
.LBB86_106:                             ;   in Loop: Header=BB86_79 Depth=1
	v_cmp_gt_i16_sdwa s0, v10, v5 src0_sel:BYTE_0 src1_sel:DWORD
	s_and_saveexec_b32 s9, s0
	s_xor_b32 s0, exec_lo, s9
; %bb.107:                              ;   in Loop: Header=BB86_79 Depth=1
                                        ; implicit-def: $vgpr10
; %bb.108:                              ;   in Loop: Header=BB86_79 Depth=1
	s_or_saveexec_b32 s0, s0
	v_mov_b32_e32 v9, s6
	s_xor_b32 exec_lo, exec_lo, s0
	s_cbranch_execz .LBB86_112
; %bb.109:                              ;   in Loop: Header=BB86_79 Depth=1
	v_mov_b32_e32 v9, 1
	v_cmp_ne_u16_sdwa s10, v10, v6 src0_sel:BYTE_0 src1_sel:DWORD
	s_and_saveexec_b32 s9, s10
; %bb.110:                              ;   in Loop: Header=BB86_79 Depth=1
	v_mov_b32_e32 v9, 0
; %bb.111:                              ;   in Loop: Header=BB86_79 Depth=1
	s_or_b32 exec_lo, exec_lo, s9
.LBB86_112:                             ;   in Loop: Header=BB86_79 Depth=1
	s_or_b32 exec_lo, exec_lo, s0
	v_lshrrev_b32_e32 v11, 16, v8
	s_andn2_b32 vcc_lo, exec_lo, s4
	s_mov_b32 s0, -1
                                        ; implicit-def: $vgpr10
	s_cbranch_vccz .LBB86_90
.LBB86_113:                             ;   in Loop: Header=BB86_79 Depth=1
	s_andn2_b32 vcc_lo, exec_lo, s0
	s_cbranch_vccnz .LBB86_94
.LBB86_114:                             ;   in Loop: Header=BB86_79 Depth=1
	v_cmp_gt_i16_sdwa s0, v11, v5 src0_sel:BYTE_0 src1_sel:DWORD
	s_and_saveexec_b32 s9, s0
	s_xor_b32 s0, exec_lo, s9
; %bb.115:                              ;   in Loop: Header=BB86_79 Depth=1
                                        ; implicit-def: $vgpr11
; %bb.116:                              ;   in Loop: Header=BB86_79 Depth=1
	s_or_saveexec_b32 s0, s0
	v_mov_b32_e32 v10, s6
	s_xor_b32 exec_lo, exec_lo, s0
	s_cbranch_execz .LBB86_120
; %bb.117:                              ;   in Loop: Header=BB86_79 Depth=1
	v_mov_b32_e32 v10, 1
	v_cmp_ne_u16_sdwa s10, v11, v6 src0_sel:BYTE_0 src1_sel:DWORD
	s_and_saveexec_b32 s9, s10
; %bb.118:                              ;   in Loop: Header=BB86_79 Depth=1
	v_mov_b32_e32 v10, 0
; %bb.119:                              ;   in Loop: Header=BB86_79 Depth=1
	s_or_b32 exec_lo, exec_lo, s9
.LBB86_120:                             ;   in Loop: Header=BB86_79 Depth=1
	s_or_b32 exec_lo, exec_lo, s0
	v_lshrrev_b32_e32 v11, 24, v8
	s_andn2_b32 vcc_lo, exec_lo, s4
	s_mov_b32 s0, -1
                                        ; implicit-def: $vgpr8
	s_cbranch_vccz .LBB86_95
.LBB86_121:                             ;   in Loop: Header=BB86_79 Depth=1
	s_andn2_b32 vcc_lo, exec_lo, s0
	s_cbranch_vccnz .LBB86_78
.LBB86_122:                             ;   in Loop: Header=BB86_79 Depth=1
	s_mov_b32 s0, exec_lo
	v_cmpx_lt_i16_e32 0xfe, v11
	s_xor_b32 s0, exec_lo, s0
; %bb.123:                              ;   in Loop: Header=BB86_79 Depth=1
                                        ; implicit-def: $vgpr11
; %bb.124:                              ;   in Loop: Header=BB86_79 Depth=1
	s_or_saveexec_b32 s0, s0
	v_mov_b32_e32 v8, s6
	s_xor_b32 exec_lo, exec_lo, s0
	s_cbranch_execz .LBB86_77
; %bb.125:                              ;   in Loop: Header=BB86_79 Depth=1
	v_mov_b32_e32 v8, 1
	s_mov_b32 s9, exec_lo
	v_cmpx_ne_u16_e32 1, v11
	s_cbranch_execz .LBB86_76
; %bb.126:                              ;   in Loop: Header=BB86_79 Depth=1
	v_mov_b32_e32 v8, 0
	s_branch .LBB86_76
.LBB86_127:
	s_endpgm
	.section	.rodata,"a",@progbits
	.p2align	6, 0x0
	.amdhsa_kernel _ZN2at6native12_GLOBAL__N_125multi_tensor_apply_kernelINS1_28TensorListScalarListMetadataIaLi2EEENS1_25BinaryOpScalarListFunctorIaLi2ELi1ELi1EEEJNS1_13power_functorIaEEEEEvT_T0_DpT1_
		.amdhsa_group_segment_fixed_size 0
		.amdhsa_private_segment_fixed_size 0
		.amdhsa_kernarg_size 3464
		.amdhsa_user_sgpr_count 6
		.amdhsa_user_sgpr_private_segment_buffer 1
		.amdhsa_user_sgpr_dispatch_ptr 0
		.amdhsa_user_sgpr_queue_ptr 0
		.amdhsa_user_sgpr_kernarg_segment_ptr 1
		.amdhsa_user_sgpr_dispatch_id 0
		.amdhsa_user_sgpr_flat_scratch_init 0
		.amdhsa_user_sgpr_private_segment_size 0
		.amdhsa_wavefront_size32 1
		.amdhsa_uses_dynamic_stack 0
		.amdhsa_system_sgpr_private_segment_wavefront_offset 0
		.amdhsa_system_sgpr_workgroup_id_x 1
		.amdhsa_system_sgpr_workgroup_id_y 0
		.amdhsa_system_sgpr_workgroup_id_z 0
		.amdhsa_system_sgpr_workgroup_info 0
		.amdhsa_system_vgpr_workitem_id 0
		.amdhsa_next_free_vgpr 19
		.amdhsa_next_free_sgpr 29
		.amdhsa_reserve_vcc 1
		.amdhsa_reserve_flat_scratch 0
		.amdhsa_float_round_mode_32 0
		.amdhsa_float_round_mode_16_64 0
		.amdhsa_float_denorm_mode_32 3
		.amdhsa_float_denorm_mode_16_64 3
		.amdhsa_dx10_clamp 1
		.amdhsa_ieee_mode 1
		.amdhsa_fp16_overflow 0
		.amdhsa_workgroup_processor_mode 1
		.amdhsa_memory_ordered 1
		.amdhsa_forward_progress 1
		.amdhsa_shared_vgpr_count 0
		.amdhsa_exception_fp_ieee_invalid_op 0
		.amdhsa_exception_fp_denorm_src 0
		.amdhsa_exception_fp_ieee_div_zero 0
		.amdhsa_exception_fp_ieee_overflow 0
		.amdhsa_exception_fp_ieee_underflow 0
		.amdhsa_exception_fp_ieee_inexact 0
		.amdhsa_exception_int_div_zero 0
	.end_amdhsa_kernel
	.section	.text._ZN2at6native12_GLOBAL__N_125multi_tensor_apply_kernelINS1_28TensorListScalarListMetadataIaLi2EEENS1_25BinaryOpScalarListFunctorIaLi2ELi1ELi1EEEJNS1_13power_functorIaEEEEEvT_T0_DpT1_,"axG",@progbits,_ZN2at6native12_GLOBAL__N_125multi_tensor_apply_kernelINS1_28TensorListScalarListMetadataIaLi2EEENS1_25BinaryOpScalarListFunctorIaLi2ELi1ELi1EEEJNS1_13power_functorIaEEEEEvT_T0_DpT1_,comdat
.Lfunc_end86:
	.size	_ZN2at6native12_GLOBAL__N_125multi_tensor_apply_kernelINS1_28TensorListScalarListMetadataIaLi2EEENS1_25BinaryOpScalarListFunctorIaLi2ELi1ELi1EEEJNS1_13power_functorIaEEEEEvT_T0_DpT1_, .Lfunc_end86-_ZN2at6native12_GLOBAL__N_125multi_tensor_apply_kernelINS1_28TensorListScalarListMetadataIaLi2EEENS1_25BinaryOpScalarListFunctorIaLi2ELi1ELi1EEEJNS1_13power_functorIaEEEEEvT_T0_DpT1_
                                        ; -- End function
	.set _ZN2at6native12_GLOBAL__N_125multi_tensor_apply_kernelINS1_28TensorListScalarListMetadataIaLi2EEENS1_25BinaryOpScalarListFunctorIaLi2ELi1ELi1EEEJNS1_13power_functorIaEEEEEvT_T0_DpT1_.num_vgpr, 19
	.set _ZN2at6native12_GLOBAL__N_125multi_tensor_apply_kernelINS1_28TensorListScalarListMetadataIaLi2EEENS1_25BinaryOpScalarListFunctorIaLi2ELi1ELi1EEEJNS1_13power_functorIaEEEEEvT_T0_DpT1_.num_agpr, 0
	.set _ZN2at6native12_GLOBAL__N_125multi_tensor_apply_kernelINS1_28TensorListScalarListMetadataIaLi2EEENS1_25BinaryOpScalarListFunctorIaLi2ELi1ELi1EEEJNS1_13power_functorIaEEEEEvT_T0_DpT1_.numbered_sgpr, 29
	.set _ZN2at6native12_GLOBAL__N_125multi_tensor_apply_kernelINS1_28TensorListScalarListMetadataIaLi2EEENS1_25BinaryOpScalarListFunctorIaLi2ELi1ELi1EEEJNS1_13power_functorIaEEEEEvT_T0_DpT1_.num_named_barrier, 0
	.set _ZN2at6native12_GLOBAL__N_125multi_tensor_apply_kernelINS1_28TensorListScalarListMetadataIaLi2EEENS1_25BinaryOpScalarListFunctorIaLi2ELi1ELi1EEEJNS1_13power_functorIaEEEEEvT_T0_DpT1_.private_seg_size, 0
	.set _ZN2at6native12_GLOBAL__N_125multi_tensor_apply_kernelINS1_28TensorListScalarListMetadataIaLi2EEENS1_25BinaryOpScalarListFunctorIaLi2ELi1ELi1EEEJNS1_13power_functorIaEEEEEvT_T0_DpT1_.uses_vcc, 1
	.set _ZN2at6native12_GLOBAL__N_125multi_tensor_apply_kernelINS1_28TensorListScalarListMetadataIaLi2EEENS1_25BinaryOpScalarListFunctorIaLi2ELi1ELi1EEEJNS1_13power_functorIaEEEEEvT_T0_DpT1_.uses_flat_scratch, 0
	.set _ZN2at6native12_GLOBAL__N_125multi_tensor_apply_kernelINS1_28TensorListScalarListMetadataIaLi2EEENS1_25BinaryOpScalarListFunctorIaLi2ELi1ELi1EEEJNS1_13power_functorIaEEEEEvT_T0_DpT1_.has_dyn_sized_stack, 0
	.set _ZN2at6native12_GLOBAL__N_125multi_tensor_apply_kernelINS1_28TensorListScalarListMetadataIaLi2EEENS1_25BinaryOpScalarListFunctorIaLi2ELi1ELi1EEEJNS1_13power_functorIaEEEEEvT_T0_DpT1_.has_recursion, 0
	.set _ZN2at6native12_GLOBAL__N_125multi_tensor_apply_kernelINS1_28TensorListScalarListMetadataIaLi2EEENS1_25BinaryOpScalarListFunctorIaLi2ELi1ELi1EEEJNS1_13power_functorIaEEEEEvT_T0_DpT1_.has_indirect_call, 0
	.section	.AMDGPU.csdata,"",@progbits
; Kernel info:
; codeLenInByte = 2580
; TotalNumSgprs: 31
; NumVgprs: 19
; ScratchSize: 0
; MemoryBound: 0
; FloatMode: 240
; IeeeMode: 1
; LDSByteSize: 0 bytes/workgroup (compile time only)
; SGPRBlocks: 0
; VGPRBlocks: 2
; NumSGPRsForWavesPerEU: 31
; NumVGPRsForWavesPerEU: 19
; Occupancy: 16
; WaveLimiterHint : 0
; COMPUTE_PGM_RSRC2:SCRATCH_EN: 0
; COMPUTE_PGM_RSRC2:USER_SGPR: 6
; COMPUTE_PGM_RSRC2:TRAP_HANDLER: 0
; COMPUTE_PGM_RSRC2:TGID_X_EN: 1
; COMPUTE_PGM_RSRC2:TGID_Y_EN: 0
; COMPUTE_PGM_RSRC2:TGID_Z_EN: 0
; COMPUTE_PGM_RSRC2:TIDIG_COMP_CNT: 0
	.section	.text._ZN2at6native12_GLOBAL__N_125multi_tensor_apply_kernelINS1_28TensorListScalarListMetadataIiLi2EEENS1_25BinaryOpScalarListFunctorIiLi2ELi1ELi1EEEJNS1_13power_functorIiEEEEEvT_T0_DpT1_,"axG",@progbits,_ZN2at6native12_GLOBAL__N_125multi_tensor_apply_kernelINS1_28TensorListScalarListMetadataIiLi2EEENS1_25BinaryOpScalarListFunctorIiLi2ELi1ELi1EEEJNS1_13power_functorIiEEEEEvT_T0_DpT1_,comdat
	.globl	_ZN2at6native12_GLOBAL__N_125multi_tensor_apply_kernelINS1_28TensorListScalarListMetadataIiLi2EEENS1_25BinaryOpScalarListFunctorIiLi2ELi1ELi1EEEJNS1_13power_functorIiEEEEEvT_T0_DpT1_ ; -- Begin function _ZN2at6native12_GLOBAL__N_125multi_tensor_apply_kernelINS1_28TensorListScalarListMetadataIiLi2EEENS1_25BinaryOpScalarListFunctorIiLi2ELi1ELi1EEEJNS1_13power_functorIiEEEEEvT_T0_DpT1_
	.p2align	8
	.type	_ZN2at6native12_GLOBAL__N_125multi_tensor_apply_kernelINS1_28TensorListScalarListMetadataIiLi2EEENS1_25BinaryOpScalarListFunctorIiLi2ELi1ELi1EEEJNS1_13power_functorIiEEEEEvT_T0_DpT1_,@function
_ZN2at6native12_GLOBAL__N_125multi_tensor_apply_kernelINS1_28TensorListScalarListMetadataIiLi2EEENS1_25BinaryOpScalarListFunctorIiLi2ELi1ELi1EEEJNS1_13power_functorIiEEEEEvT_T0_DpT1_: ; @_ZN2at6native12_GLOBAL__N_125multi_tensor_apply_kernelINS1_28TensorListScalarListMetadataIiLi2EEENS1_25BinaryOpScalarListFunctorIiLi2ELi1ELi1EEEJNS1_13power_functorIiEEEEEvT_T0_DpT1_
; %bb.0:
	v_mov_b32_e32 v1, s6
	s_add_u32 s0, s4, s6
	s_mul_hi_u32 s1, s6, 3
	s_mul_i32 s6, s6, 3
	s_addc_u32 s2, s5, 0
	global_load_ubyte v1, v1, s[4:5] offset:1792
	s_add_u32 s0, s0, s6
	s_addc_u32 s1, s2, s1
	s_load_dword s0, s[0:1], 0x840
	s_waitcnt lgkmcnt(0)
	s_ashr_i32 s1, s0, 31
	s_waitcnt vmcnt(0)
	v_readfirstlane_b32 s6, v1
	s_lshl_b32 s7, s6, 3
	s_clause 0x2
	s_load_dwordx2 s[2:3], s[4:5], s7 offset:0x0
	s_load_dwordx2 s[8:9], s[4:5], s7 offset:0x200
	s_load_dwordx2 s[10:11], s[4:5], s7 offset:0x400
	s_add_u32 s14, s4, s7
	s_addc_u32 s15, s5, 0
	s_lshl_b64 s[12:13], s[0:1], 18
	s_waitcnt lgkmcnt(0)
	s_add_u32 s7, s2, s12
	s_addc_u32 s16, s3, s13
	s_and_b32 s2, s7, 15
	s_add_u32 s17, s8, s12
	s_addc_u32 s18, s9, s13
	s_lshl_b32 s3, s6, 2
	s_and_b32 s12, s17, 15
	s_sub_u32 s3, 0, s3
	s_subb_u32 s6, 0, 0
	s_add_u32 s8, s14, s3
	s_addc_u32 s9, s15, s6
	s_lshl_b64 s[0:1], s[0:1], 16
	s_load_dword s19, s[8:9], 0x600
	s_mov_b32 s3, 0
	s_sub_u32 s8, s10, s0
	s_mov_b32 s13, s3
	s_subb_u32 s9, s11, s1
	s_and_b32 s0, s10, 3
	s_mov_b32 s1, s3
	s_or_b64 s[0:1], s[12:13], s[0:1]
	s_or_b64 s[0:1], s[0:1], s[2:3]
	s_cmp_eq_u64 s[0:1], 0
	s_mov_b32 s0, -1
	s_cbranch_scc1 .LBB87_81
; %bb.1:
	v_cmp_lt_i64_e64 s0, s[8:9], 1
	s_and_b32 vcc_lo, exec_lo, s0
	s_cbranch_vccnz .LBB87_80
; %bb.2:
	s_load_dword s0, s[4:5], 0xd54
	v_cmp_gt_i64_e64 s1, 0x10000, s[8:9]
	v_cmp_gt_u64_e64 s2, 0x10000, s[8:9]
	s_mov_b64 s[14:15], 0
	s_and_b32 s1, s1, exec_lo
	s_cselect_b32 s11, s9, 0
	s_cselect_b32 s10, s8, 0x10000
	s_waitcnt lgkmcnt(0)
	s_and_b32 s20, s0, 0xffff
	s_and_b32 s0, s2, exec_lo
	s_cselect_b32 s13, s9, 0
	s_cselect_b32 s12, s8, 0x10000
	s_lshl_b32 s21, s20, 1
	s_cmp_gt_i32 s19, -1
	s_mul_i32 s22, s20, 3
	s_cselect_b32 s23, -1, 0
	s_cmp_lg_u32 s19, 0
	s_cselect_b32 s24, -1, 0
	s_bitcmp0_b32 s19, 0
	v_cndmask_b32_e64 v9, 0, 1, s24
	s_cselect_b32 s25, 1, -1
	s_lshl_b32 s26, s20, 2
	s_branch .LBB87_4
.LBB87_3:                               ;   in Loop: Header=BB87_4 Depth=1
	s_or_b32 exec_lo, exec_lo, s0
	s_add_u32 s14, s14, s26
	s_addc_u32 s15, s15, 0
	v_cmp_ge_i64_e64 s0, s[14:15], s[10:11]
	s_and_b32 vcc_lo, exec_lo, s0
	s_cbranch_vccnz .LBB87_80
.LBB87_4:                               ; =>This Loop Header: Depth=1
                                        ;     Child Loop BB87_26 Depth 2
                                        ;     Child Loop BB87_36 Depth 2
	;; [unrolled: 1-line block ×4, first 2 shown]
	v_add_co_u32 v7, s0, s14, v0
	v_add_co_ci_u32_e64 v8, null, s15, 0, s0
	s_waitcnt vmcnt(0)
	v_mov_b32_e32 v13, 0
	v_cmp_gt_u64_e64 s0, s[12:13], v[7:8]
	v_lshlrev_b64 v[1:2], 2, v[7:8]
	s_and_saveexec_b32 s1, s0
	s_cbranch_execz .LBB87_6
; %bb.5:                                ;   in Loop: Header=BB87_4 Depth=1
	v_add_co_u32 v3, vcc_lo, s7, v1
	v_add_co_ci_u32_e64 v4, null, s16, v2, vcc_lo
	global_load_dword v13, v[3:4], off
.LBB87_6:                               ;   in Loop: Header=BB87_4 Depth=1
	s_or_b32 exec_lo, exec_lo, s1
	v_add_co_u32 v3, vcc_lo, v7, s20
	v_add_co_ci_u32_e64 v4, null, 0, v8, vcc_lo
	v_mov_b32_e32 v12, 0
	v_mov_b32_e32 v14, 0
	v_cmp_gt_u64_e64 s1, s[12:13], v[3:4]
	v_lshlrev_b64 v[3:4], 2, v[3:4]
	s_and_saveexec_b32 s2, s1
	s_cbranch_execz .LBB87_8
; %bb.7:                                ;   in Loop: Header=BB87_4 Depth=1
	v_add_co_u32 v5, vcc_lo, s7, v3
	v_add_co_ci_u32_e64 v6, null, s16, v4, vcc_lo
	global_load_dword v14, v[5:6], off
.LBB87_8:                               ;   in Loop: Header=BB87_4 Depth=1
	s_or_b32 exec_lo, exec_lo, s2
	v_add_co_u32 v5, vcc_lo, v7, s21
	v_add_co_ci_u32_e64 v6, null, 0, v8, vcc_lo
	v_cmp_gt_u64_e64 s2, s[12:13], v[5:6]
	v_lshlrev_b64 v[5:6], 2, v[5:6]
	s_and_saveexec_b32 s3, s2
	s_cbranch_execz .LBB87_10
; %bb.9:                                ;   in Loop: Header=BB87_4 Depth=1
	v_add_co_u32 v10, vcc_lo, s7, v5
	v_add_co_ci_u32_e64 v11, null, s16, v6, vcc_lo
	global_load_dword v12, v[10:11], off
.LBB87_10:                              ;   in Loop: Header=BB87_4 Depth=1
	s_or_b32 exec_lo, exec_lo, s3
	v_add_co_u32 v7, vcc_lo, v7, s22
	v_add_co_ci_u32_e64 v8, null, 0, v8, vcc_lo
	v_mov_b32_e32 v10, 0
	v_cmp_gt_u64_e64 s3, s[12:13], v[7:8]
	v_lshlrev_b64 v[7:8], 2, v[7:8]
	s_and_saveexec_b32 s6, s3
	s_cbranch_execz .LBB87_12
; %bb.11:                               ;   in Loop: Header=BB87_4 Depth=1
	v_add_co_u32 v10, vcc_lo, s7, v7
	v_add_co_ci_u32_e64 v11, null, s16, v8, vcc_lo
	global_load_dword v10, v[10:11], off
.LBB87_12:                              ;   in Loop: Header=BB87_4 Depth=1
	s_or_b32 exec_lo, exec_lo, s6
	v_cmp_ne_u32_e64 s6, 1, v9
	s_and_b32 vcc_lo, exec_lo, s23
	s_mov_b32 s27, -1
                                        ; implicit-def: $vgpr11
	s_cbranch_vccnz .LBB87_24
; %bb.13:                               ;   in Loop: Header=BB87_4 Depth=1
	s_andn2_b32 vcc_lo, exec_lo, s27
	s_cbranch_vccz .LBB87_28
.LBB87_14:                              ;   in Loop: Header=BB87_4 Depth=1
	s_andn2_b32 vcc_lo, exec_lo, s23
	s_mov_b32 s6, -1
                                        ; implicit-def: $vgpr13
	s_cbranch_vccz .LBB87_34
.LBB87_15:                              ;   in Loop: Header=BB87_4 Depth=1
	s_andn2_b32 vcc_lo, exec_lo, s6
	s_cbranch_vccz .LBB87_38
.LBB87_16:                              ;   in Loop: Header=BB87_4 Depth=1
	s_andn2_b32 vcc_lo, exec_lo, s23
	s_mov_b32 s6, -1
                                        ; implicit-def: $vgpr14
	s_cbranch_vccz .LBB87_44
.LBB87_17:                              ;   in Loop: Header=BB87_4 Depth=1
	s_andn2_b32 vcc_lo, exec_lo, s6
	s_cbranch_vccz .LBB87_48
.LBB87_18:                              ;   in Loop: Header=BB87_4 Depth=1
	s_andn2_b32 vcc_lo, exec_lo, s23
	s_mov_b32 s6, -1
                                        ; implicit-def: $vgpr12
	s_cbranch_vccz .LBB87_54
.LBB87_19:                              ;   in Loop: Header=BB87_4 Depth=1
	s_andn2_b32 vcc_lo, exec_lo, s6
	s_cbranch_vccz .LBB87_58
.LBB87_20:                              ;   in Loop: Header=BB87_4 Depth=1
	s_and_saveexec_b32 s6, s0
	s_xor_b32 s0, exec_lo, s6
	s_cbranch_execnz .LBB87_64
.LBB87_21:                              ;   in Loop: Header=BB87_4 Depth=1
	s_or_b32 exec_lo, exec_lo, s0
	s_and_saveexec_b32 s0, s1
	s_cbranch_execnz .LBB87_65
.LBB87_22:                              ;   in Loop: Header=BB87_4 Depth=1
	s_or_b32 exec_lo, exec_lo, s0
	s_and_saveexec_b32 s0, s2
	s_cbranch_execnz .LBB87_66
.LBB87_23:                              ;   in Loop: Header=BB87_4 Depth=1
	s_or_b32 exec_lo, exec_lo, s0
	s_and_saveexec_b32 s0, s3
	s_cbranch_execz .LBB87_3
	s_branch .LBB87_67
.LBB87_24:                              ;   in Loop: Header=BB87_4 Depth=1
	v_mov_b32_e32 v11, 1
	s_and_b32 vcc_lo, exec_lo, s6
	s_cbranch_vccnz .LBB87_27
; %bb.25:                               ;   in Loop: Header=BB87_4 Depth=1
	s_waitcnt vmcnt(0)
	v_mov_b32_e32 v15, v13
	s_mov_b32 s6, s19
.LBB87_26:                              ;   Parent Loop BB87_4 Depth=1
                                        ; =>  This Inner Loop Header: Depth=2
	s_bitcmp1_b32 s6, 0
	s_cselect_b32 vcc_lo, -1, 0
	s_lshr_b32 s27, s6, 1
	v_cndmask_b32_e32 v16, 1, v15, vcc_lo
	v_mul_lo_u32 v15, v15, v15
	s_cmp_gt_u32 s6, 1
	s_mov_b32 s6, s27
	v_mul_lo_u32 v11, v16, v11
	s_cbranch_scc1 .LBB87_26
.LBB87_27:                              ;   in Loop: Header=BB87_4 Depth=1
	s_cbranch_execnz .LBB87_14
.LBB87_28:                              ;   in Loop: Header=BB87_4 Depth=1
	s_mov_b32 s6, 0
	s_mov_b32 s27, 0
	s_mov_b32 s28, exec_lo
	s_waitcnt vmcnt(0)
	v_cmpx_lt_i32_e32 0, v13
	s_xor_b32 s28, exec_lo, s28
	s_cbranch_execnz .LBB87_68
; %bb.29:                               ;   in Loop: Header=BB87_4 Depth=1
	s_andn2_saveexec_b32 s28, s28
	s_cbranch_execnz .LBB87_69
.LBB87_30:                              ;   in Loop: Header=BB87_4 Depth=1
	s_or_b32 exec_lo, exec_lo, s28
	s_and_saveexec_b32 s28, s27
	s_xor_b32 s27, exec_lo, s28
	s_cbranch_execnz .LBB87_70
.LBB87_31:                              ;   in Loop: Header=BB87_4 Depth=1
	s_or_b32 exec_lo, exec_lo, s27
	s_and_saveexec_b32 s27, s6
.LBB87_32:                              ;   in Loop: Header=BB87_4 Depth=1
	v_mov_b32_e32 v13, s25
.LBB87_33:                              ;   in Loop: Header=BB87_4 Depth=1
	s_or_b32 exec_lo, exec_lo, s27
	v_mov_b32_e32 v11, v13
	s_andn2_b32 vcc_lo, exec_lo, s23
	s_mov_b32 s6, -1
                                        ; implicit-def: $vgpr13
	s_cbranch_vccnz .LBB87_15
.LBB87_34:                              ;   in Loop: Header=BB87_4 Depth=1
	s_waitcnt vmcnt(0)
	v_mov_b32_e32 v13, 1
	s_andn2_b32 vcc_lo, exec_lo, s24
	s_cbranch_vccnz .LBB87_37
; %bb.35:                               ;   in Loop: Header=BB87_4 Depth=1
	v_mov_b32_e32 v15, v14
	s_mov_b32 s6, s19
.LBB87_36:                              ;   Parent Loop BB87_4 Depth=1
                                        ; =>  This Inner Loop Header: Depth=2
	s_bitcmp1_b32 s6, 0
	s_cselect_b32 vcc_lo, -1, 0
	s_lshr_b32 s27, s6, 1
	v_cndmask_b32_e32 v16, 1, v15, vcc_lo
	v_mul_lo_u32 v15, v15, v15
	s_cmp_lt_u32 s6, 2
	s_mov_b32 s6, s27
	v_mul_lo_u32 v13, v16, v13
	s_cbranch_scc0 .LBB87_36
.LBB87_37:                              ;   in Loop: Header=BB87_4 Depth=1
	s_cbranch_execnz .LBB87_16
.LBB87_38:                              ;   in Loop: Header=BB87_4 Depth=1
	s_mov_b32 s6, 0
	s_mov_b32 s27, 0
	s_mov_b32 s28, exec_lo
	s_waitcnt vmcnt(0)
	v_cmpx_lt_i32_e32 0, v14
	s_xor_b32 s28, exec_lo, s28
	s_cbranch_execnz .LBB87_71
; %bb.39:                               ;   in Loop: Header=BB87_4 Depth=1
	s_andn2_saveexec_b32 s28, s28
	s_cbranch_execnz .LBB87_72
.LBB87_40:                              ;   in Loop: Header=BB87_4 Depth=1
	s_or_b32 exec_lo, exec_lo, s28
	s_and_saveexec_b32 s28, s27
	s_xor_b32 s27, exec_lo, s28
	s_cbranch_execnz .LBB87_73
.LBB87_41:                              ;   in Loop: Header=BB87_4 Depth=1
	s_or_b32 exec_lo, exec_lo, s27
	s_and_saveexec_b32 s27, s6
.LBB87_42:                              ;   in Loop: Header=BB87_4 Depth=1
	v_mov_b32_e32 v14, s25
.LBB87_43:                              ;   in Loop: Header=BB87_4 Depth=1
	s_or_b32 exec_lo, exec_lo, s27
	v_mov_b32_e32 v13, v14
	s_andn2_b32 vcc_lo, exec_lo, s23
	s_mov_b32 s6, -1
                                        ; implicit-def: $vgpr14
	s_cbranch_vccnz .LBB87_17
.LBB87_44:                              ;   in Loop: Header=BB87_4 Depth=1
	s_waitcnt vmcnt(0)
	v_mov_b32_e32 v14, 1
	s_andn2_b32 vcc_lo, exec_lo, s24
	s_cbranch_vccnz .LBB87_47
; %bb.45:                               ;   in Loop: Header=BB87_4 Depth=1
	v_mov_b32_e32 v15, v12
	s_mov_b32 s6, s19
.LBB87_46:                              ;   Parent Loop BB87_4 Depth=1
                                        ; =>  This Inner Loop Header: Depth=2
	s_bitcmp1_b32 s6, 0
	s_cselect_b32 vcc_lo, -1, 0
	s_lshr_b32 s27, s6, 1
	v_cndmask_b32_e32 v16, 1, v15, vcc_lo
	v_mul_lo_u32 v15, v15, v15
	s_cmp_lt_u32 s6, 2
	s_mov_b32 s6, s27
	v_mul_lo_u32 v14, v16, v14
	s_cbranch_scc0 .LBB87_46
.LBB87_47:                              ;   in Loop: Header=BB87_4 Depth=1
	s_cbranch_execnz .LBB87_18
.LBB87_48:                              ;   in Loop: Header=BB87_4 Depth=1
	s_mov_b32 s6, 0
	s_mov_b32 s27, 0
	s_mov_b32 s28, exec_lo
	s_waitcnt vmcnt(0)
	v_cmpx_lt_i32_e32 0, v12
	s_xor_b32 s28, exec_lo, s28
	s_cbranch_execnz .LBB87_74
; %bb.49:                               ;   in Loop: Header=BB87_4 Depth=1
	s_andn2_saveexec_b32 s28, s28
	s_cbranch_execnz .LBB87_75
.LBB87_50:                              ;   in Loop: Header=BB87_4 Depth=1
	s_or_b32 exec_lo, exec_lo, s28
	s_and_saveexec_b32 s28, s27
	s_xor_b32 s27, exec_lo, s28
	s_cbranch_execnz .LBB87_76
.LBB87_51:                              ;   in Loop: Header=BB87_4 Depth=1
	s_or_b32 exec_lo, exec_lo, s27
	s_and_saveexec_b32 s27, s6
.LBB87_52:                              ;   in Loop: Header=BB87_4 Depth=1
	v_mov_b32_e32 v12, s25
.LBB87_53:                              ;   in Loop: Header=BB87_4 Depth=1
	s_or_b32 exec_lo, exec_lo, s27
	v_mov_b32_e32 v14, v12
	s_andn2_b32 vcc_lo, exec_lo, s23
	s_mov_b32 s6, -1
                                        ; implicit-def: $vgpr12
	s_cbranch_vccnz .LBB87_19
.LBB87_54:                              ;   in Loop: Header=BB87_4 Depth=1
	s_waitcnt vmcnt(0)
	v_mov_b32_e32 v12, 1
	s_andn2_b32 vcc_lo, exec_lo, s24
	s_cbranch_vccnz .LBB87_57
; %bb.55:                               ;   in Loop: Header=BB87_4 Depth=1
	v_mov_b32_e32 v15, v10
	s_mov_b32 s6, s19
.LBB87_56:                              ;   Parent Loop BB87_4 Depth=1
                                        ; =>  This Inner Loop Header: Depth=2
	s_bitcmp1_b32 s6, 0
	s_cselect_b32 vcc_lo, -1, 0
	s_lshr_b32 s27, s6, 1
	v_cndmask_b32_e32 v16, 1, v15, vcc_lo
	v_mul_lo_u32 v15, v15, v15
	s_cmp_lt_u32 s6, 2
	s_mov_b32 s6, s27
	v_mul_lo_u32 v12, v16, v12
	s_cbranch_scc0 .LBB87_56
.LBB87_57:                              ;   in Loop: Header=BB87_4 Depth=1
	s_cbranch_execnz .LBB87_20
.LBB87_58:                              ;   in Loop: Header=BB87_4 Depth=1
	s_mov_b32 s6, 0
	s_mov_b32 s27, 0
	s_mov_b32 s28, exec_lo
	s_waitcnt vmcnt(0)
	v_cmpx_lt_i32_e32 0, v10
	s_xor_b32 s28, exec_lo, s28
	s_cbranch_execnz .LBB87_77
; %bb.59:                               ;   in Loop: Header=BB87_4 Depth=1
	s_andn2_saveexec_b32 s28, s28
	s_cbranch_execnz .LBB87_78
.LBB87_60:                              ;   in Loop: Header=BB87_4 Depth=1
	s_or_b32 exec_lo, exec_lo, s28
	s_and_saveexec_b32 s28, s27
	s_xor_b32 s27, exec_lo, s28
	s_cbranch_execnz .LBB87_79
.LBB87_61:                              ;   in Loop: Header=BB87_4 Depth=1
	s_or_b32 exec_lo, exec_lo, s27
	s_and_saveexec_b32 s27, s6
.LBB87_62:                              ;   in Loop: Header=BB87_4 Depth=1
	v_mov_b32_e32 v10, s25
.LBB87_63:                              ;   in Loop: Header=BB87_4 Depth=1
	s_or_b32 exec_lo, exec_lo, s27
	v_mov_b32_e32 v12, v10
	s_and_saveexec_b32 s6, s0
	s_xor_b32 s0, exec_lo, s6
	s_cbranch_execz .LBB87_21
.LBB87_64:                              ;   in Loop: Header=BB87_4 Depth=1
	v_add_co_u32 v1, vcc_lo, s17, v1
	v_add_co_ci_u32_e64 v2, null, s18, v2, vcc_lo
	global_store_dword v[1:2], v11, off
	s_or_b32 exec_lo, exec_lo, s0
	s_and_saveexec_b32 s0, s1
	s_cbranch_execz .LBB87_22
.LBB87_65:                              ;   in Loop: Header=BB87_4 Depth=1
	v_add_co_u32 v1, vcc_lo, s17, v3
	v_add_co_ci_u32_e64 v2, null, s18, v4, vcc_lo
	s_waitcnt vmcnt(0)
	global_store_dword v[1:2], v13, off
	s_or_b32 exec_lo, exec_lo, s0
	s_and_saveexec_b32 s0, s2
	s_cbranch_execz .LBB87_23
.LBB87_66:                              ;   in Loop: Header=BB87_4 Depth=1
	v_add_co_u32 v1, vcc_lo, s17, v5
	v_add_co_ci_u32_e64 v2, null, s18, v6, vcc_lo
	s_waitcnt vmcnt(0)
	global_store_dword v[1:2], v14, off
	s_or_b32 exec_lo, exec_lo, s0
	s_and_saveexec_b32 s0, s3
	s_cbranch_execz .LBB87_3
.LBB87_67:                              ;   in Loop: Header=BB87_4 Depth=1
	v_add_co_u32 v1, vcc_lo, s17, v7
	v_add_co_ci_u32_e64 v2, null, s18, v8, vcc_lo
	s_waitcnt vmcnt(0)
	global_store_dword v[1:2], v12, off
	s_branch .LBB87_3
.LBB87_68:                              ;   in Loop: Header=BB87_4 Depth=1
	v_cmp_ne_u32_e32 vcc_lo, 1, v13
	s_and_b32 s27, vcc_lo, exec_lo
	s_andn2_saveexec_b32 s28, s28
	s_cbranch_execz .LBB87_30
.LBB87_69:                              ;   in Loop: Header=BB87_4 Depth=1
	v_cmp_ne_u32_e32 vcc_lo, -1, v13
	s_andn2_b32 s27, s27, exec_lo
	s_mov_b32 s6, exec_lo
	s_and_b32 s29, vcc_lo, exec_lo
	s_or_b32 s27, s27, s29
	s_or_b32 exec_lo, exec_lo, s28
	s_and_saveexec_b32 s28, s27
	s_xor_b32 s27, exec_lo, s28
	s_cbranch_execz .LBB87_31
.LBB87_70:                              ;   in Loop: Header=BB87_4 Depth=1
	v_mov_b32_e32 v13, 0
	s_andn2_b32 s6, s6, exec_lo
	s_or_b32 exec_lo, exec_lo, s27
	s_and_saveexec_b32 s27, s6
	s_cbranch_execnz .LBB87_32
	s_branch .LBB87_33
.LBB87_71:                              ;   in Loop: Header=BB87_4 Depth=1
	v_cmp_ne_u32_e32 vcc_lo, 1, v14
	s_and_b32 s27, vcc_lo, exec_lo
	s_andn2_saveexec_b32 s28, s28
	s_cbranch_execz .LBB87_40
.LBB87_72:                              ;   in Loop: Header=BB87_4 Depth=1
	v_cmp_ne_u32_e32 vcc_lo, -1, v14
	s_andn2_b32 s27, s27, exec_lo
	s_mov_b32 s6, exec_lo
	s_and_b32 s29, vcc_lo, exec_lo
	s_or_b32 s27, s27, s29
	s_or_b32 exec_lo, exec_lo, s28
	s_and_saveexec_b32 s28, s27
	s_xor_b32 s27, exec_lo, s28
	s_cbranch_execz .LBB87_41
.LBB87_73:                              ;   in Loop: Header=BB87_4 Depth=1
	v_mov_b32_e32 v14, 0
	s_andn2_b32 s6, s6, exec_lo
	s_or_b32 exec_lo, exec_lo, s27
	s_and_saveexec_b32 s27, s6
	s_cbranch_execnz .LBB87_42
	s_branch .LBB87_43
.LBB87_74:                              ;   in Loop: Header=BB87_4 Depth=1
	v_cmp_ne_u32_e32 vcc_lo, 1, v12
	s_and_b32 s27, vcc_lo, exec_lo
	s_andn2_saveexec_b32 s28, s28
	s_cbranch_execz .LBB87_50
.LBB87_75:                              ;   in Loop: Header=BB87_4 Depth=1
	v_cmp_ne_u32_e32 vcc_lo, -1, v12
	s_andn2_b32 s27, s27, exec_lo
	s_mov_b32 s6, exec_lo
	s_and_b32 s29, vcc_lo, exec_lo
	s_or_b32 s27, s27, s29
	s_or_b32 exec_lo, exec_lo, s28
	s_and_saveexec_b32 s28, s27
	s_xor_b32 s27, exec_lo, s28
	s_cbranch_execz .LBB87_51
.LBB87_76:                              ;   in Loop: Header=BB87_4 Depth=1
	v_mov_b32_e32 v12, 0
	s_andn2_b32 s6, s6, exec_lo
	s_or_b32 exec_lo, exec_lo, s27
	s_and_saveexec_b32 s27, s6
	s_cbranch_execnz .LBB87_52
	s_branch .LBB87_53
.LBB87_77:                              ;   in Loop: Header=BB87_4 Depth=1
	v_cmp_ne_u32_e32 vcc_lo, 1, v10
	s_and_b32 s27, vcc_lo, exec_lo
	s_andn2_saveexec_b32 s28, s28
	s_cbranch_execz .LBB87_60
.LBB87_78:                              ;   in Loop: Header=BB87_4 Depth=1
	v_cmp_ne_u32_e32 vcc_lo, -1, v10
	s_andn2_b32 s27, s27, exec_lo
	s_mov_b32 s6, exec_lo
	s_and_b32 s29, vcc_lo, exec_lo
	s_or_b32 s27, s27, s29
	s_or_b32 exec_lo, exec_lo, s28
	s_and_saveexec_b32 s28, s27
	s_xor_b32 s27, exec_lo, s28
	s_cbranch_execz .LBB87_61
.LBB87_79:                              ;   in Loop: Header=BB87_4 Depth=1
	v_mov_b32_e32 v10, 0
	s_andn2_b32 s6, s6, exec_lo
	s_or_b32 exec_lo, exec_lo, s27
	s_and_saveexec_b32 s27, s6
	s_cbranch_execnz .LBB87_62
	s_branch .LBB87_63
.LBB87_80:
	s_mov_b32 s0, 0
.LBB87_81:
	s_andn2_b32 vcc_lo, exec_lo, s0
	s_cbranch_vccnz .LBB87_145
; %bb.82:
	v_cmp_gt_i64_e64 s0, 0x10000, s[8:9]
	v_mov_b32_e32 v2, 0
	v_lshlrev_b32_e32 v1, 2, v0
	s_mov_b32 s1, 0
	s_and_b32 s0, s0, exec_lo
	s_cselect_b32 s3, s9, 0
	s_cselect_b32 s2, s8, 0x10000
	s_mov_b32 s0, exec_lo
	v_cmpx_gt_i64_e64 s[2:3], v[1:2]
	s_cbranch_execz .LBB87_145
; %bb.83:
	s_load_dword s0, s[4:5], 0xd54
	s_waitcnt lgkmcnt(0)
	s_cmp_gt_i32 s19, -1
	v_mov_b32_e32 v1, v2
	s_cselect_b32 s4, -1, 0
	s_cmp_lg_u32 s19, 0
	s_cselect_b32 s5, -1, 0
	s_bitcmp0_b32 s19, 0
	s_waitcnt vmcnt(0)
	v_cndmask_b32_e64 v12, 0, 1, s5
	s_cselect_b32 s6, 1, -1
	s_and_b32 s8, s0, 0xffff
	s_branch .LBB87_86
.LBB87_84:                              ;   in Loop: Header=BB87_86 Depth=1
	s_or_b32 exec_lo, exec_lo, s9
	v_mov_b32_e32 v9, v5
.LBB87_85:                              ;   in Loop: Header=BB87_86 Depth=1
	v_add_co_u32 v0, vcc_lo, v0, s8
	v_add_co_ci_u32_e64 v1, null, 0, v1, vcc_lo
	s_waitcnt vmcnt(0)
	v_lshlrev_b64 v[2:3], 2, v[0:1]
	v_cmp_le_i64_e32 vcc_lo, s[2:3], v[2:3]
	v_add_co_u32 v2, s0, s17, v10
	v_add_co_ci_u32_e64 v3, null, s18, v11, s0
	s_or_b32 s1, vcc_lo, s1
	global_store_dwordx4 v[2:3], v[6:9], off
	s_andn2_b32 exec_lo, exec_lo, s1
	s_cbranch_execz .LBB87_145
.LBB87_86:                              ; =>This Loop Header: Depth=1
                                        ;     Child Loop BB87_96 Depth 2
                                        ;     Child Loop BB87_109 Depth 2
	;; [unrolled: 1-line block ×4, first 2 shown]
	v_lshlrev_b64 v[10:11], 4, v[0:1]
	v_cmp_ne_u32_e64 s0, 1, v12
	s_mov_b32 s9, -1
                                        ; implicit-def: $vgpr6
	v_add_co_u32 v2, vcc_lo, s7, v10
	v_add_co_ci_u32_e64 v3, null, s16, v11, vcc_lo
	s_and_b32 vcc_lo, exec_lo, s4
	global_load_dwordx4 v[2:5], v[2:3], off
	s_cbranch_vccnz .LBB87_94
; %bb.87:                               ;   in Loop: Header=BB87_86 Depth=1
	s_andn2_b32 vcc_lo, exec_lo, s9
	s_cbranch_vccz .LBB87_98
.LBB87_88:                              ;   in Loop: Header=BB87_86 Depth=1
	s_andn2_b32 vcc_lo, exec_lo, s4
	s_mov_b32 s0, -1
	s_cbranch_vccz .LBB87_107
.LBB87_89:                              ;   in Loop: Header=BB87_86 Depth=1
	s_andn2_b32 vcc_lo, exec_lo, s0
	s_cbranch_vccz .LBB87_111
.LBB87_90:                              ;   in Loop: Header=BB87_86 Depth=1
	s_andn2_b32 vcc_lo, exec_lo, s4
	s_mov_b32 s0, -1
	s_cbranch_vccz .LBB87_117
.LBB87_91:                              ;   in Loop: Header=BB87_86 Depth=1
	s_andn2_b32 vcc_lo, exec_lo, s0
	s_cbranch_vccz .LBB87_121
.LBB87_92:                              ;   in Loop: Header=BB87_86 Depth=1
	s_andn2_b32 vcc_lo, exec_lo, s4
	s_mov_b32 s0, -1
	s_cbranch_vccz .LBB87_127
.LBB87_93:                              ;   in Loop: Header=BB87_86 Depth=1
	s_andn2_b32 vcc_lo, exec_lo, s0
	s_cbranch_vccnz .LBB87_85
	s_branch .LBB87_131
.LBB87_94:                              ;   in Loop: Header=BB87_86 Depth=1
	v_mov_b32_e32 v6, 1
	s_and_b32 vcc_lo, exec_lo, s0
	s_cbranch_vccnz .LBB87_97
; %bb.95:                               ;   in Loop: Header=BB87_86 Depth=1
	s_waitcnt vmcnt(0)
	v_mov_b32_e32 v7, v2
	s_mov_b32 s0, s19
.LBB87_96:                              ;   Parent Loop BB87_86 Depth=1
                                        ; =>  This Inner Loop Header: Depth=2
	s_bitcmp1_b32 s0, 0
	s_cselect_b32 vcc_lo, -1, 0
	s_lshr_b32 s9, s0, 1
	v_cndmask_b32_e32 v8, 1, v7, vcc_lo
	v_mul_lo_u32 v7, v7, v7
	s_cmp_gt_u32 s0, 1
	s_mov_b32 s0, s9
	v_mul_lo_u32 v6, v8, v6
	s_cbranch_scc1 .LBB87_96
.LBB87_97:                              ;   in Loop: Header=BB87_86 Depth=1
	s_cbranch_execnz .LBB87_88
.LBB87_98:                              ;   in Loop: Header=BB87_86 Depth=1
	s_mov_b32 s0, 0
	s_mov_b32 s9, 0
	s_mov_b32 s10, exec_lo
	s_waitcnt vmcnt(0)
	v_cmpx_lt_i32_e32 0, v2
	s_xor_b32 s10, exec_lo, s10
; %bb.99:                               ;   in Loop: Header=BB87_86 Depth=1
	v_cmp_ne_u32_e32 vcc_lo, 1, v2
	s_and_b32 s9, vcc_lo, exec_lo
; %bb.100:                              ;   in Loop: Header=BB87_86 Depth=1
	s_andn2_saveexec_b32 s10, s10
; %bb.101:                              ;   in Loop: Header=BB87_86 Depth=1
	v_cmp_ne_u32_e32 vcc_lo, -1, v2
	s_andn2_b32 s9, s9, exec_lo
	s_mov_b32 s0, exec_lo
	s_and_b32 s11, vcc_lo, exec_lo
	s_or_b32 s9, s9, s11
; %bb.102:                              ;   in Loop: Header=BB87_86 Depth=1
	s_or_b32 exec_lo, exec_lo, s10
	v_mov_b32_e32 v6, v2
	s_and_saveexec_b32 s10, s9
	s_xor_b32 s9, exec_lo, s10
; %bb.103:                              ;   in Loop: Header=BB87_86 Depth=1
	v_mov_b32_e32 v6, 0
	s_andn2_b32 s0, s0, exec_lo
; %bb.104:                              ;   in Loop: Header=BB87_86 Depth=1
	s_or_b32 exec_lo, exec_lo, s9
	s_and_saveexec_b32 s9, s0
; %bb.105:                              ;   in Loop: Header=BB87_86 Depth=1
	v_mov_b32_e32 v6, s6
; %bb.106:                              ;   in Loop: Header=BB87_86 Depth=1
	s_or_b32 exec_lo, exec_lo, s9
	s_andn2_b32 vcc_lo, exec_lo, s4
	s_mov_b32 s0, -1
	s_cbranch_vccnz .LBB87_89
.LBB87_107:                             ;   in Loop: Header=BB87_86 Depth=1
	v_mov_b32_e32 v7, 1
	s_andn2_b32 vcc_lo, exec_lo, s5
	s_cbranch_vccnz .LBB87_110
; %bb.108:                              ;   in Loop: Header=BB87_86 Depth=1
	s_waitcnt vmcnt(0)
	v_mov_b32_e32 v2, v3
	s_mov_b32 s0, s19
.LBB87_109:                             ;   Parent Loop BB87_86 Depth=1
                                        ; =>  This Inner Loop Header: Depth=2
	s_bitcmp1_b32 s0, 0
	s_cselect_b32 vcc_lo, -1, 0
	s_lshr_b32 s9, s0, 1
	v_cndmask_b32_e32 v8, 1, v2, vcc_lo
	v_mul_lo_u32 v2, v2, v2
	s_cmp_lt_u32 s0, 2
	s_mov_b32 s0, s9
	v_mul_lo_u32 v7, v8, v7
	s_cbranch_scc0 .LBB87_109
.LBB87_110:                             ;   in Loop: Header=BB87_86 Depth=1
	s_cbranch_execnz .LBB87_90
.LBB87_111:                             ;   in Loop: Header=BB87_86 Depth=1
	s_mov_b32 s0, 0
	s_mov_b32 s9, 0
	s_mov_b32 s10, exec_lo
	s_waitcnt vmcnt(0)
	v_cmpx_lt_i32_e32 0, v3
	s_xor_b32 s10, exec_lo, s10
	s_cbranch_execnz .LBB87_135
; %bb.112:                              ;   in Loop: Header=BB87_86 Depth=1
	s_andn2_saveexec_b32 s10, s10
	s_cbranch_execnz .LBB87_136
.LBB87_113:                             ;   in Loop: Header=BB87_86 Depth=1
	s_or_b32 exec_lo, exec_lo, s10
	s_and_saveexec_b32 s10, s9
	s_xor_b32 s9, exec_lo, s10
	s_cbranch_execnz .LBB87_137
.LBB87_114:                             ;   in Loop: Header=BB87_86 Depth=1
	s_or_b32 exec_lo, exec_lo, s9
	s_and_saveexec_b32 s9, s0
.LBB87_115:                             ;   in Loop: Header=BB87_86 Depth=1
	v_mov_b32_e32 v3, s6
.LBB87_116:                             ;   in Loop: Header=BB87_86 Depth=1
	s_or_b32 exec_lo, exec_lo, s9
	v_mov_b32_e32 v7, v3
	s_andn2_b32 vcc_lo, exec_lo, s4
	s_mov_b32 s0, -1
	s_cbranch_vccnz .LBB87_91
.LBB87_117:                             ;   in Loop: Header=BB87_86 Depth=1
	v_mov_b32_e32 v8, 1
	s_andn2_b32 vcc_lo, exec_lo, s5
	s_cbranch_vccnz .LBB87_120
; %bb.118:                              ;   in Loop: Header=BB87_86 Depth=1
	s_waitcnt vmcnt(0)
	v_mov_b32_e32 v2, v4
	s_mov_b32 s0, s19
.LBB87_119:                             ;   Parent Loop BB87_86 Depth=1
                                        ; =>  This Inner Loop Header: Depth=2
	s_bitcmp1_b32 s0, 0
	s_cselect_b32 vcc_lo, -1, 0
	s_lshr_b32 s9, s0, 1
	v_cndmask_b32_e32 v3, 1, v2, vcc_lo
	v_mul_lo_u32 v2, v2, v2
	s_cmp_lt_u32 s0, 2
	s_mov_b32 s0, s9
	v_mul_lo_u32 v8, v3, v8
	s_cbranch_scc0 .LBB87_119
.LBB87_120:                             ;   in Loop: Header=BB87_86 Depth=1
	s_cbranch_execnz .LBB87_92
.LBB87_121:                             ;   in Loop: Header=BB87_86 Depth=1
	s_mov_b32 s0, 0
	s_mov_b32 s9, 0
	s_mov_b32 s10, exec_lo
	s_waitcnt vmcnt(0)
	v_cmpx_lt_i32_e32 0, v4
	s_xor_b32 s10, exec_lo, s10
	s_cbranch_execnz .LBB87_138
; %bb.122:                              ;   in Loop: Header=BB87_86 Depth=1
	s_andn2_saveexec_b32 s10, s10
	s_cbranch_execnz .LBB87_139
.LBB87_123:                             ;   in Loop: Header=BB87_86 Depth=1
	s_or_b32 exec_lo, exec_lo, s10
	s_and_saveexec_b32 s10, s9
	s_xor_b32 s9, exec_lo, s10
	s_cbranch_execnz .LBB87_140
.LBB87_124:                             ;   in Loop: Header=BB87_86 Depth=1
	s_or_b32 exec_lo, exec_lo, s9
	s_and_saveexec_b32 s9, s0
.LBB87_125:                             ;   in Loop: Header=BB87_86 Depth=1
	v_mov_b32_e32 v4, s6
.LBB87_126:                             ;   in Loop: Header=BB87_86 Depth=1
	s_or_b32 exec_lo, exec_lo, s9
	v_mov_b32_e32 v8, v4
	s_andn2_b32 vcc_lo, exec_lo, s4
	s_mov_b32 s0, -1
	s_cbranch_vccnz .LBB87_93
.LBB87_127:                             ;   in Loop: Header=BB87_86 Depth=1
	v_mov_b32_e32 v9, 1
	s_andn2_b32 vcc_lo, exec_lo, s5
	s_cbranch_vccnz .LBB87_130
; %bb.128:                              ;   in Loop: Header=BB87_86 Depth=1
	s_waitcnt vmcnt(0)
	v_mov_b32_e32 v2, v5
	s_mov_b32 s0, s19
.LBB87_129:                             ;   Parent Loop BB87_86 Depth=1
                                        ; =>  This Inner Loop Header: Depth=2
	s_bitcmp1_b32 s0, 0
	s_cselect_b32 vcc_lo, -1, 0
	s_lshr_b32 s9, s0, 1
	v_cndmask_b32_e32 v3, 1, v2, vcc_lo
	v_mul_lo_u32 v2, v2, v2
	s_cmp_lt_u32 s0, 2
	s_mov_b32 s0, s9
	v_mul_lo_u32 v9, v3, v9
	s_cbranch_scc0 .LBB87_129
.LBB87_130:                             ;   in Loop: Header=BB87_86 Depth=1
	s_cbranch_execnz .LBB87_85
.LBB87_131:                             ;   in Loop: Header=BB87_86 Depth=1
	s_mov_b32 s0, 0
	s_mov_b32 s9, 0
	s_mov_b32 s10, exec_lo
	s_waitcnt vmcnt(0)
	v_cmpx_lt_i32_e32 0, v5
	s_xor_b32 s10, exec_lo, s10
	s_cbranch_execnz .LBB87_141
; %bb.132:                              ;   in Loop: Header=BB87_86 Depth=1
	s_andn2_saveexec_b32 s10, s10
	s_cbranch_execnz .LBB87_142
.LBB87_133:                             ;   in Loop: Header=BB87_86 Depth=1
	s_or_b32 exec_lo, exec_lo, s10
	s_and_saveexec_b32 s10, s9
	s_xor_b32 s9, exec_lo, s10
	s_cbranch_execnz .LBB87_143
.LBB87_134:                             ;   in Loop: Header=BB87_86 Depth=1
	s_or_b32 exec_lo, exec_lo, s9
	s_and_saveexec_b32 s9, s0
	s_cbranch_execz .LBB87_84
	s_branch .LBB87_144
.LBB87_135:                             ;   in Loop: Header=BB87_86 Depth=1
	v_cmp_ne_u32_e32 vcc_lo, 1, v3
	s_and_b32 s9, vcc_lo, exec_lo
	s_andn2_saveexec_b32 s10, s10
	s_cbranch_execz .LBB87_113
.LBB87_136:                             ;   in Loop: Header=BB87_86 Depth=1
	v_cmp_ne_u32_e32 vcc_lo, -1, v3
	s_andn2_b32 s9, s9, exec_lo
	s_mov_b32 s0, exec_lo
	s_and_b32 s11, vcc_lo, exec_lo
	s_or_b32 s9, s9, s11
	s_or_b32 exec_lo, exec_lo, s10
	s_and_saveexec_b32 s10, s9
	s_xor_b32 s9, exec_lo, s10
	s_cbranch_execz .LBB87_114
.LBB87_137:                             ;   in Loop: Header=BB87_86 Depth=1
	v_mov_b32_e32 v3, 0
	s_andn2_b32 s0, s0, exec_lo
	s_or_b32 exec_lo, exec_lo, s9
	s_and_saveexec_b32 s9, s0
	s_cbranch_execnz .LBB87_115
	s_branch .LBB87_116
.LBB87_138:                             ;   in Loop: Header=BB87_86 Depth=1
	v_cmp_ne_u32_e32 vcc_lo, 1, v4
	s_and_b32 s9, vcc_lo, exec_lo
	s_andn2_saveexec_b32 s10, s10
	s_cbranch_execz .LBB87_123
.LBB87_139:                             ;   in Loop: Header=BB87_86 Depth=1
	v_cmp_ne_u32_e32 vcc_lo, -1, v4
	s_andn2_b32 s9, s9, exec_lo
	s_mov_b32 s0, exec_lo
	s_and_b32 s11, vcc_lo, exec_lo
	s_or_b32 s9, s9, s11
	s_or_b32 exec_lo, exec_lo, s10
	s_and_saveexec_b32 s10, s9
	s_xor_b32 s9, exec_lo, s10
	s_cbranch_execz .LBB87_124
.LBB87_140:                             ;   in Loop: Header=BB87_86 Depth=1
	v_mov_b32_e32 v4, 0
	s_andn2_b32 s0, s0, exec_lo
	s_or_b32 exec_lo, exec_lo, s9
	s_and_saveexec_b32 s9, s0
	s_cbranch_execnz .LBB87_125
	s_branch .LBB87_126
.LBB87_141:                             ;   in Loop: Header=BB87_86 Depth=1
	v_cmp_ne_u32_e32 vcc_lo, 1, v5
	s_and_b32 s9, vcc_lo, exec_lo
	s_andn2_saveexec_b32 s10, s10
	s_cbranch_execz .LBB87_133
.LBB87_142:                             ;   in Loop: Header=BB87_86 Depth=1
	v_cmp_ne_u32_e32 vcc_lo, -1, v5
	s_andn2_b32 s9, s9, exec_lo
	s_mov_b32 s0, exec_lo
	s_and_b32 s11, vcc_lo, exec_lo
	s_or_b32 s9, s9, s11
	s_or_b32 exec_lo, exec_lo, s10
	s_and_saveexec_b32 s10, s9
	s_xor_b32 s9, exec_lo, s10
	s_cbranch_execz .LBB87_134
.LBB87_143:                             ;   in Loop: Header=BB87_86 Depth=1
	v_mov_b32_e32 v5, 0
	s_andn2_b32 s0, s0, exec_lo
	s_or_b32 exec_lo, exec_lo, s9
	s_and_saveexec_b32 s9, s0
	s_cbranch_execz .LBB87_84
.LBB87_144:                             ;   in Loop: Header=BB87_86 Depth=1
	v_mov_b32_e32 v5, s6
	s_branch .LBB87_84
.LBB87_145:
	s_endpgm
	.section	.rodata,"a",@progbits
	.p2align	6, 0x0
	.amdhsa_kernel _ZN2at6native12_GLOBAL__N_125multi_tensor_apply_kernelINS1_28TensorListScalarListMetadataIiLi2EEENS1_25BinaryOpScalarListFunctorIiLi2ELi1ELi1EEEJNS1_13power_functorIiEEEEEvT_T0_DpT1_
		.amdhsa_group_segment_fixed_size 0
		.amdhsa_private_segment_fixed_size 0
		.amdhsa_kernarg_size 3656
		.amdhsa_user_sgpr_count 6
		.amdhsa_user_sgpr_private_segment_buffer 1
		.amdhsa_user_sgpr_dispatch_ptr 0
		.amdhsa_user_sgpr_queue_ptr 0
		.amdhsa_user_sgpr_kernarg_segment_ptr 1
		.amdhsa_user_sgpr_dispatch_id 0
		.amdhsa_user_sgpr_flat_scratch_init 0
		.amdhsa_user_sgpr_private_segment_size 0
		.amdhsa_wavefront_size32 1
		.amdhsa_uses_dynamic_stack 0
		.amdhsa_system_sgpr_private_segment_wavefront_offset 0
		.amdhsa_system_sgpr_workgroup_id_x 1
		.amdhsa_system_sgpr_workgroup_id_y 0
		.amdhsa_system_sgpr_workgroup_id_z 0
		.amdhsa_system_sgpr_workgroup_info 0
		.amdhsa_system_vgpr_workitem_id 0
		.amdhsa_next_free_vgpr 17
		.amdhsa_next_free_sgpr 30
		.amdhsa_reserve_vcc 1
		.amdhsa_reserve_flat_scratch 0
		.amdhsa_float_round_mode_32 0
		.amdhsa_float_round_mode_16_64 0
		.amdhsa_float_denorm_mode_32 3
		.amdhsa_float_denorm_mode_16_64 3
		.amdhsa_dx10_clamp 1
		.amdhsa_ieee_mode 1
		.amdhsa_fp16_overflow 0
		.amdhsa_workgroup_processor_mode 1
		.amdhsa_memory_ordered 1
		.amdhsa_forward_progress 1
		.amdhsa_shared_vgpr_count 0
		.amdhsa_exception_fp_ieee_invalid_op 0
		.amdhsa_exception_fp_denorm_src 0
		.amdhsa_exception_fp_ieee_div_zero 0
		.amdhsa_exception_fp_ieee_overflow 0
		.amdhsa_exception_fp_ieee_underflow 0
		.amdhsa_exception_fp_ieee_inexact 0
		.amdhsa_exception_int_div_zero 0
	.end_amdhsa_kernel
	.section	.text._ZN2at6native12_GLOBAL__N_125multi_tensor_apply_kernelINS1_28TensorListScalarListMetadataIiLi2EEENS1_25BinaryOpScalarListFunctorIiLi2ELi1ELi1EEEJNS1_13power_functorIiEEEEEvT_T0_DpT1_,"axG",@progbits,_ZN2at6native12_GLOBAL__N_125multi_tensor_apply_kernelINS1_28TensorListScalarListMetadataIiLi2EEENS1_25BinaryOpScalarListFunctorIiLi2ELi1ELi1EEEJNS1_13power_functorIiEEEEEvT_T0_DpT1_,comdat
.Lfunc_end87:
	.size	_ZN2at6native12_GLOBAL__N_125multi_tensor_apply_kernelINS1_28TensorListScalarListMetadataIiLi2EEENS1_25BinaryOpScalarListFunctorIiLi2ELi1ELi1EEEJNS1_13power_functorIiEEEEEvT_T0_DpT1_, .Lfunc_end87-_ZN2at6native12_GLOBAL__N_125multi_tensor_apply_kernelINS1_28TensorListScalarListMetadataIiLi2EEENS1_25BinaryOpScalarListFunctorIiLi2ELi1ELi1EEEJNS1_13power_functorIiEEEEEvT_T0_DpT1_
                                        ; -- End function
	.set _ZN2at6native12_GLOBAL__N_125multi_tensor_apply_kernelINS1_28TensorListScalarListMetadataIiLi2EEENS1_25BinaryOpScalarListFunctorIiLi2ELi1ELi1EEEJNS1_13power_functorIiEEEEEvT_T0_DpT1_.num_vgpr, 17
	.set _ZN2at6native12_GLOBAL__N_125multi_tensor_apply_kernelINS1_28TensorListScalarListMetadataIiLi2EEENS1_25BinaryOpScalarListFunctorIiLi2ELi1ELi1EEEJNS1_13power_functorIiEEEEEvT_T0_DpT1_.num_agpr, 0
	.set _ZN2at6native12_GLOBAL__N_125multi_tensor_apply_kernelINS1_28TensorListScalarListMetadataIiLi2EEENS1_25BinaryOpScalarListFunctorIiLi2ELi1ELi1EEEJNS1_13power_functorIiEEEEEvT_T0_DpT1_.numbered_sgpr, 30
	.set _ZN2at6native12_GLOBAL__N_125multi_tensor_apply_kernelINS1_28TensorListScalarListMetadataIiLi2EEENS1_25BinaryOpScalarListFunctorIiLi2ELi1ELi1EEEJNS1_13power_functorIiEEEEEvT_T0_DpT1_.num_named_barrier, 0
	.set _ZN2at6native12_GLOBAL__N_125multi_tensor_apply_kernelINS1_28TensorListScalarListMetadataIiLi2EEENS1_25BinaryOpScalarListFunctorIiLi2ELi1ELi1EEEJNS1_13power_functorIiEEEEEvT_T0_DpT1_.private_seg_size, 0
	.set _ZN2at6native12_GLOBAL__N_125multi_tensor_apply_kernelINS1_28TensorListScalarListMetadataIiLi2EEENS1_25BinaryOpScalarListFunctorIiLi2ELi1ELi1EEEJNS1_13power_functorIiEEEEEvT_T0_DpT1_.uses_vcc, 1
	.set _ZN2at6native12_GLOBAL__N_125multi_tensor_apply_kernelINS1_28TensorListScalarListMetadataIiLi2EEENS1_25BinaryOpScalarListFunctorIiLi2ELi1ELi1EEEJNS1_13power_functorIiEEEEEvT_T0_DpT1_.uses_flat_scratch, 0
	.set _ZN2at6native12_GLOBAL__N_125multi_tensor_apply_kernelINS1_28TensorListScalarListMetadataIiLi2EEENS1_25BinaryOpScalarListFunctorIiLi2ELi1ELi1EEEJNS1_13power_functorIiEEEEEvT_T0_DpT1_.has_dyn_sized_stack, 0
	.set _ZN2at6native12_GLOBAL__N_125multi_tensor_apply_kernelINS1_28TensorListScalarListMetadataIiLi2EEENS1_25BinaryOpScalarListFunctorIiLi2ELi1ELi1EEEJNS1_13power_functorIiEEEEEvT_T0_DpT1_.has_recursion, 0
	.set _ZN2at6native12_GLOBAL__N_125multi_tensor_apply_kernelINS1_28TensorListScalarListMetadataIiLi2EEENS1_25BinaryOpScalarListFunctorIiLi2ELi1ELi1EEEJNS1_13power_functorIiEEEEEvT_T0_DpT1_.has_indirect_call, 0
	.section	.AMDGPU.csdata,"",@progbits
; Kernel info:
; codeLenInByte = 3088
; TotalNumSgprs: 32
; NumVgprs: 17
; ScratchSize: 0
; MemoryBound: 1
; FloatMode: 240
; IeeeMode: 1
; LDSByteSize: 0 bytes/workgroup (compile time only)
; SGPRBlocks: 0
; VGPRBlocks: 2
; NumSGPRsForWavesPerEU: 32
; NumVGPRsForWavesPerEU: 17
; Occupancy: 16
; WaveLimiterHint : 0
; COMPUTE_PGM_RSRC2:SCRATCH_EN: 0
; COMPUTE_PGM_RSRC2:USER_SGPR: 6
; COMPUTE_PGM_RSRC2:TRAP_HANDLER: 0
; COMPUTE_PGM_RSRC2:TGID_X_EN: 1
; COMPUTE_PGM_RSRC2:TGID_Y_EN: 0
; COMPUTE_PGM_RSRC2:TGID_Z_EN: 0
; COMPUTE_PGM_RSRC2:TIDIG_COMP_CNT: 0
	.section	.text._ZN2at6native12_GLOBAL__N_125multi_tensor_apply_kernelINS1_28TensorListScalarListMetadataIlLi2EEENS1_25BinaryOpScalarListFunctorIlLi2ELi1ELi1EEEJNS1_13power_functorIlEEEEEvT_T0_DpT1_,"axG",@progbits,_ZN2at6native12_GLOBAL__N_125multi_tensor_apply_kernelINS1_28TensorListScalarListMetadataIlLi2EEENS1_25BinaryOpScalarListFunctorIlLi2ELi1ELi1EEEJNS1_13power_functorIlEEEEEvT_T0_DpT1_,comdat
	.globl	_ZN2at6native12_GLOBAL__N_125multi_tensor_apply_kernelINS1_28TensorListScalarListMetadataIlLi2EEENS1_25BinaryOpScalarListFunctorIlLi2ELi1ELi1EEEJNS1_13power_functorIlEEEEEvT_T0_DpT1_ ; -- Begin function _ZN2at6native12_GLOBAL__N_125multi_tensor_apply_kernelINS1_28TensorListScalarListMetadataIlLi2EEENS1_25BinaryOpScalarListFunctorIlLi2ELi1ELi1EEEJNS1_13power_functorIlEEEEEvT_T0_DpT1_
	.p2align	8
	.type	_ZN2at6native12_GLOBAL__N_125multi_tensor_apply_kernelINS1_28TensorListScalarListMetadataIlLi2EEENS1_25BinaryOpScalarListFunctorIlLi2ELi1ELi1EEEJNS1_13power_functorIlEEEEEvT_T0_DpT1_,@function
_ZN2at6native12_GLOBAL__N_125multi_tensor_apply_kernelINS1_28TensorListScalarListMetadataIlLi2EEENS1_25BinaryOpScalarListFunctorIlLi2ELi1ELi1EEEJNS1_13power_functorIlEEEEEvT_T0_DpT1_: ; @_ZN2at6native12_GLOBAL__N_125multi_tensor_apply_kernelINS1_28TensorListScalarListMetadataIlLi2EEENS1_25BinaryOpScalarListFunctorIlLi2ELi1ELi1EEEJNS1_13power_functorIlEEEEEvT_T0_DpT1_
; %bb.0:
	v_mov_b32_e32 v1, 0x800
	s_add_u32 s0, s4, s6
	s_addc_u32 s1, s5, 0
	s_mov_b32 s7, 0
	s_mov_b32 s17, s7
	global_load_ubyte v1, v1, s[0:1]
	s_lshl_b64 s[0:1], s[6:7], 2
	s_add_u32 s0, s4, s0
	s_addc_u32 s1, s5, s1
	s_load_dword s0, s[0:1], 0x940
	s_waitcnt vmcnt(0)
	v_readfirstlane_b32 s1, v1
	s_lshl_b32 s1, s1, 3
	s_clause 0x3
	s_load_dwordx2 s[2:3], s[4:5], s1 offset:0x0
	s_load_dwordx2 s[8:9], s[4:5], s1 offset:0x600
	;; [unrolled: 1-line block ×4, first 2 shown]
	s_waitcnt lgkmcnt(0)
	s_ashr_i32 s1, s0, 31
	s_lshl_b64 s[14:15], s[0:1], 19
	s_add_u32 s20, s2, s14
	s_addc_u32 s21, s3, s15
	s_and_b32 s6, s20, 31
	s_add_u32 s22, s10, s14
	s_addc_u32 s23, s11, s15
	s_lshl_b64 s[0:1], s[0:1], 16
	s_and_b32 s16, s22, 31
	s_sub_u32 s10, s12, s0
	s_subb_u32 s11, s13, s1
	s_and_b32 s0, s12, 3
	s_mov_b32 s1, s7
	s_or_b64 s[0:1], s[16:17], s[0:1]
	s_or_b64 s[0:1], s[0:1], s[6:7]
	s_cmp_eq_u64 s[0:1], 0
	s_mov_b32 s0, -1
	s_cbranch_scc1 .LBB88_81
; %bb.1:
	v_cmp_lt_i64_e64 s0, s[10:11], 1
	s_and_b32 vcc_lo, exec_lo, s0
	s_cbranch_vccnz .LBB88_80
; %bb.2:
	s_load_dword s0, s[4:5], 0xe54
	v_cmp_gt_i64_e64 s2, 0x10000, s[10:11]
	v_cmp_gt_u64_e64 s3, 0x10000, s[10:11]
	s_mov_b32 s1, 0
	v_cmp_gt_i64_e64 s24, s[8:9], -1
	s_mov_b64 s[16:17], 0
	s_and_b32 s2, s2, exec_lo
	s_cselect_b32 s13, s11, 0
	s_cselect_b32 s12, s10, 0x10000
	s_waitcnt lgkmcnt(0)
	s_and_b32 s25, s0, 0xffff
	s_and_b32 s0, s3, exec_lo
	s_cselect_b32 s15, s11, 0
	s_cselect_b32 s14, s10, 0x10000
	s_lshl_b32 s26, s25, 1
	s_cmp_lg_u64 s[8:9], 0
	s_mul_i32 s28, s25, 3
	s_cselect_b32 s27, -1, 0
	s_and_b32 s0, s8, 1
	v_cndmask_b32_e64 v21, 0, 1, s27
	s_cmp_eq_u64 s[0:1], 0
	s_cselect_b32 s19, 0, -1
	s_cselect_b32 s18, 1, -1
	s_lshl_b32 s29, s25, 2
	s_branch .LBB88_4
.LBB88_3:                               ;   in Loop: Header=BB88_4 Depth=1
	s_or_b32 exec_lo, exec_lo, s0
	s_add_u32 s16, s16, s29
	s_addc_u32 s17, s17, 0
	v_cmp_ge_i64_e64 s0, s[16:17], s[12:13]
	s_and_b32 vcc_lo, exec_lo, s0
	s_cbranch_vccnz .LBB88_80
.LBB88_4:                               ; =>This Loop Header: Depth=1
                                        ;     Child Loop BB88_26 Depth 2
                                        ;     Child Loop BB88_36 Depth 2
	;; [unrolled: 1-line block ×4, first 2 shown]
	v_add_co_u32 v7, s0, s16, v0
	v_add_co_ci_u32_e64 v8, null, s17, 0, s0
	s_waitcnt vmcnt(0)
	v_mov_b32_e32 v17, 0
	v_mov_b32_e32 v15, 0
	;; [unrolled: 1-line block ×3, first 2 shown]
	v_cmp_gt_u64_e64 s0, s[14:15], v[7:8]
	v_lshlrev_b64 v[1:2], 3, v[7:8]
	v_mov_b32_e32 v16, 0
	s_and_saveexec_b32 s1, s0
	s_cbranch_execz .LBB88_6
; %bb.5:                                ;   in Loop: Header=BB88_4 Depth=1
	v_add_co_u32 v3, vcc_lo, s20, v1
	v_add_co_ci_u32_e64 v4, null, s21, v2, vcc_lo
	global_load_dwordx2 v[15:16], v[3:4], off
.LBB88_6:                               ;   in Loop: Header=BB88_4 Depth=1
	s_or_b32 exec_lo, exec_lo, s1
	v_add_co_u32 v3, vcc_lo, v7, s25
	v_add_co_ci_u32_e64 v4, null, 0, v8, vcc_lo
	v_cmp_gt_u64_e64 s1, s[14:15], v[3:4]
	v_lshlrev_b64 v[3:4], 3, v[3:4]
	s_and_saveexec_b32 s2, s1
	s_cbranch_execz .LBB88_8
; %bb.7:                                ;   in Loop: Header=BB88_4 Depth=1
	v_add_co_u32 v5, vcc_lo, s20, v3
	v_add_co_ci_u32_e64 v6, null, s21, v4, vcc_lo
	global_load_dwordx2 v[17:18], v[5:6], off
.LBB88_8:                               ;   in Loop: Header=BB88_4 Depth=1
	s_or_b32 exec_lo, exec_lo, s2
	v_add_co_u32 v5, vcc_lo, v7, s26
	v_add_co_ci_u32_e64 v6, null, 0, v8, vcc_lo
	v_mov_b32_e32 v9, 0
	v_mov_b32_e32 v13, 0
	;; [unrolled: 1-line block ×3, first 2 shown]
	v_cmp_gt_u64_e64 s2, s[14:15], v[5:6]
	v_lshlrev_b64 v[5:6], 3, v[5:6]
	v_mov_b32_e32 v14, 0
	s_and_saveexec_b32 s3, s2
	s_cbranch_execz .LBB88_10
; %bb.9:                                ;   in Loop: Header=BB88_4 Depth=1
	v_add_co_u32 v11, vcc_lo, s20, v5
	v_add_co_ci_u32_e64 v12, null, s21, v6, vcc_lo
	global_load_dwordx2 v[13:14], v[11:12], off
.LBB88_10:                              ;   in Loop: Header=BB88_4 Depth=1
	s_or_b32 exec_lo, exec_lo, s3
	v_add_co_u32 v7, vcc_lo, v7, s28
	v_add_co_ci_u32_e64 v8, null, 0, v8, vcc_lo
	v_cmp_gt_u64_e64 s3, s[14:15], v[7:8]
	v_lshlrev_b64 v[7:8], 3, v[7:8]
	s_and_saveexec_b32 s6, s3
	s_cbranch_execz .LBB88_12
; %bb.11:                               ;   in Loop: Header=BB88_4 Depth=1
	v_add_co_u32 v9, vcc_lo, s20, v7
	v_add_co_ci_u32_e64 v10, null, s21, v8, vcc_lo
	global_load_dwordx2 v[9:10], v[9:10], off
.LBB88_12:                              ;   in Loop: Header=BB88_4 Depth=1
	s_or_b32 exec_lo, exec_lo, s6
	v_cmp_ne_u32_e64 s6, 1, v21
	s_and_b32 vcc_lo, exec_lo, s24
	s_mov_b32 s7, -1
                                        ; implicit-def: $vgpr11_vgpr12
	s_cbranch_vccnz .LBB88_24
; %bb.13:                               ;   in Loop: Header=BB88_4 Depth=1
	s_andn2_b32 vcc_lo, exec_lo, s7
	s_cbranch_vccz .LBB88_28
.LBB88_14:                              ;   in Loop: Header=BB88_4 Depth=1
	s_andn2_b32 vcc_lo, exec_lo, s24
	s_mov_b32 s6, -1
                                        ; implicit-def: $vgpr15_vgpr16
	s_cbranch_vccz .LBB88_34
.LBB88_15:                              ;   in Loop: Header=BB88_4 Depth=1
	s_andn2_b32 vcc_lo, exec_lo, s6
	s_cbranch_vccz .LBB88_38
.LBB88_16:                              ;   in Loop: Header=BB88_4 Depth=1
	s_andn2_b32 vcc_lo, exec_lo, s24
	s_mov_b32 s6, -1
                                        ; implicit-def: $vgpr17_vgpr18
	s_cbranch_vccz .LBB88_44
.LBB88_17:                              ;   in Loop: Header=BB88_4 Depth=1
	s_andn2_b32 vcc_lo, exec_lo, s6
	s_cbranch_vccz .LBB88_48
.LBB88_18:                              ;   in Loop: Header=BB88_4 Depth=1
	s_andn2_b32 vcc_lo, exec_lo, s24
	s_mov_b32 s6, -1
                                        ; implicit-def: $vgpr13_vgpr14
	s_cbranch_vccz .LBB88_54
.LBB88_19:                              ;   in Loop: Header=BB88_4 Depth=1
	s_andn2_b32 vcc_lo, exec_lo, s6
	s_cbranch_vccz .LBB88_58
.LBB88_20:                              ;   in Loop: Header=BB88_4 Depth=1
	s_and_saveexec_b32 s6, s0
	s_xor_b32 s0, exec_lo, s6
	s_cbranch_execnz .LBB88_64
.LBB88_21:                              ;   in Loop: Header=BB88_4 Depth=1
	s_or_b32 exec_lo, exec_lo, s0
	s_and_saveexec_b32 s0, s1
	s_cbranch_execnz .LBB88_65
.LBB88_22:                              ;   in Loop: Header=BB88_4 Depth=1
	s_or_b32 exec_lo, exec_lo, s0
	s_and_saveexec_b32 s0, s2
	s_cbranch_execnz .LBB88_66
.LBB88_23:                              ;   in Loop: Header=BB88_4 Depth=1
	s_or_b32 exec_lo, exec_lo, s0
	s_and_saveexec_b32 s0, s3
	s_cbranch_execz .LBB88_3
	s_branch .LBB88_67
.LBB88_24:                              ;   in Loop: Header=BB88_4 Depth=1
	v_mov_b32_e32 v11, 1
	v_mov_b32_e32 v12, 0
	s_and_b32 vcc_lo, exec_lo, s6
	s_cbranch_vccnz .LBB88_27
; %bb.25:                               ;   in Loop: Header=BB88_4 Depth=1
	s_waitcnt vmcnt(0)
	v_mov_b32_e32 v20, v16
	v_mov_b32_e32 v19, v15
	s_mov_b64 s[6:7], s[8:9]
	.p2align	6
.LBB88_26:                              ;   Parent Loop BB88_4 Depth=1
                                        ; =>  This Inner Loop Header: Depth=2
	s_bitcmp1_b32 s6, 0
	v_mul_lo_u32 v22, v19, v20
	s_cselect_b32 vcc_lo, -1, 0
	v_cmp_gt_u64_e64 s30, s[6:7], 1
	v_cndmask_b32_e32 v23, 1, v19, vcc_lo
	v_cndmask_b32_e32 v24, 0, v20, vcc_lo
	v_mad_u64_u32 v[19:20], null, v19, v19, 0
	s_lshr_b64 s[6:7], s[6:7], 1
	v_mul_lo_u32 v25, v23, v12
	v_mul_lo_u32 v24, v24, v11
	v_mad_u64_u32 v[11:12], null, v23, v11, 0
	s_and_b32 vcc_lo, exec_lo, s30
	v_add3_u32 v20, v20, v22, v22
	v_add3_u32 v12, v12, v25, v24
	s_cbranch_vccnz .LBB88_26
.LBB88_27:                              ;   in Loop: Header=BB88_4 Depth=1
	s_cbranch_execnz .LBB88_14
.LBB88_28:                              ;   in Loop: Header=BB88_4 Depth=1
	s_mov_b32 s6, 0
	s_mov_b32 s7, 0
	s_mov_b32 s30, exec_lo
	s_waitcnt vmcnt(0)
	v_cmpx_lt_i64_e32 0, v[15:16]
	s_xor_b32 s30, exec_lo, s30
	s_cbranch_execnz .LBB88_68
; %bb.29:                               ;   in Loop: Header=BB88_4 Depth=1
	s_andn2_saveexec_b32 s30, s30
	s_cbranch_execnz .LBB88_69
.LBB88_30:                              ;   in Loop: Header=BB88_4 Depth=1
	s_or_b32 exec_lo, exec_lo, s30
	s_and_saveexec_b32 s30, s7
	s_xor_b32 s7, exec_lo, s30
	s_cbranch_execnz .LBB88_70
.LBB88_31:                              ;   in Loop: Header=BB88_4 Depth=1
	s_or_b32 exec_lo, exec_lo, s7
	s_and_saveexec_b32 s7, s6
.LBB88_32:                              ;   in Loop: Header=BB88_4 Depth=1
	v_mov_b32_e32 v15, s18
	v_mov_b32_e32 v16, s19
.LBB88_33:                              ;   in Loop: Header=BB88_4 Depth=1
	s_or_b32 exec_lo, exec_lo, s7
	v_mov_b32_e32 v11, v15
	v_mov_b32_e32 v12, v16
	s_andn2_b32 vcc_lo, exec_lo, s24
	s_mov_b32 s6, -1
                                        ; implicit-def: $vgpr15_vgpr16
	s_cbranch_vccnz .LBB88_15
.LBB88_34:                              ;   in Loop: Header=BB88_4 Depth=1
	s_waitcnt vmcnt(0)
	v_mov_b32_e32 v15, 1
	v_mov_b32_e32 v16, 0
	s_andn2_b32 vcc_lo, exec_lo, s27
	s_cbranch_vccnz .LBB88_37
; %bb.35:                               ;   in Loop: Header=BB88_4 Depth=1
	v_mov_b32_e32 v20, v18
	v_mov_b32_e32 v19, v17
	s_mov_b64 s[6:7], s[8:9]
	.p2align	6
.LBB88_36:                              ;   Parent Loop BB88_4 Depth=1
                                        ; =>  This Inner Loop Header: Depth=2
	s_bitcmp1_b32 s6, 0
	v_mul_lo_u32 v22, v19, v20
	s_cselect_b32 vcc_lo, -1, 0
	v_cmp_lt_u64_e64 s30, s[6:7], 2
	v_cndmask_b32_e32 v23, 1, v19, vcc_lo
	v_cndmask_b32_e32 v24, 0, v20, vcc_lo
	v_mad_u64_u32 v[19:20], null, v19, v19, 0
	s_lshr_b64 s[6:7], s[6:7], 1
	v_mul_lo_u32 v25, v23, v16
	v_mul_lo_u32 v24, v24, v15
	v_mad_u64_u32 v[15:16], null, v23, v15, 0
	s_and_b32 vcc_lo, exec_lo, s30
	v_add3_u32 v20, v20, v22, v22
	v_add3_u32 v16, v16, v25, v24
	s_cbranch_vccz .LBB88_36
.LBB88_37:                              ;   in Loop: Header=BB88_4 Depth=1
	s_cbranch_execnz .LBB88_16
.LBB88_38:                              ;   in Loop: Header=BB88_4 Depth=1
	s_mov_b32 s6, 0
	s_mov_b32 s7, 0
	s_mov_b32 s30, exec_lo
	s_waitcnt vmcnt(0)
	v_cmpx_lt_i64_e32 0, v[17:18]
	s_xor_b32 s30, exec_lo, s30
	s_cbranch_execnz .LBB88_71
; %bb.39:                               ;   in Loop: Header=BB88_4 Depth=1
	s_andn2_saveexec_b32 s30, s30
	s_cbranch_execnz .LBB88_72
.LBB88_40:                              ;   in Loop: Header=BB88_4 Depth=1
	s_or_b32 exec_lo, exec_lo, s30
	s_and_saveexec_b32 s30, s7
	s_xor_b32 s7, exec_lo, s30
	s_cbranch_execnz .LBB88_73
.LBB88_41:                              ;   in Loop: Header=BB88_4 Depth=1
	s_or_b32 exec_lo, exec_lo, s7
	s_and_saveexec_b32 s7, s6
.LBB88_42:                              ;   in Loop: Header=BB88_4 Depth=1
	v_mov_b32_e32 v17, s18
	v_mov_b32_e32 v18, s19
.LBB88_43:                              ;   in Loop: Header=BB88_4 Depth=1
	s_or_b32 exec_lo, exec_lo, s7
	v_mov_b32_e32 v15, v17
	v_mov_b32_e32 v16, v18
	s_andn2_b32 vcc_lo, exec_lo, s24
	s_mov_b32 s6, -1
                                        ; implicit-def: $vgpr17_vgpr18
	s_cbranch_vccnz .LBB88_17
.LBB88_44:                              ;   in Loop: Header=BB88_4 Depth=1
	s_waitcnt vmcnt(0)
	v_mov_b32_e32 v17, 1
	v_mov_b32_e32 v18, 0
	s_andn2_b32 vcc_lo, exec_lo, s27
	s_cbranch_vccnz .LBB88_47
; %bb.45:                               ;   in Loop: Header=BB88_4 Depth=1
	v_mov_b32_e32 v20, v14
	v_mov_b32_e32 v19, v13
	s_mov_b64 s[6:7], s[8:9]
	.p2align	6
.LBB88_46:                              ;   Parent Loop BB88_4 Depth=1
                                        ; =>  This Inner Loop Header: Depth=2
	s_bitcmp1_b32 s6, 0
	v_mul_lo_u32 v22, v19, v20
	s_cselect_b32 vcc_lo, -1, 0
	v_cmp_lt_u64_e64 s30, s[6:7], 2
	v_cndmask_b32_e32 v23, 1, v19, vcc_lo
	v_cndmask_b32_e32 v24, 0, v20, vcc_lo
	v_mad_u64_u32 v[19:20], null, v19, v19, 0
	s_lshr_b64 s[6:7], s[6:7], 1
	v_mul_lo_u32 v25, v23, v18
	v_mul_lo_u32 v24, v24, v17
	v_mad_u64_u32 v[17:18], null, v23, v17, 0
	s_and_b32 vcc_lo, exec_lo, s30
	v_add3_u32 v20, v20, v22, v22
	v_add3_u32 v18, v18, v25, v24
	s_cbranch_vccz .LBB88_46
.LBB88_47:                              ;   in Loop: Header=BB88_4 Depth=1
	s_cbranch_execnz .LBB88_18
.LBB88_48:                              ;   in Loop: Header=BB88_4 Depth=1
	s_mov_b32 s6, 0
	s_mov_b32 s7, 0
	s_mov_b32 s30, exec_lo
	s_waitcnt vmcnt(0)
	v_cmpx_lt_i64_e32 0, v[13:14]
	s_xor_b32 s30, exec_lo, s30
	s_cbranch_execnz .LBB88_74
; %bb.49:                               ;   in Loop: Header=BB88_4 Depth=1
	s_andn2_saveexec_b32 s30, s30
	s_cbranch_execnz .LBB88_75
.LBB88_50:                              ;   in Loop: Header=BB88_4 Depth=1
	s_or_b32 exec_lo, exec_lo, s30
	s_and_saveexec_b32 s30, s7
	s_xor_b32 s7, exec_lo, s30
	s_cbranch_execnz .LBB88_76
.LBB88_51:                              ;   in Loop: Header=BB88_4 Depth=1
	s_or_b32 exec_lo, exec_lo, s7
	s_and_saveexec_b32 s7, s6
.LBB88_52:                              ;   in Loop: Header=BB88_4 Depth=1
	v_mov_b32_e32 v13, s18
	v_mov_b32_e32 v14, s19
.LBB88_53:                              ;   in Loop: Header=BB88_4 Depth=1
	s_or_b32 exec_lo, exec_lo, s7
	v_mov_b32_e32 v18, v14
	v_mov_b32_e32 v17, v13
	s_andn2_b32 vcc_lo, exec_lo, s24
	s_mov_b32 s6, -1
                                        ; implicit-def: $vgpr13_vgpr14
	s_cbranch_vccnz .LBB88_19
.LBB88_54:                              ;   in Loop: Header=BB88_4 Depth=1
	s_waitcnt vmcnt(0)
	v_mov_b32_e32 v13, 1
	v_mov_b32_e32 v14, 0
	s_andn2_b32 vcc_lo, exec_lo, s27
	s_cbranch_vccnz .LBB88_57
; %bb.55:                               ;   in Loop: Header=BB88_4 Depth=1
	v_mov_b32_e32 v20, v10
	v_mov_b32_e32 v19, v9
	s_mov_b64 s[6:7], s[8:9]
	.p2align	6
.LBB88_56:                              ;   Parent Loop BB88_4 Depth=1
                                        ; =>  This Inner Loop Header: Depth=2
	s_bitcmp1_b32 s6, 0
	v_mul_lo_u32 v22, v19, v20
	s_cselect_b32 vcc_lo, -1, 0
	v_cmp_lt_u64_e64 s30, s[6:7], 2
	v_cndmask_b32_e32 v23, 1, v19, vcc_lo
	v_cndmask_b32_e32 v24, 0, v20, vcc_lo
	v_mad_u64_u32 v[19:20], null, v19, v19, 0
	s_lshr_b64 s[6:7], s[6:7], 1
	v_mul_lo_u32 v25, v23, v14
	v_mul_lo_u32 v24, v24, v13
	v_mad_u64_u32 v[13:14], null, v23, v13, 0
	s_and_b32 vcc_lo, exec_lo, s30
	v_add3_u32 v20, v20, v22, v22
	v_add3_u32 v14, v14, v25, v24
	s_cbranch_vccz .LBB88_56
.LBB88_57:                              ;   in Loop: Header=BB88_4 Depth=1
	s_cbranch_execnz .LBB88_20
.LBB88_58:                              ;   in Loop: Header=BB88_4 Depth=1
	s_mov_b32 s6, 0
	s_mov_b32 s7, 0
	s_mov_b32 s30, exec_lo
	s_waitcnt vmcnt(0)
	v_cmpx_lt_i64_e32 0, v[9:10]
	s_xor_b32 s30, exec_lo, s30
	s_cbranch_execnz .LBB88_77
; %bb.59:                               ;   in Loop: Header=BB88_4 Depth=1
	s_andn2_saveexec_b32 s30, s30
	s_cbranch_execnz .LBB88_78
.LBB88_60:                              ;   in Loop: Header=BB88_4 Depth=1
	s_or_b32 exec_lo, exec_lo, s30
	s_and_saveexec_b32 s30, s7
	s_xor_b32 s7, exec_lo, s30
	s_cbranch_execnz .LBB88_79
.LBB88_61:                              ;   in Loop: Header=BB88_4 Depth=1
	s_or_b32 exec_lo, exec_lo, s7
	s_and_saveexec_b32 s7, s6
.LBB88_62:                              ;   in Loop: Header=BB88_4 Depth=1
	v_mov_b32_e32 v9, s18
	v_mov_b32_e32 v10, s19
.LBB88_63:                              ;   in Loop: Header=BB88_4 Depth=1
	s_or_b32 exec_lo, exec_lo, s7
	v_mov_b32_e32 v14, v10
	v_mov_b32_e32 v13, v9
	s_and_saveexec_b32 s6, s0
	s_xor_b32 s0, exec_lo, s6
	s_cbranch_execz .LBB88_21
.LBB88_64:                              ;   in Loop: Header=BB88_4 Depth=1
	v_add_co_u32 v1, vcc_lo, s22, v1
	v_add_co_ci_u32_e64 v2, null, s23, v2, vcc_lo
	global_store_dwordx2 v[1:2], v[11:12], off
	s_or_b32 exec_lo, exec_lo, s0
	s_and_saveexec_b32 s0, s1
	s_cbranch_execz .LBB88_22
.LBB88_65:                              ;   in Loop: Header=BB88_4 Depth=1
	v_add_co_u32 v1, vcc_lo, s22, v3
	v_add_co_ci_u32_e64 v2, null, s23, v4, vcc_lo
	s_waitcnt vmcnt(0)
	global_store_dwordx2 v[1:2], v[15:16], off
	s_or_b32 exec_lo, exec_lo, s0
	s_and_saveexec_b32 s0, s2
	s_cbranch_execz .LBB88_23
.LBB88_66:                              ;   in Loop: Header=BB88_4 Depth=1
	v_add_co_u32 v1, vcc_lo, s22, v5
	v_add_co_ci_u32_e64 v2, null, s23, v6, vcc_lo
	s_waitcnt vmcnt(0)
	global_store_dwordx2 v[1:2], v[17:18], off
	s_or_b32 exec_lo, exec_lo, s0
	s_and_saveexec_b32 s0, s3
	s_cbranch_execz .LBB88_3
.LBB88_67:                              ;   in Loop: Header=BB88_4 Depth=1
	v_add_co_u32 v1, vcc_lo, s22, v7
	v_add_co_ci_u32_e64 v2, null, s23, v8, vcc_lo
	s_waitcnt vmcnt(0)
	global_store_dwordx2 v[1:2], v[13:14], off
	s_branch .LBB88_3
.LBB88_68:                              ;   in Loop: Header=BB88_4 Depth=1
	v_cmp_ne_u64_e32 vcc_lo, 1, v[15:16]
	s_and_b32 s7, vcc_lo, exec_lo
	s_andn2_saveexec_b32 s30, s30
	s_cbranch_execz .LBB88_30
.LBB88_69:                              ;   in Loop: Header=BB88_4 Depth=1
	v_cmp_ne_u64_e32 vcc_lo, -1, v[15:16]
	s_andn2_b32 s7, s7, exec_lo
	s_mov_b32 s6, exec_lo
	s_and_b32 s31, vcc_lo, exec_lo
	s_or_b32 s7, s7, s31
	s_or_b32 exec_lo, exec_lo, s30
	s_and_saveexec_b32 s30, s7
	s_xor_b32 s7, exec_lo, s30
	s_cbranch_execz .LBB88_31
.LBB88_70:                              ;   in Loop: Header=BB88_4 Depth=1
	v_mov_b32_e32 v15, 0
	v_mov_b32_e32 v16, 0
	s_andn2_b32 s6, s6, exec_lo
	s_or_b32 exec_lo, exec_lo, s7
	s_and_saveexec_b32 s7, s6
	s_cbranch_execnz .LBB88_32
	s_branch .LBB88_33
.LBB88_71:                              ;   in Loop: Header=BB88_4 Depth=1
	v_cmp_ne_u64_e32 vcc_lo, 1, v[17:18]
	s_and_b32 s7, vcc_lo, exec_lo
	s_andn2_saveexec_b32 s30, s30
	s_cbranch_execz .LBB88_40
.LBB88_72:                              ;   in Loop: Header=BB88_4 Depth=1
	v_cmp_ne_u64_e32 vcc_lo, -1, v[17:18]
	s_andn2_b32 s7, s7, exec_lo
	s_mov_b32 s6, exec_lo
	s_and_b32 s31, vcc_lo, exec_lo
	s_or_b32 s7, s7, s31
	s_or_b32 exec_lo, exec_lo, s30
	s_and_saveexec_b32 s30, s7
	s_xor_b32 s7, exec_lo, s30
	s_cbranch_execz .LBB88_41
.LBB88_73:                              ;   in Loop: Header=BB88_4 Depth=1
	v_mov_b32_e32 v17, 0
	v_mov_b32_e32 v18, 0
	s_andn2_b32 s6, s6, exec_lo
	s_or_b32 exec_lo, exec_lo, s7
	s_and_saveexec_b32 s7, s6
	s_cbranch_execnz .LBB88_42
	s_branch .LBB88_43
.LBB88_74:                              ;   in Loop: Header=BB88_4 Depth=1
	v_cmp_ne_u64_e32 vcc_lo, 1, v[13:14]
	s_and_b32 s7, vcc_lo, exec_lo
	s_andn2_saveexec_b32 s30, s30
	s_cbranch_execz .LBB88_50
.LBB88_75:                              ;   in Loop: Header=BB88_4 Depth=1
	v_cmp_ne_u64_e32 vcc_lo, -1, v[13:14]
	s_andn2_b32 s7, s7, exec_lo
	s_mov_b32 s6, exec_lo
	s_and_b32 s31, vcc_lo, exec_lo
	s_or_b32 s7, s7, s31
	s_or_b32 exec_lo, exec_lo, s30
	s_and_saveexec_b32 s30, s7
	s_xor_b32 s7, exec_lo, s30
	s_cbranch_execz .LBB88_51
.LBB88_76:                              ;   in Loop: Header=BB88_4 Depth=1
	v_mov_b32_e32 v13, 0
	v_mov_b32_e32 v14, 0
	s_andn2_b32 s6, s6, exec_lo
	s_or_b32 exec_lo, exec_lo, s7
	s_and_saveexec_b32 s7, s6
	s_cbranch_execnz .LBB88_52
	s_branch .LBB88_53
.LBB88_77:                              ;   in Loop: Header=BB88_4 Depth=1
	v_cmp_ne_u64_e32 vcc_lo, 1, v[9:10]
	s_and_b32 s7, vcc_lo, exec_lo
	s_andn2_saveexec_b32 s30, s30
	s_cbranch_execz .LBB88_60
.LBB88_78:                              ;   in Loop: Header=BB88_4 Depth=1
	v_cmp_ne_u64_e32 vcc_lo, -1, v[9:10]
	s_andn2_b32 s7, s7, exec_lo
	s_mov_b32 s6, exec_lo
	s_and_b32 s31, vcc_lo, exec_lo
	s_or_b32 s7, s7, s31
	s_or_b32 exec_lo, exec_lo, s30
	s_and_saveexec_b32 s30, s7
	s_xor_b32 s7, exec_lo, s30
	s_cbranch_execz .LBB88_61
.LBB88_79:                              ;   in Loop: Header=BB88_4 Depth=1
	v_mov_b32_e32 v9, 0
	v_mov_b32_e32 v10, 0
	s_andn2_b32 s6, s6, exec_lo
	s_or_b32 exec_lo, exec_lo, s7
	s_and_saveexec_b32 s7, s6
	s_cbranch_execnz .LBB88_62
	s_branch .LBB88_63
.LBB88_80:
	s_mov_b32 s0, 0
.LBB88_81:
	s_andn2_b32 vcc_lo, exec_lo, s0
	s_cbranch_vccnz .LBB88_145
; %bb.82:
	v_cmp_gt_i64_e64 s0, 0x10000, s[10:11]
	v_mov_b32_e32 v2, 0
	v_lshlrev_b32_e32 v1, 2, v0
	s_mov_b32 s1, 0
	s_and_b32 s0, s0, exec_lo
	s_cselect_b32 s3, s11, 0
	s_cselect_b32 s2, s10, 0x10000
	s_mov_b32 s0, exec_lo
	v_cmpx_gt_i64_e64 s[2:3], v[1:2]
	s_cbranch_execz .LBB88_145
; %bb.83:
	s_load_dword s6, s[4:5], 0xe54
	s_cmp_lg_u64 s[8:9], 0
	v_cmp_gt_i64_e64 s11, s[8:9], -1
	s_cselect_b32 s10, -1, 0
	s_and_b32 s0, s8, 1
	v_mov_b32_e32 v1, v2
	s_waitcnt vmcnt(0)
	v_cndmask_b32_e64 v16, 0, 1, s10
	s_cmp_eq_u64 s[0:1], 0
	s_cselect_b32 s5, 0, -1
	s_cselect_b32 s4, 1, -1
	s_waitcnt lgkmcnt(0)
	s_and_b32 s12, s6, 0xffff
	s_branch .LBB88_86
.LBB88_84:                              ;   in Loop: Header=BB88_86 Depth=1
	s_or_b32 exec_lo, exec_lo, s6
	v_mov_b32_e32 v13, v5
	v_mov_b32_e32 v12, v4
.LBB88_85:                              ;   in Loop: Header=BB88_86 Depth=1
	v_add_co_u32 v0, vcc_lo, v0, s12
	v_add_co_ci_u32_e64 v1, null, 0, v1, vcc_lo
	s_waitcnt vmcnt(1)
	v_lshlrev_b64 v[2:3], 2, v[0:1]
	v_cmp_le_i64_e32 vcc_lo, s[2:3], v[2:3]
	v_add_co_u32 v2, s0, s22, v14
	v_add_co_ci_u32_e64 v3, null, s23, v15, s0
	s_waitcnt vmcnt(0)
	global_store_dwordx4 v[2:3], v[6:9], off
	global_store_dwordx4 v[2:3], v[10:13], off offset:16
	s_or_b32 s1, vcc_lo, s1
	s_andn2_b32 exec_lo, exec_lo, s1
	s_cbranch_execz .LBB88_145
.LBB88_86:                              ; =>This Loop Header: Depth=1
                                        ;     Child Loop BB88_96 Depth 2
                                        ;     Child Loop BB88_106 Depth 2
	;; [unrolled: 1-line block ×4, first 2 shown]
	v_lshlrev_b64 v[14:15], 5, v[0:1]
	v_cmp_ne_u32_e64 s0, 1, v16
	s_mov_b32 s6, -1
	v_add_co_u32 v6, vcc_lo, s20, v14
	v_add_co_ci_u32_e64 v7, null, s21, v15, vcc_lo
	s_and_b32 vcc_lo, exec_lo, s11
	s_clause 0x1
	global_load_dwordx4 v[2:5], v[6:7], off offset:16
	global_load_dwordx4 v[8:11], v[6:7], off
                                        ; implicit-def: $vgpr6_vgpr7
	s_cbranch_vccnz .LBB88_94
; %bb.87:                               ;   in Loop: Header=BB88_86 Depth=1
	s_andn2_b32 vcc_lo, exec_lo, s6
	s_cbranch_vccz .LBB88_98
.LBB88_88:                              ;   in Loop: Header=BB88_86 Depth=1
	s_andn2_b32 vcc_lo, exec_lo, s11
	s_mov_b32 s0, -1
	s_cbranch_vccz .LBB88_104
.LBB88_89:                              ;   in Loop: Header=BB88_86 Depth=1
	s_andn2_b32 vcc_lo, exec_lo, s0
	s_cbranch_vccz .LBB88_108
.LBB88_90:                              ;   in Loop: Header=BB88_86 Depth=1
	s_andn2_b32 vcc_lo, exec_lo, s11
	s_mov_b32 s0, -1
                                        ; implicit-def: $vgpr10_vgpr11
	s_cbranch_vccz .LBB88_114
.LBB88_91:                              ;   in Loop: Header=BB88_86 Depth=1
	s_andn2_b32 vcc_lo, exec_lo, s0
	s_cbranch_vccz .LBB88_118
.LBB88_92:                              ;   in Loop: Header=BB88_86 Depth=1
	s_andn2_b32 vcc_lo, exec_lo, s11
	s_mov_b32 s0, -1
	s_cbranch_vccz .LBB88_124
.LBB88_93:                              ;   in Loop: Header=BB88_86 Depth=1
	s_andn2_b32 vcc_lo, exec_lo, s0
	s_cbranch_vccnz .LBB88_85
	s_branch .LBB88_128
.LBB88_94:                              ;   in Loop: Header=BB88_86 Depth=1
	v_mov_b32_e32 v6, 1
	v_mov_b32_e32 v7, 0
	s_and_b32 vcc_lo, exec_lo, s0
	s_cbranch_vccnz .LBB88_97
; %bb.95:                               ;   in Loop: Header=BB88_86 Depth=1
	s_waitcnt vmcnt(0)
	v_mov_b32_e32 v13, v9
	v_mov_b32_e32 v12, v8
	s_mov_b64 s[6:7], s[8:9]
	.p2align	6
.LBB88_96:                              ;   Parent Loop BB88_86 Depth=1
                                        ; =>  This Inner Loop Header: Depth=2
	s_bitcmp1_b32 s6, 0
	v_mul_lo_u32 v17, v12, v13
	s_cselect_b32 vcc_lo, -1, 0
	v_cmp_gt_u64_e64 s0, s[6:7], 1
	v_cndmask_b32_e32 v18, 1, v12, vcc_lo
	v_cndmask_b32_e32 v19, 0, v13, vcc_lo
	v_mad_u64_u32 v[12:13], null, v12, v12, 0
	s_lshr_b64 s[6:7], s[6:7], 1
	v_mul_lo_u32 v20, v18, v7
	v_mul_lo_u32 v19, v19, v6
	v_mad_u64_u32 v[6:7], null, v18, v6, 0
	s_and_b32 vcc_lo, exec_lo, s0
	v_add3_u32 v13, v13, v17, v17
	v_add3_u32 v7, v7, v20, v19
	s_cbranch_vccnz .LBB88_96
.LBB88_97:                              ;   in Loop: Header=BB88_86 Depth=1
	s_cbranch_execnz .LBB88_88
.LBB88_98:                              ;   in Loop: Header=BB88_86 Depth=1
	s_mov_b32 s0, 0
	s_mov_b32 s6, 0
	s_mov_b32 s7, exec_lo
	s_waitcnt vmcnt(0)
	v_cmpx_lt_i64_e32 0, v[8:9]
	s_xor_b32 s7, exec_lo, s7
	s_cbranch_execnz .LBB88_132
; %bb.99:                               ;   in Loop: Header=BB88_86 Depth=1
	s_andn2_saveexec_b32 s7, s7
	s_cbranch_execnz .LBB88_133
.LBB88_100:                             ;   in Loop: Header=BB88_86 Depth=1
	s_or_b32 exec_lo, exec_lo, s7
	s_and_saveexec_b32 s7, s6
	s_xor_b32 s6, exec_lo, s7
	s_cbranch_execnz .LBB88_134
.LBB88_101:                             ;   in Loop: Header=BB88_86 Depth=1
	s_or_b32 exec_lo, exec_lo, s6
	s_and_saveexec_b32 s6, s0
.LBB88_102:                             ;   in Loop: Header=BB88_86 Depth=1
	v_mov_b32_e32 v9, s5
	v_mov_b32_e32 v8, s4
.LBB88_103:                             ;   in Loop: Header=BB88_86 Depth=1
	s_or_b32 exec_lo, exec_lo, s6
	v_mov_b32_e32 v6, v8
	v_mov_b32_e32 v7, v9
	s_andn2_b32 vcc_lo, exec_lo, s11
	s_mov_b32 s0, -1
	s_cbranch_vccnz .LBB88_89
.LBB88_104:                             ;   in Loop: Header=BB88_86 Depth=1
	s_waitcnt vmcnt(0)
	v_mov_b32_e32 v8, 1
	v_mov_b32_e32 v9, 0
	s_andn2_b32 vcc_lo, exec_lo, s10
	s_cbranch_vccnz .LBB88_107
; %bb.105:                              ;   in Loop: Header=BB88_86 Depth=1
	v_mov_b32_e32 v13, v11
	v_mov_b32_e32 v12, v10
	s_mov_b64 s[6:7], s[8:9]
	.p2align	6
.LBB88_106:                             ;   Parent Loop BB88_86 Depth=1
                                        ; =>  This Inner Loop Header: Depth=2
	s_bitcmp1_b32 s6, 0
	v_mul_lo_u32 v17, v12, v13
	s_cselect_b32 vcc_lo, -1, 0
	v_cmp_lt_u64_e64 s0, s[6:7], 2
	v_cndmask_b32_e32 v18, 1, v12, vcc_lo
	v_cndmask_b32_e32 v19, 0, v13, vcc_lo
	v_mad_u64_u32 v[12:13], null, v12, v12, 0
	s_lshr_b64 s[6:7], s[6:7], 1
	v_mul_lo_u32 v20, v18, v9
	v_mul_lo_u32 v19, v19, v8
	v_mad_u64_u32 v[8:9], null, v18, v8, 0
	s_and_b32 vcc_lo, exec_lo, s0
	v_add3_u32 v13, v13, v17, v17
	v_add3_u32 v9, v9, v20, v19
	s_cbranch_vccz .LBB88_106
.LBB88_107:                             ;   in Loop: Header=BB88_86 Depth=1
	s_cbranch_execnz .LBB88_90
.LBB88_108:                             ;   in Loop: Header=BB88_86 Depth=1
	s_mov_b32 s0, 0
	s_mov_b32 s6, 0
	s_mov_b32 s7, exec_lo
	s_waitcnt vmcnt(0)
	v_cmpx_lt_i64_e32 0, v[10:11]
	s_xor_b32 s7, exec_lo, s7
	s_cbranch_execnz .LBB88_135
; %bb.109:                              ;   in Loop: Header=BB88_86 Depth=1
	s_andn2_saveexec_b32 s7, s7
	s_cbranch_execnz .LBB88_136
.LBB88_110:                             ;   in Loop: Header=BB88_86 Depth=1
	s_or_b32 exec_lo, exec_lo, s7
	s_and_saveexec_b32 s7, s6
	s_xor_b32 s6, exec_lo, s7
	s_cbranch_execnz .LBB88_137
.LBB88_111:                             ;   in Loop: Header=BB88_86 Depth=1
	s_or_b32 exec_lo, exec_lo, s6
	s_and_saveexec_b32 s6, s0
.LBB88_112:                             ;   in Loop: Header=BB88_86 Depth=1
	v_mov_b32_e32 v11, s5
	v_mov_b32_e32 v10, s4
.LBB88_113:                             ;   in Loop: Header=BB88_86 Depth=1
	s_or_b32 exec_lo, exec_lo, s6
	v_mov_b32_e32 v8, v10
	v_mov_b32_e32 v9, v11
	s_andn2_b32 vcc_lo, exec_lo, s11
	s_mov_b32 s0, -1
                                        ; implicit-def: $vgpr10_vgpr11
	s_cbranch_vccnz .LBB88_91
.LBB88_114:                             ;   in Loop: Header=BB88_86 Depth=1
	s_waitcnt vmcnt(0)
	v_mov_b32_e32 v10, 1
	v_mov_b32_e32 v11, 0
	s_andn2_b32 vcc_lo, exec_lo, s10
	s_cbranch_vccnz .LBB88_117
; %bb.115:                              ;   in Loop: Header=BB88_86 Depth=1
	v_mov_b32_e32 v13, v3
	v_mov_b32_e32 v12, v2
	s_mov_b64 s[6:7], s[8:9]
	.p2align	6
.LBB88_116:                             ;   Parent Loop BB88_86 Depth=1
                                        ; =>  This Inner Loop Header: Depth=2
	s_bitcmp1_b32 s6, 0
	v_mul_lo_u32 v17, v12, v13
	s_cselect_b32 vcc_lo, -1, 0
	v_cmp_lt_u64_e64 s0, s[6:7], 2
	v_cndmask_b32_e32 v18, 1, v12, vcc_lo
	v_cndmask_b32_e32 v19, 0, v13, vcc_lo
	v_mad_u64_u32 v[12:13], null, v12, v12, 0
	s_lshr_b64 s[6:7], s[6:7], 1
	v_mul_lo_u32 v20, v18, v11
	v_mul_lo_u32 v19, v19, v10
	v_mad_u64_u32 v[10:11], null, v18, v10, 0
	s_and_b32 vcc_lo, exec_lo, s0
	v_add3_u32 v13, v13, v17, v17
	v_add3_u32 v11, v11, v20, v19
	s_cbranch_vccz .LBB88_116
.LBB88_117:                             ;   in Loop: Header=BB88_86 Depth=1
	s_cbranch_execnz .LBB88_92
.LBB88_118:                             ;   in Loop: Header=BB88_86 Depth=1
	s_mov_b32 s0, 0
	s_mov_b32 s6, 0
	s_mov_b32 s7, exec_lo
	s_waitcnt vmcnt(1)
	v_cmpx_lt_i64_e32 0, v[2:3]
	s_xor_b32 s7, exec_lo, s7
	s_cbranch_execnz .LBB88_138
; %bb.119:                              ;   in Loop: Header=BB88_86 Depth=1
	s_andn2_saveexec_b32 s7, s7
	s_cbranch_execnz .LBB88_139
.LBB88_120:                             ;   in Loop: Header=BB88_86 Depth=1
	s_or_b32 exec_lo, exec_lo, s7
	s_and_saveexec_b32 s7, s6
	s_xor_b32 s6, exec_lo, s7
	s_cbranch_execnz .LBB88_140
.LBB88_121:                             ;   in Loop: Header=BB88_86 Depth=1
	s_or_b32 exec_lo, exec_lo, s6
	s_and_saveexec_b32 s6, s0
.LBB88_122:                             ;   in Loop: Header=BB88_86 Depth=1
	v_mov_b32_e32 v2, s4
	v_mov_b32_e32 v3, s5
.LBB88_123:                             ;   in Loop: Header=BB88_86 Depth=1
	s_or_b32 exec_lo, exec_lo, s6
	s_waitcnt vmcnt(0)
	v_mov_b32_e32 v11, v3
	v_mov_b32_e32 v10, v2
	s_andn2_b32 vcc_lo, exec_lo, s11
	s_mov_b32 s0, -1
	s_cbranch_vccnz .LBB88_93
.LBB88_124:                             ;   in Loop: Header=BB88_86 Depth=1
	v_mov_b32_e32 v12, 1
	v_mov_b32_e32 v13, 0
	s_andn2_b32 vcc_lo, exec_lo, s10
	s_cbranch_vccnz .LBB88_127
; %bb.125:                              ;   in Loop: Header=BB88_86 Depth=1
	s_waitcnt vmcnt(1)
	v_mov_b32_e32 v2, v4
	v_mov_b32_e32 v3, v5
	s_mov_b64 s[6:7], s[8:9]
	.p2align	6
.LBB88_126:                             ;   Parent Loop BB88_86 Depth=1
                                        ; =>  This Inner Loop Header: Depth=2
	s_bitcmp1_b32 s6, 0
	v_mul_lo_u32 v17, v2, v3
	s_cselect_b32 vcc_lo, -1, 0
	v_cmp_lt_u64_e64 s0, s[6:7], 2
	v_cndmask_b32_e32 v18, 1, v2, vcc_lo
	v_cndmask_b32_e32 v19, 0, v3, vcc_lo
	v_mad_u64_u32 v[2:3], null, v2, v2, 0
	s_lshr_b64 s[6:7], s[6:7], 1
	v_mul_lo_u32 v20, v18, v13
	v_mul_lo_u32 v19, v19, v12
	v_mad_u64_u32 v[12:13], null, v18, v12, 0
	s_and_b32 vcc_lo, exec_lo, s0
	v_add3_u32 v3, v3, v17, v17
	v_add3_u32 v13, v13, v20, v19
	s_cbranch_vccz .LBB88_126
.LBB88_127:                             ;   in Loop: Header=BB88_86 Depth=1
	s_cbranch_execnz .LBB88_85
.LBB88_128:                             ;   in Loop: Header=BB88_86 Depth=1
	s_mov_b32 s0, 0
	s_mov_b32 s6, 0
	s_mov_b32 s7, exec_lo
	s_waitcnt vmcnt(1)
	v_cmpx_lt_i64_e32 0, v[4:5]
	s_xor_b32 s7, exec_lo, s7
	s_cbranch_execnz .LBB88_141
; %bb.129:                              ;   in Loop: Header=BB88_86 Depth=1
	s_andn2_saveexec_b32 s7, s7
	s_cbranch_execnz .LBB88_142
.LBB88_130:                             ;   in Loop: Header=BB88_86 Depth=1
	s_or_b32 exec_lo, exec_lo, s7
	s_and_saveexec_b32 s7, s6
	s_xor_b32 s6, exec_lo, s7
	s_cbranch_execnz .LBB88_143
.LBB88_131:                             ;   in Loop: Header=BB88_86 Depth=1
	s_or_b32 exec_lo, exec_lo, s6
	s_and_saveexec_b32 s6, s0
	s_cbranch_execz .LBB88_84
	s_branch .LBB88_144
.LBB88_132:                             ;   in Loop: Header=BB88_86 Depth=1
	v_cmp_ne_u64_e32 vcc_lo, 1, v[8:9]
	s_and_b32 s6, vcc_lo, exec_lo
	s_andn2_saveexec_b32 s7, s7
	s_cbranch_execz .LBB88_100
.LBB88_133:                             ;   in Loop: Header=BB88_86 Depth=1
	v_cmp_ne_u64_e32 vcc_lo, -1, v[8:9]
	s_andn2_b32 s6, s6, exec_lo
	s_mov_b32 s0, exec_lo
	s_and_b32 s13, vcc_lo, exec_lo
	s_or_b32 s6, s6, s13
	s_or_b32 exec_lo, exec_lo, s7
	s_and_saveexec_b32 s7, s6
	s_xor_b32 s6, exec_lo, s7
	s_cbranch_execz .LBB88_101
.LBB88_134:                             ;   in Loop: Header=BB88_86 Depth=1
	v_mov_b32_e32 v8, 0
	v_mov_b32_e32 v9, 0
	s_andn2_b32 s0, s0, exec_lo
	s_or_b32 exec_lo, exec_lo, s6
	s_and_saveexec_b32 s6, s0
	s_cbranch_execnz .LBB88_102
	s_branch .LBB88_103
.LBB88_135:                             ;   in Loop: Header=BB88_86 Depth=1
	v_cmp_ne_u64_e32 vcc_lo, 1, v[10:11]
	s_and_b32 s6, vcc_lo, exec_lo
	s_andn2_saveexec_b32 s7, s7
	s_cbranch_execz .LBB88_110
.LBB88_136:                             ;   in Loop: Header=BB88_86 Depth=1
	v_cmp_ne_u64_e32 vcc_lo, -1, v[10:11]
	s_andn2_b32 s6, s6, exec_lo
	s_mov_b32 s0, exec_lo
	s_and_b32 s13, vcc_lo, exec_lo
	s_or_b32 s6, s6, s13
	s_or_b32 exec_lo, exec_lo, s7
	s_and_saveexec_b32 s7, s6
	s_xor_b32 s6, exec_lo, s7
	s_cbranch_execz .LBB88_111
.LBB88_137:                             ;   in Loop: Header=BB88_86 Depth=1
	v_mov_b32_e32 v10, 0
	v_mov_b32_e32 v11, 0
	s_andn2_b32 s0, s0, exec_lo
	s_or_b32 exec_lo, exec_lo, s6
	s_and_saveexec_b32 s6, s0
	s_cbranch_execnz .LBB88_112
	s_branch .LBB88_113
.LBB88_138:                             ;   in Loop: Header=BB88_86 Depth=1
	v_cmp_ne_u64_e32 vcc_lo, 1, v[2:3]
	s_and_b32 s6, vcc_lo, exec_lo
	s_andn2_saveexec_b32 s7, s7
	s_cbranch_execz .LBB88_120
.LBB88_139:                             ;   in Loop: Header=BB88_86 Depth=1
	v_cmp_ne_u64_e32 vcc_lo, -1, v[2:3]
	s_andn2_b32 s6, s6, exec_lo
	s_mov_b32 s0, exec_lo
	s_and_b32 s13, vcc_lo, exec_lo
	s_or_b32 s6, s6, s13
	s_or_b32 exec_lo, exec_lo, s7
	s_and_saveexec_b32 s7, s6
	s_xor_b32 s6, exec_lo, s7
	s_cbranch_execz .LBB88_121
.LBB88_140:                             ;   in Loop: Header=BB88_86 Depth=1
	v_mov_b32_e32 v2, 0
	v_mov_b32_e32 v3, 0
	s_andn2_b32 s0, s0, exec_lo
	s_or_b32 exec_lo, exec_lo, s6
	s_and_saveexec_b32 s6, s0
	s_cbranch_execnz .LBB88_122
	s_branch .LBB88_123
.LBB88_141:                             ;   in Loop: Header=BB88_86 Depth=1
	v_cmp_ne_u64_e32 vcc_lo, 1, v[4:5]
	s_and_b32 s6, vcc_lo, exec_lo
	s_andn2_saveexec_b32 s7, s7
	s_cbranch_execz .LBB88_130
.LBB88_142:                             ;   in Loop: Header=BB88_86 Depth=1
	v_cmp_ne_u64_e32 vcc_lo, -1, v[4:5]
	s_andn2_b32 s6, s6, exec_lo
	s_mov_b32 s0, exec_lo
	s_and_b32 s13, vcc_lo, exec_lo
	s_or_b32 s6, s6, s13
	s_or_b32 exec_lo, exec_lo, s7
	s_and_saveexec_b32 s7, s6
	s_xor_b32 s6, exec_lo, s7
	s_cbranch_execz .LBB88_131
.LBB88_143:                             ;   in Loop: Header=BB88_86 Depth=1
	v_mov_b32_e32 v4, 0
	v_mov_b32_e32 v5, 0
	s_andn2_b32 s0, s0, exec_lo
	s_or_b32 exec_lo, exec_lo, s6
	s_and_saveexec_b32 s6, s0
	s_cbranch_execz .LBB88_84
.LBB88_144:                             ;   in Loop: Header=BB88_86 Depth=1
	v_mov_b32_e32 v4, s4
	v_mov_b32_e32 v5, s5
	s_branch .LBB88_84
.LBB88_145:
	s_endpgm
	.section	.rodata,"a",@progbits
	.p2align	6, 0x0
	.amdhsa_kernel _ZN2at6native12_GLOBAL__N_125multi_tensor_apply_kernelINS1_28TensorListScalarListMetadataIlLi2EEENS1_25BinaryOpScalarListFunctorIlLi2ELi1ELi1EEEJNS1_13power_functorIlEEEEEvT_T0_DpT1_
		.amdhsa_group_segment_fixed_size 0
		.amdhsa_private_segment_fixed_size 0
		.amdhsa_kernarg_size 3912
		.amdhsa_user_sgpr_count 6
		.amdhsa_user_sgpr_private_segment_buffer 1
		.amdhsa_user_sgpr_dispatch_ptr 0
		.amdhsa_user_sgpr_queue_ptr 0
		.amdhsa_user_sgpr_kernarg_segment_ptr 1
		.amdhsa_user_sgpr_dispatch_id 0
		.amdhsa_user_sgpr_flat_scratch_init 0
		.amdhsa_user_sgpr_private_segment_size 0
		.amdhsa_wavefront_size32 1
		.amdhsa_uses_dynamic_stack 0
		.amdhsa_system_sgpr_private_segment_wavefront_offset 0
		.amdhsa_system_sgpr_workgroup_id_x 1
		.amdhsa_system_sgpr_workgroup_id_y 0
		.amdhsa_system_sgpr_workgroup_id_z 0
		.amdhsa_system_sgpr_workgroup_info 0
		.amdhsa_system_vgpr_workitem_id 0
		.amdhsa_next_free_vgpr 26
		.amdhsa_next_free_sgpr 32
		.amdhsa_reserve_vcc 1
		.amdhsa_reserve_flat_scratch 0
		.amdhsa_float_round_mode_32 0
		.amdhsa_float_round_mode_16_64 0
		.amdhsa_float_denorm_mode_32 3
		.amdhsa_float_denorm_mode_16_64 3
		.amdhsa_dx10_clamp 1
		.amdhsa_ieee_mode 1
		.amdhsa_fp16_overflow 0
		.amdhsa_workgroup_processor_mode 1
		.amdhsa_memory_ordered 1
		.amdhsa_forward_progress 1
		.amdhsa_shared_vgpr_count 0
		.amdhsa_exception_fp_ieee_invalid_op 0
		.amdhsa_exception_fp_denorm_src 0
		.amdhsa_exception_fp_ieee_div_zero 0
		.amdhsa_exception_fp_ieee_overflow 0
		.amdhsa_exception_fp_ieee_underflow 0
		.amdhsa_exception_fp_ieee_inexact 0
		.amdhsa_exception_int_div_zero 0
	.end_amdhsa_kernel
	.section	.text._ZN2at6native12_GLOBAL__N_125multi_tensor_apply_kernelINS1_28TensorListScalarListMetadataIlLi2EEENS1_25BinaryOpScalarListFunctorIlLi2ELi1ELi1EEEJNS1_13power_functorIlEEEEEvT_T0_DpT1_,"axG",@progbits,_ZN2at6native12_GLOBAL__N_125multi_tensor_apply_kernelINS1_28TensorListScalarListMetadataIlLi2EEENS1_25BinaryOpScalarListFunctorIlLi2ELi1ELi1EEEJNS1_13power_functorIlEEEEEvT_T0_DpT1_,comdat
.Lfunc_end88:
	.size	_ZN2at6native12_GLOBAL__N_125multi_tensor_apply_kernelINS1_28TensorListScalarListMetadataIlLi2EEENS1_25BinaryOpScalarListFunctorIlLi2ELi1ELi1EEEJNS1_13power_functorIlEEEEEvT_T0_DpT1_, .Lfunc_end88-_ZN2at6native12_GLOBAL__N_125multi_tensor_apply_kernelINS1_28TensorListScalarListMetadataIlLi2EEENS1_25BinaryOpScalarListFunctorIlLi2ELi1ELi1EEEJNS1_13power_functorIlEEEEEvT_T0_DpT1_
                                        ; -- End function
	.set _ZN2at6native12_GLOBAL__N_125multi_tensor_apply_kernelINS1_28TensorListScalarListMetadataIlLi2EEENS1_25BinaryOpScalarListFunctorIlLi2ELi1ELi1EEEJNS1_13power_functorIlEEEEEvT_T0_DpT1_.num_vgpr, 26
	.set _ZN2at6native12_GLOBAL__N_125multi_tensor_apply_kernelINS1_28TensorListScalarListMetadataIlLi2EEENS1_25BinaryOpScalarListFunctorIlLi2ELi1ELi1EEEJNS1_13power_functorIlEEEEEvT_T0_DpT1_.num_agpr, 0
	.set _ZN2at6native12_GLOBAL__N_125multi_tensor_apply_kernelINS1_28TensorListScalarListMetadataIlLi2EEENS1_25BinaryOpScalarListFunctorIlLi2ELi1ELi1EEEJNS1_13power_functorIlEEEEEvT_T0_DpT1_.numbered_sgpr, 32
	.set _ZN2at6native12_GLOBAL__N_125multi_tensor_apply_kernelINS1_28TensorListScalarListMetadataIlLi2EEENS1_25BinaryOpScalarListFunctorIlLi2ELi1ELi1EEEJNS1_13power_functorIlEEEEEvT_T0_DpT1_.num_named_barrier, 0
	.set _ZN2at6native12_GLOBAL__N_125multi_tensor_apply_kernelINS1_28TensorListScalarListMetadataIlLi2EEENS1_25BinaryOpScalarListFunctorIlLi2ELi1ELi1EEEJNS1_13power_functorIlEEEEEvT_T0_DpT1_.private_seg_size, 0
	.set _ZN2at6native12_GLOBAL__N_125multi_tensor_apply_kernelINS1_28TensorListScalarListMetadataIlLi2EEENS1_25BinaryOpScalarListFunctorIlLi2ELi1ELi1EEEJNS1_13power_functorIlEEEEEvT_T0_DpT1_.uses_vcc, 1
	.set _ZN2at6native12_GLOBAL__N_125multi_tensor_apply_kernelINS1_28TensorListScalarListMetadataIlLi2EEENS1_25BinaryOpScalarListFunctorIlLi2ELi1ELi1EEEJNS1_13power_functorIlEEEEEvT_T0_DpT1_.uses_flat_scratch, 0
	.set _ZN2at6native12_GLOBAL__N_125multi_tensor_apply_kernelINS1_28TensorListScalarListMetadataIlLi2EEENS1_25BinaryOpScalarListFunctorIlLi2ELi1ELi1EEEJNS1_13power_functorIlEEEEEvT_T0_DpT1_.has_dyn_sized_stack, 0
	.set _ZN2at6native12_GLOBAL__N_125multi_tensor_apply_kernelINS1_28TensorListScalarListMetadataIlLi2EEENS1_25BinaryOpScalarListFunctorIlLi2ELi1ELi1EEEJNS1_13power_functorIlEEEEEvT_T0_DpT1_.has_recursion, 0
	.set _ZN2at6native12_GLOBAL__N_125multi_tensor_apply_kernelINS1_28TensorListScalarListMetadataIlLi2EEENS1_25BinaryOpScalarListFunctorIlLi2ELi1ELi1EEEJNS1_13power_functorIlEEEEEvT_T0_DpT1_.has_indirect_call, 0
	.section	.AMDGPU.csdata,"",@progbits
; Kernel info:
; codeLenInByte = 4016
; TotalNumSgprs: 34
; NumVgprs: 26
; ScratchSize: 0
; MemoryBound: 1
; FloatMode: 240
; IeeeMode: 1
; LDSByteSize: 0 bytes/workgroup (compile time only)
; SGPRBlocks: 0
; VGPRBlocks: 3
; NumSGPRsForWavesPerEU: 34
; NumVGPRsForWavesPerEU: 26
; Occupancy: 16
; WaveLimiterHint : 1
; COMPUTE_PGM_RSRC2:SCRATCH_EN: 0
; COMPUTE_PGM_RSRC2:USER_SGPR: 6
; COMPUTE_PGM_RSRC2:TRAP_HANDLER: 0
; COMPUTE_PGM_RSRC2:TGID_X_EN: 1
; COMPUTE_PGM_RSRC2:TGID_Y_EN: 0
; COMPUTE_PGM_RSRC2:TGID_Z_EN: 0
; COMPUTE_PGM_RSRC2:TIDIG_COMP_CNT: 0
	.section	.text._ZN2at6native12_GLOBAL__N_125multi_tensor_apply_kernelINS1_28TensorListScalarListMetadataIsLi2EEENS1_25BinaryOpScalarListFunctorIsLi2ELi1ELi1EEEJNS1_13power_functorIsEEEEEvT_T0_DpT1_,"axG",@progbits,_ZN2at6native12_GLOBAL__N_125multi_tensor_apply_kernelINS1_28TensorListScalarListMetadataIsLi2EEENS1_25BinaryOpScalarListFunctorIsLi2ELi1ELi1EEEJNS1_13power_functorIsEEEEEvT_T0_DpT1_,comdat
	.globl	_ZN2at6native12_GLOBAL__N_125multi_tensor_apply_kernelINS1_28TensorListScalarListMetadataIsLi2EEENS1_25BinaryOpScalarListFunctorIsLi2ELi1ELi1EEEJNS1_13power_functorIsEEEEEvT_T0_DpT1_ ; -- Begin function _ZN2at6native12_GLOBAL__N_125multi_tensor_apply_kernelINS1_28TensorListScalarListMetadataIsLi2EEENS1_25BinaryOpScalarListFunctorIsLi2ELi1ELi1EEEJNS1_13power_functorIsEEEEEvT_T0_DpT1_
	.p2align	8
	.type	_ZN2at6native12_GLOBAL__N_125multi_tensor_apply_kernelINS1_28TensorListScalarListMetadataIsLi2EEENS1_25BinaryOpScalarListFunctorIsLi2ELi1ELi1EEEJNS1_13power_functorIsEEEEEvT_T0_DpT1_,@function
_ZN2at6native12_GLOBAL__N_125multi_tensor_apply_kernelINS1_28TensorListScalarListMetadataIsLi2EEENS1_25BinaryOpScalarListFunctorIsLi2ELi1ELi1EEEJNS1_13power_functorIsEEEEEvT_T0_DpT1_: ; @_ZN2at6native12_GLOBAL__N_125multi_tensor_apply_kernelINS1_28TensorListScalarListMetadataIsLi2EEENS1_25BinaryOpScalarListFunctorIsLi2ELi1ELi1EEEJNS1_13power_functorIsEEEEEvT_T0_DpT1_
; %bb.0:
	v_mov_b32_e32 v1, s6
	s_add_u32 s0, s4, s6
	s_mul_hi_u32 s1, s6, 3
	s_mul_i32 s6, s6, 3
	s_addc_u32 s2, s5, 0
	global_load_ubyte v1, v1, s[4:5] offset:1664
	s_add_u32 s0, s0, s6
	s_addc_u32 s1, s2, s1
	s_mov_b32 s13, 0
	s_load_dword s0, s[0:1], 0x7c0
	s_mov_b32 s15, s13
	s_mov_b32 s21, s13
	s_waitcnt vmcnt(0)
	v_readfirstlane_b32 s1, v1
	v_mul_lo_u32 v2, v1, -6
	v_mul_hi_i32 v3, v1, -6
	s_lshl_b32 s6, s1, 3
	s_waitcnt lgkmcnt(0)
	s_ashr_i32 s1, s0, 31
	s_add_u32 s7, s4, s6
	s_addc_u32 s8, s5, 0
	v_add_co_u32 v1, vcc_lo, s7, v2
	v_add_co_ci_u32_e64 v2, null, s8, v3, vcc_lo
	s_load_dwordx2 s[2:3], s[4:5], s6 offset:0x400
	s_lshl_b64 s[18:19], s[0:1], 17
	global_load_ushort v1, v[1:2], off offset:1536
	s_clause 0x1
	s_load_dwordx2 s[8:9], s[4:5], s6 offset:0x0
	s_load_dwordx2 s[10:11], s[4:5], s6 offset:0x200
	s_waitcnt lgkmcnt(0)
	s_add_u32 s7, s8, s18
	s_addc_u32 s16, s9, s19
	s_and_b32 s12, s7, 7
	s_add_u32 s17, s10, s18
	s_addc_u32 s18, s11, s19
	s_lshl_b64 s[0:1], s[0:1], 16
	s_and_b32 s14, s17, 7
	s_sub_u32 s8, s2, s0
	s_subb_u32 s9, s3, s1
	s_and_b32 s20, s2, 3
	s_or_b64 s[0:1], s[14:15], s[20:21]
	s_or_b64 s[0:1], s[0:1], s[12:13]
	s_cmp_eq_u64 s[0:1], 0
	s_mov_b32 s0, -1
	s_waitcnt vmcnt(0)
	v_readfirstlane_b32 s19, v1
	s_cbranch_scc1 .LBB89_81
; %bb.1:
	v_cmp_lt_i64_e64 s0, s[8:9], 1
	s_and_b32 vcc_lo, exec_lo, s0
	s_cbranch_vccnz .LBB89_80
; %bb.2:
	s_load_dword s0, s[4:5], 0xcd4
	v_cmp_gt_i64_e64 s1, 0x10000, s[8:9]
	v_cmp_gt_u64_e64 s2, 0x10000, s[8:9]
	s_sext_i32_i16 s3, s19
	s_mov_b64 s[14:15], 0
	s_and_b32 s1, s1, exec_lo
	s_cselect_b32 s11, s9, 0
	s_cselect_b32 s10, s8, 0x10000
	s_waitcnt lgkmcnt(0)
	s_and_b32 s20, s0, 0xffff
	s_and_b32 s0, s2, exec_lo
	s_cselect_b32 s13, s9, 0
	s_cselect_b32 s12, s8, 0x10000
	s_lshl_b32 s21, s20, 1
	s_cmp_gt_i32 s3, -1
	s_mul_i32 s23, s20, 3
	s_cselect_b32 s22, -1, 0
	s_and_b32 s0, 0xffff, s19
	s_cmp_lg_u32 s0, 0
	s_cselect_b32 s24, -1, 0
	s_bitcmp0_b32 s19, 0
	v_cndmask_b32_e64 v9, 0, 1, s24
	s_cselect_b32 s25, 1, 0xffff
	s_lshl_b32 s26, s20, 2
	s_branch .LBB89_4
.LBB89_3:                               ;   in Loop: Header=BB89_4 Depth=1
	s_or_b32 exec_lo, exec_lo, s0
	s_add_u32 s14, s14, s26
	s_addc_u32 s15, s15, 0
	v_cmp_ge_i64_e64 s0, s[14:15], s[10:11]
	s_and_b32 vcc_lo, exec_lo, s0
	s_cbranch_vccnz .LBB89_80
.LBB89_4:                               ; =>This Loop Header: Depth=1
                                        ;     Child Loop BB89_15 Depth 2
                                        ;     Child Loop BB89_20 Depth 2
	;; [unrolled: 1-line block ×4, first 2 shown]
	v_add_co_u32 v7, s0, s14, v0
	v_add_co_ci_u32_e64 v8, null, s15, 0, s0
	s_waitcnt vmcnt(0)
	v_mov_b32_e32 v13, 0
	v_cmp_gt_u64_e64 s0, s[12:13], v[7:8]
	v_lshlrev_b64 v[1:2], 1, v[7:8]
	s_and_saveexec_b32 s1, s0
	s_cbranch_execz .LBB89_6
; %bb.5:                                ;   in Loop: Header=BB89_4 Depth=1
	v_add_co_u32 v3, vcc_lo, s7, v1
	v_add_co_ci_u32_e64 v4, null, s16, v2, vcc_lo
	global_load_ushort v13, v[3:4], off
.LBB89_6:                               ;   in Loop: Header=BB89_4 Depth=1
	s_or_b32 exec_lo, exec_lo, s1
	v_add_co_u32 v3, vcc_lo, v7, s20
	v_add_co_ci_u32_e64 v4, null, 0, v8, vcc_lo
	v_mov_b32_e32 v12, 0
	v_mov_b32_e32 v14, 0
	v_cmp_gt_u64_e64 s1, s[12:13], v[3:4]
	v_lshlrev_b64 v[3:4], 1, v[3:4]
	s_and_saveexec_b32 s2, s1
	s_cbranch_execz .LBB89_8
; %bb.7:                                ;   in Loop: Header=BB89_4 Depth=1
	v_add_co_u32 v5, vcc_lo, s7, v3
	v_add_co_ci_u32_e64 v6, null, s16, v4, vcc_lo
	global_load_ushort v14, v[5:6], off
.LBB89_8:                               ;   in Loop: Header=BB89_4 Depth=1
	s_or_b32 exec_lo, exec_lo, s2
	v_add_co_u32 v5, vcc_lo, v7, s21
	v_add_co_ci_u32_e64 v6, null, 0, v8, vcc_lo
	v_cmp_gt_u64_e64 s2, s[12:13], v[5:6]
	v_lshlrev_b64 v[5:6], 1, v[5:6]
	s_and_saveexec_b32 s3, s2
	s_cbranch_execz .LBB89_10
; %bb.9:                                ;   in Loop: Header=BB89_4 Depth=1
	v_add_co_u32 v10, vcc_lo, s7, v5
	v_add_co_ci_u32_e64 v11, null, s16, v6, vcc_lo
	global_load_ushort v12, v[10:11], off
.LBB89_10:                              ;   in Loop: Header=BB89_4 Depth=1
	s_or_b32 exec_lo, exec_lo, s3
	v_add_co_u32 v7, vcc_lo, v7, s23
	v_add_co_ci_u32_e64 v8, null, 0, v8, vcc_lo
	v_mov_b32_e32 v10, 0
	v_cmp_gt_u64_e64 s3, s[12:13], v[7:8]
	v_lshlrev_b64 v[7:8], 1, v[7:8]
	s_and_saveexec_b32 s6, s3
	s_cbranch_execz .LBB89_12
; %bb.11:                               ;   in Loop: Header=BB89_4 Depth=1
	v_add_co_u32 v10, vcc_lo, s7, v7
	v_add_co_ci_u32_e64 v11, null, s16, v8, vcc_lo
	global_load_ushort v10, v[10:11], off
.LBB89_12:                              ;   in Loop: Header=BB89_4 Depth=1
	s_or_b32 exec_lo, exec_lo, s6
	v_cmp_ne_u32_e64 s6, 1, v9
	s_and_b32 vcc_lo, exec_lo, s22
	s_mov_b32 s27, -1
                                        ; implicit-def: $vgpr11
	s_cbranch_vccz .LBB89_36
; %bb.13:                               ;   in Loop: Header=BB89_4 Depth=1
	v_mov_b32_e32 v11, 1
	s_and_b32 vcc_lo, exec_lo, s6
	s_cbranch_vccnz .LBB89_16
; %bb.14:                               ;   in Loop: Header=BB89_4 Depth=1
	s_waitcnt vmcnt(0)
	v_mov_b32_e32 v15, v13
	s_mov_b32 s6, s19
.LBB89_15:                              ;   Parent Loop BB89_4 Depth=1
                                        ; =>  This Inner Loop Header: Depth=2
	s_bitcmp1_b32 s6, 0
	s_sext_i32_i16 s27, s6
	s_cselect_b32 vcc_lo, -1, 0
	s_and_b32 s6, 0xffff, s6
	v_cndmask_b32_e32 v16, 1, v15, vcc_lo
	v_mul_lo_u16 v15, v15, v15
	s_lshr_b32 s6, s6, 1
	s_cmp_gt_i32 s27, 1
	v_mul_lo_u16 v11, v16, v11
	s_cbranch_scc1 .LBB89_15
.LBB89_16:                              ;   in Loop: Header=BB89_4 Depth=1
	s_cbranch_execz .LBB89_37
.LBB89_17:                              ;   in Loop: Header=BB89_4 Depth=1
	s_andn2_b32 vcc_lo, exec_lo, s22
	s_mov_b32 s6, -1
                                        ; implicit-def: $vgpr13
	s_cbranch_vccnz .LBB89_46
.LBB89_18:                              ;   in Loop: Header=BB89_4 Depth=1
	s_waitcnt vmcnt(0)
	v_mov_b32_e32 v13, 1
	s_andn2_b32 vcc_lo, exec_lo, s24
	s_cbranch_vccnz .LBB89_21
; %bb.19:                               ;   in Loop: Header=BB89_4 Depth=1
	v_mov_b32_e32 v15, v14
	s_mov_b32 s6, s19
.LBB89_20:                              ;   Parent Loop BB89_4 Depth=1
                                        ; =>  This Inner Loop Header: Depth=2
	s_bitcmp1_b32 s6, 0
	s_sext_i32_i16 s27, s6
	s_cselect_b32 vcc_lo, -1, 0
	s_and_b32 s6, 0xffff, s6
	v_cndmask_b32_e32 v16, 1, v15, vcc_lo
	v_mul_lo_u16 v15, v15, v15
	s_lshr_b32 s6, s6, 1
	s_cmp_lt_i32 s27, 2
	v_mul_lo_u16 v13, v16, v13
	s_cbranch_scc0 .LBB89_20
.LBB89_21:                              ;   in Loop: Header=BB89_4 Depth=1
	s_cbranch_execz .LBB89_47
.LBB89_22:                              ;   in Loop: Header=BB89_4 Depth=1
	s_andn2_b32 vcc_lo, exec_lo, s22
	s_mov_b32 s6, -1
                                        ; implicit-def: $vgpr14
	s_cbranch_vccnz .LBB89_56
.LBB89_23:                              ;   in Loop: Header=BB89_4 Depth=1
	s_waitcnt vmcnt(0)
	v_mov_b32_e32 v14, 1
	s_andn2_b32 vcc_lo, exec_lo, s24
	s_cbranch_vccnz .LBB89_26
; %bb.24:                               ;   in Loop: Header=BB89_4 Depth=1
	v_mov_b32_e32 v15, v12
	s_mov_b32 s6, s19
.LBB89_25:                              ;   Parent Loop BB89_4 Depth=1
                                        ; =>  This Inner Loop Header: Depth=2
	s_bitcmp1_b32 s6, 0
	s_sext_i32_i16 s27, s6
	s_cselect_b32 vcc_lo, -1, 0
	s_and_b32 s6, 0xffff, s6
	v_cndmask_b32_e32 v16, 1, v15, vcc_lo
	v_mul_lo_u16 v15, v15, v15
	s_lshr_b32 s6, s6, 1
	s_cmp_lt_i32 s27, 2
	v_mul_lo_u16 v14, v16, v14
	s_cbranch_scc0 .LBB89_25
.LBB89_26:                              ;   in Loop: Header=BB89_4 Depth=1
	s_cbranch_execz .LBB89_57
.LBB89_27:                              ;   in Loop: Header=BB89_4 Depth=1
	s_andn2_b32 vcc_lo, exec_lo, s22
	s_mov_b32 s6, -1
                                        ; implicit-def: $vgpr12
	s_cbranch_vccnz .LBB89_66
.LBB89_28:                              ;   in Loop: Header=BB89_4 Depth=1
	s_waitcnt vmcnt(0)
	v_mov_b32_e32 v12, 1
	s_andn2_b32 vcc_lo, exec_lo, s24
	s_cbranch_vccnz .LBB89_31
; %bb.29:                               ;   in Loop: Header=BB89_4 Depth=1
	v_mov_b32_e32 v15, v10
	s_mov_b32 s6, s19
.LBB89_30:                              ;   Parent Loop BB89_4 Depth=1
                                        ; =>  This Inner Loop Header: Depth=2
	s_bitcmp1_b32 s6, 0
	s_sext_i32_i16 s27, s6
	s_cselect_b32 vcc_lo, -1, 0
	s_and_b32 s6, 0xffff, s6
	v_cndmask_b32_e32 v16, 1, v15, vcc_lo
	v_mul_lo_u16 v15, v15, v15
	s_lshr_b32 s6, s6, 1
	s_cmp_lt_i32 s27, 2
	v_mul_lo_u16 v12, v16, v12
	s_cbranch_scc0 .LBB89_30
.LBB89_31:                              ;   in Loop: Header=BB89_4 Depth=1
	s_cbranch_execz .LBB89_67
.LBB89_32:                              ;   in Loop: Header=BB89_4 Depth=1
	s_and_saveexec_b32 s6, s0
	s_xor_b32 s0, exec_lo, s6
	s_cbranch_execz .LBB89_76
.LBB89_33:                              ;   in Loop: Header=BB89_4 Depth=1
	v_add_co_u32 v1, vcc_lo, s17, v1
	v_add_co_ci_u32_e64 v2, null, s18, v2, vcc_lo
	global_store_short v[1:2], v11, off
	s_or_b32 exec_lo, exec_lo, s0
	s_and_saveexec_b32 s0, s1
	s_cbranch_execnz .LBB89_77
.LBB89_34:                              ;   in Loop: Header=BB89_4 Depth=1
	s_or_b32 exec_lo, exec_lo, s0
	s_and_saveexec_b32 s0, s2
	s_cbranch_execz .LBB89_78
.LBB89_35:                              ;   in Loop: Header=BB89_4 Depth=1
	v_add_co_u32 v1, vcc_lo, s17, v5
	v_add_co_ci_u32_e64 v2, null, s18, v6, vcc_lo
	s_waitcnt vmcnt(0)
	global_store_short v[1:2], v14, off
	s_or_b32 exec_lo, exec_lo, s0
	s_and_saveexec_b32 s0, s3
	s_cbranch_execz .LBB89_3
	s_branch .LBB89_79
.LBB89_36:                              ;   in Loop: Header=BB89_4 Depth=1
	s_andn2_b32 vcc_lo, exec_lo, s27
	s_cbranch_vccnz .LBB89_17
.LBB89_37:                              ;   in Loop: Header=BB89_4 Depth=1
	s_mov_b32 s6, 0
	s_mov_b32 s27, 0
	s_mov_b32 s28, exec_lo
	s_waitcnt vmcnt(0)
	v_cmpx_lt_i16_e32 0, v13
	s_xor_b32 s28, exec_lo, s28
	s_cbranch_execz .LBB89_41
; %bb.38:                               ;   in Loop: Header=BB89_4 Depth=1
	v_cmp_ne_u16_e32 vcc_lo, 1, v13
	s_and_b32 s27, vcc_lo, exec_lo
	s_andn2_saveexec_b32 s28, s28
	s_cbranch_execnz .LBB89_42
.LBB89_39:                              ;   in Loop: Header=BB89_4 Depth=1
	s_or_b32 exec_lo, exec_lo, s28
	s_and_saveexec_b32 s28, s27
	s_xor_b32 s27, exec_lo, s28
	s_cbranch_execz .LBB89_43
.LBB89_40:                              ;   in Loop: Header=BB89_4 Depth=1
	v_mov_b32_e32 v13, 0
	s_andn2_b32 s6, s6, exec_lo
	s_or_b32 exec_lo, exec_lo, s27
	s_and_saveexec_b32 s27, s6
	s_cbranch_execnz .LBB89_44
	s_branch .LBB89_45
.LBB89_41:                              ;   in Loop: Header=BB89_4 Depth=1
	s_andn2_saveexec_b32 s28, s28
	s_cbranch_execz .LBB89_39
.LBB89_42:                              ;   in Loop: Header=BB89_4 Depth=1
	v_cmp_ne_u16_e32 vcc_lo, -1, v13
	s_andn2_b32 s27, s27, exec_lo
	s_mov_b32 s6, exec_lo
	s_and_b32 s29, vcc_lo, exec_lo
	s_or_b32 s27, s27, s29
	s_or_b32 exec_lo, exec_lo, s28
	s_and_saveexec_b32 s28, s27
	s_xor_b32 s27, exec_lo, s28
	s_cbranch_execnz .LBB89_40
.LBB89_43:                              ;   in Loop: Header=BB89_4 Depth=1
	s_or_b32 exec_lo, exec_lo, s27
	s_and_saveexec_b32 s27, s6
.LBB89_44:                              ;   in Loop: Header=BB89_4 Depth=1
	v_mov_b32_e32 v13, s25
.LBB89_45:                              ;   in Loop: Header=BB89_4 Depth=1
	s_or_b32 exec_lo, exec_lo, s27
	v_mov_b32_e32 v11, v13
	s_andn2_b32 vcc_lo, exec_lo, s22
	s_mov_b32 s6, -1
                                        ; implicit-def: $vgpr13
	s_cbranch_vccz .LBB89_18
.LBB89_46:                              ;   in Loop: Header=BB89_4 Depth=1
	s_andn2_b32 vcc_lo, exec_lo, s6
	s_cbranch_vccnz .LBB89_22
.LBB89_47:                              ;   in Loop: Header=BB89_4 Depth=1
	s_mov_b32 s6, 0
	s_mov_b32 s27, 0
	s_mov_b32 s28, exec_lo
	s_waitcnt vmcnt(0)
	v_cmpx_lt_i16_e32 0, v14
	s_xor_b32 s28, exec_lo, s28
	s_cbranch_execz .LBB89_51
; %bb.48:                               ;   in Loop: Header=BB89_4 Depth=1
	v_cmp_ne_u16_e32 vcc_lo, 1, v14
	s_and_b32 s27, vcc_lo, exec_lo
	s_andn2_saveexec_b32 s28, s28
	s_cbranch_execnz .LBB89_52
.LBB89_49:                              ;   in Loop: Header=BB89_4 Depth=1
	s_or_b32 exec_lo, exec_lo, s28
	s_and_saveexec_b32 s28, s27
	s_xor_b32 s27, exec_lo, s28
	s_cbranch_execz .LBB89_53
.LBB89_50:                              ;   in Loop: Header=BB89_4 Depth=1
	v_mov_b32_e32 v14, 0
	s_andn2_b32 s6, s6, exec_lo
	s_or_b32 exec_lo, exec_lo, s27
	s_and_saveexec_b32 s27, s6
	s_cbranch_execnz .LBB89_54
	s_branch .LBB89_55
.LBB89_51:                              ;   in Loop: Header=BB89_4 Depth=1
	s_andn2_saveexec_b32 s28, s28
	s_cbranch_execz .LBB89_49
.LBB89_52:                              ;   in Loop: Header=BB89_4 Depth=1
	v_cmp_ne_u16_e32 vcc_lo, -1, v14
	s_andn2_b32 s27, s27, exec_lo
	s_mov_b32 s6, exec_lo
	s_and_b32 s29, vcc_lo, exec_lo
	s_or_b32 s27, s27, s29
	s_or_b32 exec_lo, exec_lo, s28
	s_and_saveexec_b32 s28, s27
	s_xor_b32 s27, exec_lo, s28
	s_cbranch_execnz .LBB89_50
.LBB89_53:                              ;   in Loop: Header=BB89_4 Depth=1
	s_or_b32 exec_lo, exec_lo, s27
	s_and_saveexec_b32 s27, s6
.LBB89_54:                              ;   in Loop: Header=BB89_4 Depth=1
	v_mov_b32_e32 v14, s25
.LBB89_55:                              ;   in Loop: Header=BB89_4 Depth=1
	s_or_b32 exec_lo, exec_lo, s27
	v_mov_b32_e32 v13, v14
	s_andn2_b32 vcc_lo, exec_lo, s22
	s_mov_b32 s6, -1
                                        ; implicit-def: $vgpr14
	s_cbranch_vccz .LBB89_23
.LBB89_56:                              ;   in Loop: Header=BB89_4 Depth=1
	s_andn2_b32 vcc_lo, exec_lo, s6
	s_cbranch_vccnz .LBB89_27
.LBB89_57:                              ;   in Loop: Header=BB89_4 Depth=1
	s_mov_b32 s6, 0
	s_mov_b32 s27, 0
	s_mov_b32 s28, exec_lo
	s_waitcnt vmcnt(0)
	v_cmpx_lt_i16_e32 0, v12
	s_xor_b32 s28, exec_lo, s28
	s_cbranch_execz .LBB89_61
; %bb.58:                               ;   in Loop: Header=BB89_4 Depth=1
	v_cmp_ne_u16_e32 vcc_lo, 1, v12
	s_and_b32 s27, vcc_lo, exec_lo
	s_andn2_saveexec_b32 s28, s28
	s_cbranch_execnz .LBB89_62
.LBB89_59:                              ;   in Loop: Header=BB89_4 Depth=1
	s_or_b32 exec_lo, exec_lo, s28
	s_and_saveexec_b32 s28, s27
	s_xor_b32 s27, exec_lo, s28
	s_cbranch_execz .LBB89_63
.LBB89_60:                              ;   in Loop: Header=BB89_4 Depth=1
	v_mov_b32_e32 v12, 0
	s_andn2_b32 s6, s6, exec_lo
	s_or_b32 exec_lo, exec_lo, s27
	s_and_saveexec_b32 s27, s6
	s_cbranch_execnz .LBB89_64
	s_branch .LBB89_65
.LBB89_61:                              ;   in Loop: Header=BB89_4 Depth=1
	s_andn2_saveexec_b32 s28, s28
	s_cbranch_execz .LBB89_59
.LBB89_62:                              ;   in Loop: Header=BB89_4 Depth=1
	v_cmp_ne_u16_e32 vcc_lo, -1, v12
	s_andn2_b32 s27, s27, exec_lo
	s_mov_b32 s6, exec_lo
	s_and_b32 s29, vcc_lo, exec_lo
	s_or_b32 s27, s27, s29
	s_or_b32 exec_lo, exec_lo, s28
	s_and_saveexec_b32 s28, s27
	s_xor_b32 s27, exec_lo, s28
	s_cbranch_execnz .LBB89_60
.LBB89_63:                              ;   in Loop: Header=BB89_4 Depth=1
	s_or_b32 exec_lo, exec_lo, s27
	s_and_saveexec_b32 s27, s6
.LBB89_64:                              ;   in Loop: Header=BB89_4 Depth=1
	v_mov_b32_e32 v12, s25
.LBB89_65:                              ;   in Loop: Header=BB89_4 Depth=1
	s_or_b32 exec_lo, exec_lo, s27
	v_mov_b32_e32 v14, v12
	s_andn2_b32 vcc_lo, exec_lo, s22
	s_mov_b32 s6, -1
                                        ; implicit-def: $vgpr12
	s_cbranch_vccz .LBB89_28
.LBB89_66:                              ;   in Loop: Header=BB89_4 Depth=1
	s_andn2_b32 vcc_lo, exec_lo, s6
	s_cbranch_vccnz .LBB89_32
.LBB89_67:                              ;   in Loop: Header=BB89_4 Depth=1
	s_mov_b32 s6, 0
	s_mov_b32 s27, 0
	s_mov_b32 s28, exec_lo
	s_waitcnt vmcnt(0)
	v_cmpx_lt_i16_e32 0, v10
	s_xor_b32 s28, exec_lo, s28
	s_cbranch_execz .LBB89_71
; %bb.68:                               ;   in Loop: Header=BB89_4 Depth=1
	v_cmp_ne_u16_e32 vcc_lo, 1, v10
	s_and_b32 s27, vcc_lo, exec_lo
	s_andn2_saveexec_b32 s28, s28
	s_cbranch_execnz .LBB89_72
.LBB89_69:                              ;   in Loop: Header=BB89_4 Depth=1
	s_or_b32 exec_lo, exec_lo, s28
	s_and_saveexec_b32 s28, s27
	s_xor_b32 s27, exec_lo, s28
	s_cbranch_execz .LBB89_73
.LBB89_70:                              ;   in Loop: Header=BB89_4 Depth=1
	v_mov_b32_e32 v10, 0
	s_andn2_b32 s6, s6, exec_lo
	s_or_b32 exec_lo, exec_lo, s27
	s_and_saveexec_b32 s27, s6
	s_cbranch_execnz .LBB89_74
	s_branch .LBB89_75
.LBB89_71:                              ;   in Loop: Header=BB89_4 Depth=1
	s_andn2_saveexec_b32 s28, s28
	s_cbranch_execz .LBB89_69
.LBB89_72:                              ;   in Loop: Header=BB89_4 Depth=1
	v_cmp_ne_u16_e32 vcc_lo, -1, v10
	s_andn2_b32 s27, s27, exec_lo
	s_mov_b32 s6, exec_lo
	s_and_b32 s29, vcc_lo, exec_lo
	s_or_b32 s27, s27, s29
	s_or_b32 exec_lo, exec_lo, s28
	s_and_saveexec_b32 s28, s27
	s_xor_b32 s27, exec_lo, s28
	s_cbranch_execnz .LBB89_70
.LBB89_73:                              ;   in Loop: Header=BB89_4 Depth=1
	s_or_b32 exec_lo, exec_lo, s27
	s_and_saveexec_b32 s27, s6
.LBB89_74:                              ;   in Loop: Header=BB89_4 Depth=1
	v_mov_b32_e32 v10, s25
.LBB89_75:                              ;   in Loop: Header=BB89_4 Depth=1
	s_or_b32 exec_lo, exec_lo, s27
	v_mov_b32_e32 v12, v10
	s_and_saveexec_b32 s6, s0
	s_xor_b32 s0, exec_lo, s6
	s_cbranch_execnz .LBB89_33
.LBB89_76:                              ;   in Loop: Header=BB89_4 Depth=1
	s_or_b32 exec_lo, exec_lo, s0
	s_and_saveexec_b32 s0, s1
	s_cbranch_execz .LBB89_34
.LBB89_77:                              ;   in Loop: Header=BB89_4 Depth=1
	v_add_co_u32 v1, vcc_lo, s17, v3
	v_add_co_ci_u32_e64 v2, null, s18, v4, vcc_lo
	s_waitcnt vmcnt(0)
	global_store_short v[1:2], v13, off
	s_or_b32 exec_lo, exec_lo, s0
	s_and_saveexec_b32 s0, s2
	s_cbranch_execnz .LBB89_35
.LBB89_78:                              ;   in Loop: Header=BB89_4 Depth=1
	s_or_b32 exec_lo, exec_lo, s0
	s_and_saveexec_b32 s0, s3
	s_cbranch_execz .LBB89_3
.LBB89_79:                              ;   in Loop: Header=BB89_4 Depth=1
	v_add_co_u32 v1, vcc_lo, s17, v7
	v_add_co_ci_u32_e64 v2, null, s18, v8, vcc_lo
	s_waitcnt vmcnt(0)
	global_store_short v[1:2], v12, off
	s_branch .LBB89_3
.LBB89_80:
	s_mov_b32 s0, 0
.LBB89_81:
	s_andn2_b32 vcc_lo, exec_lo, s0
	s_cbranch_vccnz .LBB89_145
; %bb.82:
	v_cmp_gt_i64_e64 s0, 0x10000, s[8:9]
	v_mov_b32_e32 v2, 0
	v_lshlrev_b32_e32 v1, 2, v0
	s_mov_b32 s1, 0
	s_and_b32 s0, s0, exec_lo
	s_cselect_b32 s3, s9, 0
	s_cselect_b32 s2, s8, 0x10000
	s_mov_b32 s0, exec_lo
	v_cmpx_gt_i64_e64 s[2:3], v[1:2]
	s_cbranch_execz .LBB89_145
; %bb.83:
	s_load_dword s0, s[4:5], 0xcd4
	s_sext_i32_i16 s4, s19
	v_mov_b32_e32 v1, v2
	s_cmp_gt_i32 s4, -1
	s_cselect_b32 s4, -1, 0
	s_and_b32 s5, 0xffff, s19
	s_cmp_lg_u32 s5, 0
	s_cselect_b32 s5, -1, 0
	s_bitcmp0_b32 s19, 0
	v_cndmask_b32_e64 v6, 0, 1, s5
	s_cselect_b32 s6, 1, 0xffff
	s_waitcnt lgkmcnt(0)
	s_and_b32 s8, s0, 0xffff
	s_branch .LBB89_86
.LBB89_84:                              ;   in Loop: Header=BB89_86 Depth=1
	s_or_b32 exec_lo, exec_lo, s9
	v_mov_b32_e32 v9, v5
.LBB89_85:                              ;   in Loop: Header=BB89_86 Depth=1
	v_add_co_u32 v0, vcc_lo, v0, s8
	v_add_co_ci_u32_e64 v1, null, 0, v1, vcc_lo
	v_add_co_u32 v2, s0, s17, v2
	v_perm_b32 v5, v9, v8, 0x5040100
	v_lshlrev_b64 v[10:11], 2, v[0:1]
	v_perm_b32 v4, v4, v7, 0x5040100
	v_add_co_ci_u32_e64 v3, null, s18, v3, s0
	v_cmp_le_i64_e32 vcc_lo, s[2:3], v[10:11]
	global_store_dwordx2 v[2:3], v[4:5], off
	s_or_b32 s1, vcc_lo, s1
	s_andn2_b32 exec_lo, exec_lo, s1
	s_cbranch_execz .LBB89_145
.LBB89_86:                              ; =>This Loop Header: Depth=1
                                        ;     Child Loop BB89_89 Depth 2
                                        ;     Child Loop BB89_94 Depth 2
	;; [unrolled: 1-line block ×4, first 2 shown]
	v_lshlrev_b64 v[2:3], 3, v[0:1]
	v_cmp_ne_u32_e64 s0, 1, v6
	s_mov_b32 s9, -1
                                        ; implicit-def: $vgpr7
	v_add_co_u32 v4, vcc_lo, s7, v2
	v_add_co_ci_u32_e64 v5, null, s16, v3, vcc_lo
	s_and_b32 vcc_lo, exec_lo, s4
	global_load_dwordx2 v[4:5], v[4:5], off
	s_cbranch_vccz .LBB89_106
; %bb.87:                               ;   in Loop: Header=BB89_86 Depth=1
	v_mov_b32_e32 v7, 1
	s_and_b32 vcc_lo, exec_lo, s0
	s_cbranch_vccnz .LBB89_90
; %bb.88:                               ;   in Loop: Header=BB89_86 Depth=1
	s_waitcnt vmcnt(0)
	v_mov_b32_e32 v8, v4
	s_mov_b32 s0, s19
.LBB89_89:                              ;   Parent Loop BB89_86 Depth=1
                                        ; =>  This Inner Loop Header: Depth=2
	s_bitcmp1_b32 s0, 0
	s_sext_i32_i16 s9, s0
	s_cselect_b32 vcc_lo, -1, 0
	s_and_b32 s0, 0xffff, s0
	v_cndmask_b32_e32 v9, 1, v8, vcc_lo
	v_mul_lo_u16 v8, v8, v8
	s_lshr_b32 s0, s0, 1
	s_cmp_gt_i32 s9, 1
	v_mul_lo_u16 v7, v9, v7
	s_cbranch_scc1 .LBB89_89
.LBB89_90:                              ;   in Loop: Header=BB89_86 Depth=1
	s_cbranch_execz .LBB89_107
.LBB89_91:                              ;   in Loop: Header=BB89_86 Depth=1
	s_waitcnt vmcnt(0)
	v_lshrrev_b32_e32 v8, 16, v4
	s_andn2_b32 vcc_lo, exec_lo, s4
	s_mov_b32 s0, -1
                                        ; implicit-def: $vgpr4
	s_cbranch_vccnz .LBB89_116
.LBB89_92:                              ;   in Loop: Header=BB89_86 Depth=1
	v_mov_b32_e32 v4, 1
	s_andn2_b32 vcc_lo, exec_lo, s5
	s_cbranch_vccnz .LBB89_95
; %bb.93:                               ;   in Loop: Header=BB89_86 Depth=1
	v_mov_b32_e32 v9, v8
	s_mov_b32 s0, s19
.LBB89_94:                              ;   Parent Loop BB89_86 Depth=1
                                        ; =>  This Inner Loop Header: Depth=2
	s_bitcmp1_b32 s0, 0
	s_sext_i32_i16 s9, s0
	s_cselect_b32 vcc_lo, -1, 0
	s_and_b32 s0, 0xffff, s0
	v_cndmask_b32_e32 v10, 1, v9, vcc_lo
	v_mul_lo_u16 v9, v9, v9
	s_lshr_b32 s0, s0, 1
	s_cmp_lt_i32 s9, 2
	v_mul_lo_u16 v4, v10, v4
	s_cbranch_scc0 .LBB89_94
.LBB89_95:                              ;   in Loop: Header=BB89_86 Depth=1
	s_cbranch_execz .LBB89_117
.LBB89_96:                              ;   in Loop: Header=BB89_86 Depth=1
	v_mov_b32_e32 v9, v5
	s_andn2_b32 vcc_lo, exec_lo, s4
	s_mov_b32 s0, -1
                                        ; implicit-def: $vgpr8
	s_cbranch_vccnz .LBB89_126
.LBB89_97:                              ;   in Loop: Header=BB89_86 Depth=1
	v_mov_b32_e32 v8, 1
	s_andn2_b32 vcc_lo, exec_lo, s5
	s_cbranch_vccnz .LBB89_100
; %bb.98:                               ;   in Loop: Header=BB89_86 Depth=1
	v_mov_b32_e32 v10, v9
	s_mov_b32 s0, s19
.LBB89_99:                              ;   Parent Loop BB89_86 Depth=1
                                        ; =>  This Inner Loop Header: Depth=2
	s_bitcmp1_b32 s0, 0
	s_sext_i32_i16 s9, s0
	s_cselect_b32 vcc_lo, -1, 0
	s_and_b32 s0, 0xffff, s0
	v_cndmask_b32_e32 v11, 1, v10, vcc_lo
	v_mul_lo_u16 v10, v10, v10
	s_lshr_b32 s0, s0, 1
	s_cmp_lt_i32 s9, 2
	v_mul_lo_u16 v8, v11, v8
	s_cbranch_scc0 .LBB89_99
.LBB89_100:                             ;   in Loop: Header=BB89_86 Depth=1
	s_cbranch_execz .LBB89_127
.LBB89_101:                             ;   in Loop: Header=BB89_86 Depth=1
	v_lshrrev_b32_e32 v5, 16, v5
	s_andn2_b32 vcc_lo, exec_lo, s4
	s_mov_b32 s0, -1
                                        ; implicit-def: $vgpr9
	s_cbranch_vccnz .LBB89_136
.LBB89_102:                             ;   in Loop: Header=BB89_86 Depth=1
	v_mov_b32_e32 v9, 1
	s_andn2_b32 vcc_lo, exec_lo, s5
	s_cbranch_vccnz .LBB89_105
; %bb.103:                              ;   in Loop: Header=BB89_86 Depth=1
	v_mov_b32_e32 v10, v5
	s_mov_b32 s0, s19
.LBB89_104:                             ;   Parent Loop BB89_86 Depth=1
                                        ; =>  This Inner Loop Header: Depth=2
	s_bitcmp1_b32 s0, 0
	s_sext_i32_i16 s9, s0
	s_cselect_b32 vcc_lo, -1, 0
	s_and_b32 s0, 0xffff, s0
	v_cndmask_b32_e32 v11, 1, v10, vcc_lo
	v_mul_lo_u16 v10, v10, v10
	s_lshr_b32 s0, s0, 1
	s_cmp_lt_i32 s9, 2
	v_mul_lo_u16 v9, v11, v9
	s_cbranch_scc0 .LBB89_104
.LBB89_105:                             ;   in Loop: Header=BB89_86 Depth=1
	s_cbranch_execnz .LBB89_85
	s_branch .LBB89_137
.LBB89_106:                             ;   in Loop: Header=BB89_86 Depth=1
	s_andn2_b32 vcc_lo, exec_lo, s9
	s_cbranch_vccnz .LBB89_91
.LBB89_107:                             ;   in Loop: Header=BB89_86 Depth=1
	s_mov_b32 s0, 0
	s_mov_b32 s9, 0
	s_mov_b32 s10, exec_lo
	s_waitcnt vmcnt(0)
	v_cmpx_lt_i16_e32 0, v4
	s_xor_b32 s10, exec_lo, s10
; %bb.108:                              ;   in Loop: Header=BB89_86 Depth=1
	v_cmp_ne_u16_e32 vcc_lo, 1, v4
	s_and_b32 s9, vcc_lo, exec_lo
; %bb.109:                              ;   in Loop: Header=BB89_86 Depth=1
	s_andn2_saveexec_b32 s10, s10
; %bb.110:                              ;   in Loop: Header=BB89_86 Depth=1
	v_cmp_ne_u16_e32 vcc_lo, -1, v4
	s_andn2_b32 s9, s9, exec_lo
	s_mov_b32 s0, exec_lo
	s_and_b32 s11, vcc_lo, exec_lo
	s_or_b32 s9, s9, s11
; %bb.111:                              ;   in Loop: Header=BB89_86 Depth=1
	s_or_b32 exec_lo, exec_lo, s10
	v_mov_b32_e32 v7, v4
	s_and_saveexec_b32 s10, s9
	s_xor_b32 s9, exec_lo, s10
; %bb.112:                              ;   in Loop: Header=BB89_86 Depth=1
	v_mov_b32_e32 v7, 0
	s_andn2_b32 s0, s0, exec_lo
; %bb.113:                              ;   in Loop: Header=BB89_86 Depth=1
	s_or_b32 exec_lo, exec_lo, s9
	s_and_saveexec_b32 s9, s0
; %bb.114:                              ;   in Loop: Header=BB89_86 Depth=1
	v_mov_b32_e32 v7, s6
; %bb.115:                              ;   in Loop: Header=BB89_86 Depth=1
	s_or_b32 exec_lo, exec_lo, s9
	v_lshrrev_b32_e32 v8, 16, v4
	s_andn2_b32 vcc_lo, exec_lo, s4
	s_mov_b32 s0, -1
                                        ; implicit-def: $vgpr4
	s_cbranch_vccz .LBB89_92
.LBB89_116:                             ;   in Loop: Header=BB89_86 Depth=1
	s_andn2_b32 vcc_lo, exec_lo, s0
	s_cbranch_vccnz .LBB89_96
.LBB89_117:                             ;   in Loop: Header=BB89_86 Depth=1
	s_mov_b32 s0, 0
	s_mov_b32 s9, 0
	s_mov_b32 s10, exec_lo
	v_cmpx_lt_i16_e32 0, v8
	s_xor_b32 s10, exec_lo, s10
	s_cbranch_execz .LBB89_121
; %bb.118:                              ;   in Loop: Header=BB89_86 Depth=1
	v_cmp_ne_u16_e32 vcc_lo, 1, v8
	s_and_b32 s9, vcc_lo, exec_lo
	s_andn2_saveexec_b32 s10, s10
	s_cbranch_execnz .LBB89_122
.LBB89_119:                             ;   in Loop: Header=BB89_86 Depth=1
	s_or_b32 exec_lo, exec_lo, s10
	s_and_saveexec_b32 s10, s9
	s_xor_b32 s9, exec_lo, s10
	s_cbranch_execz .LBB89_123
.LBB89_120:                             ;   in Loop: Header=BB89_86 Depth=1
	v_mov_b32_e32 v8, 0
	s_andn2_b32 s0, s0, exec_lo
	s_or_b32 exec_lo, exec_lo, s9
	s_and_saveexec_b32 s9, s0
	s_cbranch_execnz .LBB89_124
	s_branch .LBB89_125
.LBB89_121:                             ;   in Loop: Header=BB89_86 Depth=1
	s_andn2_saveexec_b32 s10, s10
	s_cbranch_execz .LBB89_119
.LBB89_122:                             ;   in Loop: Header=BB89_86 Depth=1
	v_cmp_ne_u16_e32 vcc_lo, -1, v8
	s_andn2_b32 s9, s9, exec_lo
	s_mov_b32 s0, exec_lo
	s_and_b32 s11, vcc_lo, exec_lo
	s_or_b32 s9, s9, s11
	s_or_b32 exec_lo, exec_lo, s10
	s_and_saveexec_b32 s10, s9
	s_xor_b32 s9, exec_lo, s10
	s_cbranch_execnz .LBB89_120
.LBB89_123:                             ;   in Loop: Header=BB89_86 Depth=1
	s_or_b32 exec_lo, exec_lo, s9
	s_and_saveexec_b32 s9, s0
.LBB89_124:                             ;   in Loop: Header=BB89_86 Depth=1
	v_mov_b32_e32 v8, s6
.LBB89_125:                             ;   in Loop: Header=BB89_86 Depth=1
	s_or_b32 exec_lo, exec_lo, s9
	v_mov_b32_e32 v4, v8
	v_mov_b32_e32 v9, v5
	s_andn2_b32 vcc_lo, exec_lo, s4
	s_mov_b32 s0, -1
                                        ; implicit-def: $vgpr8
	s_cbranch_vccz .LBB89_97
.LBB89_126:                             ;   in Loop: Header=BB89_86 Depth=1
	s_andn2_b32 vcc_lo, exec_lo, s0
	s_cbranch_vccnz .LBB89_101
.LBB89_127:                             ;   in Loop: Header=BB89_86 Depth=1
	s_mov_b32 s0, 0
	s_mov_b32 s9, 0
	s_mov_b32 s10, exec_lo
	v_cmpx_lt_i16_e32 0, v5
	s_xor_b32 s10, exec_lo, s10
	s_cbranch_execz .LBB89_131
; %bb.128:                              ;   in Loop: Header=BB89_86 Depth=1
	v_cmp_ne_u16_e32 vcc_lo, 1, v5
	s_and_b32 s9, vcc_lo, exec_lo
	s_andn2_saveexec_b32 s10, s10
	s_cbranch_execnz .LBB89_132
.LBB89_129:                             ;   in Loop: Header=BB89_86 Depth=1
	s_or_b32 exec_lo, exec_lo, s10
	s_and_saveexec_b32 s10, s9
	s_xor_b32 s9, exec_lo, s10
	s_cbranch_execz .LBB89_133
.LBB89_130:                             ;   in Loop: Header=BB89_86 Depth=1
	v_mov_b32_e32 v9, 0
	s_andn2_b32 s0, s0, exec_lo
	s_or_b32 exec_lo, exec_lo, s9
	s_and_saveexec_b32 s9, s0
	s_cbranch_execnz .LBB89_134
	s_branch .LBB89_135
.LBB89_131:                             ;   in Loop: Header=BB89_86 Depth=1
	s_andn2_saveexec_b32 s10, s10
	s_cbranch_execz .LBB89_129
.LBB89_132:                             ;   in Loop: Header=BB89_86 Depth=1
	v_cmp_ne_u16_e32 vcc_lo, -1, v5
	s_andn2_b32 s9, s9, exec_lo
	s_mov_b32 s0, exec_lo
	s_and_b32 s11, vcc_lo, exec_lo
	s_or_b32 s9, s9, s11
	s_or_b32 exec_lo, exec_lo, s10
	s_and_saveexec_b32 s10, s9
	s_xor_b32 s9, exec_lo, s10
	s_cbranch_execnz .LBB89_130
.LBB89_133:                             ;   in Loop: Header=BB89_86 Depth=1
	s_or_b32 exec_lo, exec_lo, s9
	s_and_saveexec_b32 s9, s0
.LBB89_134:                             ;   in Loop: Header=BB89_86 Depth=1
	v_mov_b32_e32 v9, s6
.LBB89_135:                             ;   in Loop: Header=BB89_86 Depth=1
	s_or_b32 exec_lo, exec_lo, s9
	v_mov_b32_e32 v8, v9
	v_lshrrev_b32_e32 v5, 16, v5
	s_andn2_b32 vcc_lo, exec_lo, s4
	s_mov_b32 s0, -1
                                        ; implicit-def: $vgpr9
	s_cbranch_vccz .LBB89_102
.LBB89_136:                             ;   in Loop: Header=BB89_86 Depth=1
	s_andn2_b32 vcc_lo, exec_lo, s0
	s_cbranch_vccnz .LBB89_85
.LBB89_137:                             ;   in Loop: Header=BB89_86 Depth=1
	s_mov_b32 s0, 0
	s_mov_b32 s9, 0
	s_mov_b32 s10, exec_lo
	v_cmpx_lt_i16_e32 0, v5
	s_xor_b32 s10, exec_lo, s10
	s_cbranch_execz .LBB89_141
; %bb.138:                              ;   in Loop: Header=BB89_86 Depth=1
	v_cmp_ne_u16_e32 vcc_lo, 1, v5
	s_and_b32 s9, vcc_lo, exec_lo
	s_andn2_saveexec_b32 s10, s10
	s_cbranch_execnz .LBB89_142
.LBB89_139:                             ;   in Loop: Header=BB89_86 Depth=1
	s_or_b32 exec_lo, exec_lo, s10
	s_and_saveexec_b32 s10, s9
	s_xor_b32 s9, exec_lo, s10
	s_cbranch_execz .LBB89_143
.LBB89_140:                             ;   in Loop: Header=BB89_86 Depth=1
	v_mov_b32_e32 v5, 0
	s_andn2_b32 s0, s0, exec_lo
	s_or_b32 exec_lo, exec_lo, s9
	s_and_saveexec_b32 s9, s0
	s_cbranch_execz .LBB89_84
	s_branch .LBB89_144
.LBB89_141:                             ;   in Loop: Header=BB89_86 Depth=1
	s_andn2_saveexec_b32 s10, s10
	s_cbranch_execz .LBB89_139
.LBB89_142:                             ;   in Loop: Header=BB89_86 Depth=1
	v_cmp_ne_u16_e32 vcc_lo, -1, v5
	s_andn2_b32 s9, s9, exec_lo
	s_mov_b32 s0, exec_lo
	s_and_b32 s11, vcc_lo, exec_lo
	s_or_b32 s9, s9, s11
	s_or_b32 exec_lo, exec_lo, s10
	s_and_saveexec_b32 s10, s9
	s_xor_b32 s9, exec_lo, s10
	s_cbranch_execnz .LBB89_140
.LBB89_143:                             ;   in Loop: Header=BB89_86 Depth=1
	s_or_b32 exec_lo, exec_lo, s9
	s_and_saveexec_b32 s9, s0
	s_cbranch_execz .LBB89_84
.LBB89_144:                             ;   in Loop: Header=BB89_86 Depth=1
	v_mov_b32_e32 v5, s6
	s_branch .LBB89_84
.LBB89_145:
	s_endpgm
	.section	.rodata,"a",@progbits
	.p2align	6, 0x0
	.amdhsa_kernel _ZN2at6native12_GLOBAL__N_125multi_tensor_apply_kernelINS1_28TensorListScalarListMetadataIsLi2EEENS1_25BinaryOpScalarListFunctorIsLi2ELi1ELi1EEEJNS1_13power_functorIsEEEEEvT_T0_DpT1_
		.amdhsa_group_segment_fixed_size 0
		.amdhsa_private_segment_fixed_size 0
		.amdhsa_kernarg_size 3528
		.amdhsa_user_sgpr_count 6
		.amdhsa_user_sgpr_private_segment_buffer 1
		.amdhsa_user_sgpr_dispatch_ptr 0
		.amdhsa_user_sgpr_queue_ptr 0
		.amdhsa_user_sgpr_kernarg_segment_ptr 1
		.amdhsa_user_sgpr_dispatch_id 0
		.amdhsa_user_sgpr_flat_scratch_init 0
		.amdhsa_user_sgpr_private_segment_size 0
		.amdhsa_wavefront_size32 1
		.amdhsa_uses_dynamic_stack 0
		.amdhsa_system_sgpr_private_segment_wavefront_offset 0
		.amdhsa_system_sgpr_workgroup_id_x 1
		.amdhsa_system_sgpr_workgroup_id_y 0
		.amdhsa_system_sgpr_workgroup_id_z 0
		.amdhsa_system_sgpr_workgroup_info 0
		.amdhsa_system_vgpr_workitem_id 0
		.amdhsa_next_free_vgpr 17
		.amdhsa_next_free_sgpr 30
		.amdhsa_reserve_vcc 1
		.amdhsa_reserve_flat_scratch 0
		.amdhsa_float_round_mode_32 0
		.amdhsa_float_round_mode_16_64 0
		.amdhsa_float_denorm_mode_32 3
		.amdhsa_float_denorm_mode_16_64 3
		.amdhsa_dx10_clamp 1
		.amdhsa_ieee_mode 1
		.amdhsa_fp16_overflow 0
		.amdhsa_workgroup_processor_mode 1
		.amdhsa_memory_ordered 1
		.amdhsa_forward_progress 1
		.amdhsa_shared_vgpr_count 0
		.amdhsa_exception_fp_ieee_invalid_op 0
		.amdhsa_exception_fp_denorm_src 0
		.amdhsa_exception_fp_ieee_div_zero 0
		.amdhsa_exception_fp_ieee_overflow 0
		.amdhsa_exception_fp_ieee_underflow 0
		.amdhsa_exception_fp_ieee_inexact 0
		.amdhsa_exception_int_div_zero 0
	.end_amdhsa_kernel
	.section	.text._ZN2at6native12_GLOBAL__N_125multi_tensor_apply_kernelINS1_28TensorListScalarListMetadataIsLi2EEENS1_25BinaryOpScalarListFunctorIsLi2ELi1ELi1EEEJNS1_13power_functorIsEEEEEvT_T0_DpT1_,"axG",@progbits,_ZN2at6native12_GLOBAL__N_125multi_tensor_apply_kernelINS1_28TensorListScalarListMetadataIsLi2EEENS1_25BinaryOpScalarListFunctorIsLi2ELi1ELi1EEEJNS1_13power_functorIsEEEEEvT_T0_DpT1_,comdat
.Lfunc_end89:
	.size	_ZN2at6native12_GLOBAL__N_125multi_tensor_apply_kernelINS1_28TensorListScalarListMetadataIsLi2EEENS1_25BinaryOpScalarListFunctorIsLi2ELi1ELi1EEEJNS1_13power_functorIsEEEEEvT_T0_DpT1_, .Lfunc_end89-_ZN2at6native12_GLOBAL__N_125multi_tensor_apply_kernelINS1_28TensorListScalarListMetadataIsLi2EEENS1_25BinaryOpScalarListFunctorIsLi2ELi1ELi1EEEJNS1_13power_functorIsEEEEEvT_T0_DpT1_
                                        ; -- End function
	.set _ZN2at6native12_GLOBAL__N_125multi_tensor_apply_kernelINS1_28TensorListScalarListMetadataIsLi2EEENS1_25BinaryOpScalarListFunctorIsLi2ELi1ELi1EEEJNS1_13power_functorIsEEEEEvT_T0_DpT1_.num_vgpr, 17
	.set _ZN2at6native12_GLOBAL__N_125multi_tensor_apply_kernelINS1_28TensorListScalarListMetadataIsLi2EEENS1_25BinaryOpScalarListFunctorIsLi2ELi1ELi1EEEJNS1_13power_functorIsEEEEEvT_T0_DpT1_.num_agpr, 0
	.set _ZN2at6native12_GLOBAL__N_125multi_tensor_apply_kernelINS1_28TensorListScalarListMetadataIsLi2EEENS1_25BinaryOpScalarListFunctorIsLi2ELi1ELi1EEEJNS1_13power_functorIsEEEEEvT_T0_DpT1_.numbered_sgpr, 30
	.set _ZN2at6native12_GLOBAL__N_125multi_tensor_apply_kernelINS1_28TensorListScalarListMetadataIsLi2EEENS1_25BinaryOpScalarListFunctorIsLi2ELi1ELi1EEEJNS1_13power_functorIsEEEEEvT_T0_DpT1_.num_named_barrier, 0
	.set _ZN2at6native12_GLOBAL__N_125multi_tensor_apply_kernelINS1_28TensorListScalarListMetadataIsLi2EEENS1_25BinaryOpScalarListFunctorIsLi2ELi1ELi1EEEJNS1_13power_functorIsEEEEEvT_T0_DpT1_.private_seg_size, 0
	.set _ZN2at6native12_GLOBAL__N_125multi_tensor_apply_kernelINS1_28TensorListScalarListMetadataIsLi2EEENS1_25BinaryOpScalarListFunctorIsLi2ELi1ELi1EEEJNS1_13power_functorIsEEEEEvT_T0_DpT1_.uses_vcc, 1
	.set _ZN2at6native12_GLOBAL__N_125multi_tensor_apply_kernelINS1_28TensorListScalarListMetadataIsLi2EEENS1_25BinaryOpScalarListFunctorIsLi2ELi1ELi1EEEJNS1_13power_functorIsEEEEEvT_T0_DpT1_.uses_flat_scratch, 0
	.set _ZN2at6native12_GLOBAL__N_125multi_tensor_apply_kernelINS1_28TensorListScalarListMetadataIsLi2EEENS1_25BinaryOpScalarListFunctorIsLi2ELi1ELi1EEEJNS1_13power_functorIsEEEEEvT_T0_DpT1_.has_dyn_sized_stack, 0
	.set _ZN2at6native12_GLOBAL__N_125multi_tensor_apply_kernelINS1_28TensorListScalarListMetadataIsLi2EEENS1_25BinaryOpScalarListFunctorIsLi2ELi1ELi1EEEJNS1_13power_functorIsEEEEEvT_T0_DpT1_.has_recursion, 0
	.set _ZN2at6native12_GLOBAL__N_125multi_tensor_apply_kernelINS1_28TensorListScalarListMetadataIsLi2EEENS1_25BinaryOpScalarListFunctorIsLi2ELi1ELi1EEEJNS1_13power_functorIsEEEEEvT_T0_DpT1_.has_indirect_call, 0
	.section	.AMDGPU.csdata,"",@progbits
; Kernel info:
; codeLenInByte = 3224
; TotalNumSgprs: 32
; NumVgprs: 17
; ScratchSize: 0
; MemoryBound: 0
; FloatMode: 240
; IeeeMode: 1
; LDSByteSize: 0 bytes/workgroup (compile time only)
; SGPRBlocks: 0
; VGPRBlocks: 2
; NumSGPRsForWavesPerEU: 32
; NumVGPRsForWavesPerEU: 17
; Occupancy: 16
; WaveLimiterHint : 0
; COMPUTE_PGM_RSRC2:SCRATCH_EN: 0
; COMPUTE_PGM_RSRC2:USER_SGPR: 6
; COMPUTE_PGM_RSRC2:TRAP_HANDLER: 0
; COMPUTE_PGM_RSRC2:TGID_X_EN: 1
; COMPUTE_PGM_RSRC2:TGID_Y_EN: 0
; COMPUTE_PGM_RSRC2:TGID_Z_EN: 0
; COMPUTE_PGM_RSRC2:TIDIG_COMP_CNT: 0
	.section	.text._ZN2at6native12_GLOBAL__N_125multi_tensor_apply_kernelINS1_28TensorListScalarListMetadataIdLi2EEENS1_25BinaryOpScalarListFunctorIdLi2ELi1ELi1EEEJNS1_13power_functorIdEEEEEvT_T0_DpT1_,"axG",@progbits,_ZN2at6native12_GLOBAL__N_125multi_tensor_apply_kernelINS1_28TensorListScalarListMetadataIdLi2EEENS1_25BinaryOpScalarListFunctorIdLi2ELi1ELi1EEEJNS1_13power_functorIdEEEEEvT_T0_DpT1_,comdat
	.globl	_ZN2at6native12_GLOBAL__N_125multi_tensor_apply_kernelINS1_28TensorListScalarListMetadataIdLi2EEENS1_25BinaryOpScalarListFunctorIdLi2ELi1ELi1EEEJNS1_13power_functorIdEEEEEvT_T0_DpT1_ ; -- Begin function _ZN2at6native12_GLOBAL__N_125multi_tensor_apply_kernelINS1_28TensorListScalarListMetadataIdLi2EEENS1_25BinaryOpScalarListFunctorIdLi2ELi1ELi1EEEJNS1_13power_functorIdEEEEEvT_T0_DpT1_
	.p2align	8
	.type	_ZN2at6native12_GLOBAL__N_125multi_tensor_apply_kernelINS1_28TensorListScalarListMetadataIdLi2EEENS1_25BinaryOpScalarListFunctorIdLi2ELi1ELi1EEEJNS1_13power_functorIdEEEEEvT_T0_DpT1_,@function
_ZN2at6native12_GLOBAL__N_125multi_tensor_apply_kernelINS1_28TensorListScalarListMetadataIdLi2EEENS1_25BinaryOpScalarListFunctorIdLi2ELi1ELi1EEEJNS1_13power_functorIdEEEEEvT_T0_DpT1_: ; @_ZN2at6native12_GLOBAL__N_125multi_tensor_apply_kernelINS1_28TensorListScalarListMetadataIdLi2EEENS1_25BinaryOpScalarListFunctorIdLi2ELi1ELi1EEEJNS1_13power_functorIdEEEEEvT_T0_DpT1_
; %bb.0:
	v_mov_b32_e32 v1, 0x800
	s_add_u32 s0, s4, s6
	s_addc_u32 s1, s5, 0
	s_mov_b32 s7, 0
	s_mov_b32 s13, s7
	global_load_ubyte v1, v1, s[0:1]
	s_lshl_b64 s[0:1], s[6:7], 2
	s_add_u32 s0, s4, s0
	s_addc_u32 s1, s5, s1
	s_load_dword s0, s[0:1], 0x940
	s_waitcnt vmcnt(0)
	v_lshlrev_b32_e32 v1, 3, v1
	v_readfirstlane_b32 s1, v1
	s_clause 0x3
	s_load_dwordx2 s[16:17], s[4:5], s1 offset:0x0
	s_load_dwordx2 s[18:19], s[4:5], s1 offset:0x600
	;; [unrolled: 1-line block ×4, first 2 shown]
	s_waitcnt lgkmcnt(0)
	s_ashr_i32 s1, s0, 31
	s_lshl_b64 s[8:9], s[0:1], 19
	s_lshl_b64 s[0:1], s[0:1], 16
	s_add_u32 s6, s16, s8
	s_and_b32 s12, s20, 31
	s_and_b32 s6, s6, 31
	s_sub_u32 s10, s2, s0
	s_subb_u32 s11, s3, s1
	s_and_b32 s0, s2, 3
	s_mov_b32 s1, s7
	s_or_b64 s[0:1], s[12:13], s[0:1]
	s_or_b64 s[0:1], s[0:1], s[6:7]
	s_cmp_eq_u64 s[0:1], 0
	s_mov_b32 s0, -1
	s_cbranch_scc1 .LBB90_21
; %bb.1:
	v_cmp_lt_i64_e64 s0, s[10:11], 1
	s_and_b32 vcc_lo, exec_lo, s0
	s_cbranch_vccnz .LBB90_20
; %bb.2:
	s_load_dword s0, s[4:5], 0xe54
	v_cmp_gt_i64_e64 s1, 0x10000, s[10:11]
	v_lshlrev_b32_e32 v1, 3, v0
	v_mov_b32_e32 v2, 0
	v_cmp_gt_u64_e64 s2, 0x10000, s[10:11]
	s_mov_b32 s24, 0x55555555
	s_mov_b32 s26, 0xfefa39ef
	s_and_b32 s1, s1, exec_lo
	s_cselect_b32 s13, s11, 0
	s_cselect_b32 s12, s10, 0x10000
	v_add_co_u32 v9, s3, s16, v1
	v_add_co_ci_u32_e64 v10, null, s17, 0, s3
	v_add_co_u32 v11, s3, s20, v1
	v_add_co_ci_u32_e64 v12, null, s21, 0, s3
	s_mov_b32 s28, 0x3b39803f
	s_mov_b32 s30, 0x968915a9
	s_waitcnt lgkmcnt(0)
	s_and_b32 s0, s0, 0xffff
	s_and_b32 s1, s2, exec_lo
	v_mad_u64_u32 v[2:3], null, s0, 24, v[1:2]
	s_cselect_b32 s15, s11, 0
	s_cselect_b32 s14, s10, 0x10000
	s_lshl_b32 s3, s0, 4
	s_lshl_b32 s1, s0, 1
	v_add_co_u32 v1, s3, s3, v1
	v_add_co_u32 v13, vcc_lo, s16, v2
	s_mul_i32 s2, s0, 3
	s_lshl_b32 s33, s0, 2
	s_lshl_b32 s80, s0, 5
	v_add_co_ci_u32_e64 v14, null, s17, v3, vcc_lo
	v_add_co_u32 v15, vcc_lo, s20, v2
	v_add_co_ci_u32_e64 v2, null, 0, 0, s3
	v_add_co_u32 v21, s0, v0, s0
	v_add_co_ci_u32_e64 v16, null, s21, v3, vcc_lo
	v_add_co_u32 v19, vcc_lo, s16, v1
	v_add_co_ci_u32_e64 v20, null, s17, v2, vcc_lo
	v_add_co_u32 v22, vcc_lo, s20, v1
	v_lshlrev_b32_e32 v1, 3, v21
	v_add_co_ci_u32_e64 v24, null, 0, 0, s0
	v_add_co_u32 v25, s0, s1, v0
	v_add_co_ci_u32_e64 v26, null, 0, 0, s0
	v_add_co_u32 v27, s0, s16, v1
	v_add_co_u32 v17, s2, s2, v0
	v_add_co_ci_u32_e64 v28, null, s17, 0, s0
	v_add_co_u32 v29, s0, s20, v1
	v_add_co_ci_u32_e64 v18, null, 0, 0, s2
	v_add_co_ci_u32_e64 v23, null, s21, v2, vcc_lo
	v_add_co_ci_u32_e64 v30, null, s21, 0, s0
	s_mov_b32 s34, 0x4222de17
	s_mov_b32 s36, 0x3abe935a
	;; [unrolled: 1-line block ×20, first 2 shown]
	s_mov_b64 s[22:23], 0
	s_mov_b32 s25, 0x3fe55555
	s_mov_b32 s27, 0x3fe62e42
	;; [unrolled: 1-line block ×27, first 2 shown]
	s_branch .LBB90_4
.LBB90_3:                               ;   in Loop: Header=BB90_4 Depth=1
	s_or_b32 exec_lo, exec_lo, s6
	v_add_co_u32 v9, vcc_lo, v9, s80
	v_add_co_ci_u32_e64 v10, null, 0, v10, vcc_lo
	v_add_co_u32 v11, vcc_lo, v11, s80
	v_add_co_ci_u32_e64 v12, null, 0, v12, vcc_lo
	;; [unrolled: 2-line block ×4, first 2 shown]
	v_add_co_u32 v19, vcc_lo, v19, s80
	s_add_u32 s22, s22, s33
	v_add_co_ci_u32_e64 v20, null, 0, v20, vcc_lo
	v_add_co_u32 v22, vcc_lo, v22, s80
	s_addc_u32 s23, s23, 0
	v_add_co_ci_u32_e64 v23, null, 0, v23, vcc_lo
	v_add_co_u32 v27, vcc_lo, v27, s80
	v_cmp_lt_i64_e64 s0, s[22:23], s[12:13]
	v_add_co_ci_u32_e64 v28, null, 0, v28, vcc_lo
	v_add_co_u32 v29, vcc_lo, v29, s80
	v_add_co_ci_u32_e64 v30, null, 0, v30, vcc_lo
	s_and_b32 vcc_lo, exec_lo, s0
	s_cbranch_vccz .LBB90_20
.LBB90_4:                               ; =>This Inner Loop Header: Depth=1
	s_waitcnt vmcnt(0)
	v_add_co_u32 v1, s0, v0, s22
	v_add_co_ci_u32_e64 v2, null, 0, s23, s0
	v_mov_b32_e32 v5, 0
	v_mov_b32_e32 v7, 0
	;; [unrolled: 1-line block ×3, first 2 shown]
	v_cmp_gt_u64_e64 s2, s[14:15], v[1:2]
	v_mov_b32_e32 v8, 0
	s_and_saveexec_b32 s0, s2
	s_cbranch_execz .LBB90_6
; %bb.5:                                ;   in Loop: Header=BB90_4 Depth=1
	v_add_co_u32 v1, vcc_lo, v9, s8
	v_add_co_ci_u32_e64 v2, null, s9, v10, vcc_lo
	global_load_dwordx2 v[7:8], v[1:2], off
.LBB90_6:                               ;   in Loop: Header=BB90_4 Depth=1
	s_or_b32 exec_lo, exec_lo, s0
	v_add_co_u32 v1, vcc_lo, v21, s22
	v_add_co_ci_u32_e64 v2, null, s23, v24, vcc_lo
	v_cmp_gt_u64_e64 s1, s[14:15], v[1:2]
	s_and_saveexec_b32 s0, s1
	s_cbranch_execz .LBB90_8
; %bb.7:                                ;   in Loop: Header=BB90_4 Depth=1
	v_add_co_u32 v1, vcc_lo, v27, s8
	v_add_co_ci_u32_e64 v2, null, s9, v28, vcc_lo
	global_load_dwordx2 v[5:6], v[1:2], off
.LBB90_8:                               ;   in Loop: Header=BB90_4 Depth=1
	s_or_b32 exec_lo, exec_lo, s0
	v_add_co_u32 v3, vcc_lo, v25, s22
	v_add_co_ci_u32_e64 v4, null, s23, v26, vcc_lo
	v_mov_b32_e32 v1, 0
	v_mov_b32_e32 v2, 0
	v_cmp_gt_u64_e64 s0, s[14:15], v[3:4]
	v_mov_b32_e32 v3, 0
	v_mov_b32_e32 v4, 0
	s_and_saveexec_b32 s3, s0
	s_cbranch_execz .LBB90_10
; %bb.9:                                ;   in Loop: Header=BB90_4 Depth=1
	v_add_co_u32 v3, vcc_lo, v19, s8
	v_add_co_ci_u32_e64 v4, null, s9, v20, vcc_lo
	global_load_dwordx2 v[3:4], v[3:4], off
.LBB90_10:                              ;   in Loop: Header=BB90_4 Depth=1
	s_or_b32 exec_lo, exec_lo, s3
	v_add_co_u32 v31, vcc_lo, v17, s22
	v_add_co_ci_u32_e64 v32, null, s23, v18, vcc_lo
	v_cmp_gt_u64_e32 vcc_lo, s[14:15], v[31:32]
	s_and_saveexec_b32 s6, vcc_lo
	s_cbranch_execnz .LBB90_15
; %bb.11:                               ;   in Loop: Header=BB90_4 Depth=1
	s_or_b32 exec_lo, exec_lo, s6
	s_and_saveexec_b32 s81, s2
	s_cbranch_execnz .LBB90_16
.LBB90_12:                              ;   in Loop: Header=BB90_4 Depth=1
	s_or_b32 exec_lo, exec_lo, s81
	s_and_saveexec_b32 s81, s1
	s_cbranch_execnz .LBB90_17
.LBB90_13:                              ;   in Loop: Header=BB90_4 Depth=1
	s_or_b32 exec_lo, exec_lo, s81
	s_and_saveexec_b32 s7, s0
	s_cbranch_execnz .LBB90_18
.LBB90_14:                              ;   in Loop: Header=BB90_4 Depth=1
	s_or_b32 exec_lo, exec_lo, s7
	s_and_saveexec_b32 s6, vcc_lo
	s_cbranch_execz .LBB90_3
	s_branch .LBB90_19
.LBB90_15:                              ;   in Loop: Header=BB90_4 Depth=1
	v_add_co_u32 v1, s3, v13, s8
	v_add_co_ci_u32_e64 v2, null, s9, v14, s3
	global_load_dwordx2 v[1:2], v[1:2], off
	s_or_b32 exec_lo, exec_lo, s6
	s_and_saveexec_b32 s81, s2
	s_cbranch_execz .LBB90_12
.LBB90_16:                              ;   in Loop: Header=BB90_4 Depth=1
	s_waitcnt vmcnt(0)
	v_cmp_neq_f64_e64 s2, 1.0, v[7:8]
	v_mov_b32_e32 v31, s19
	s_mov_b32 s52, s24
	s_mov_b32 s56, s26
	;; [unrolled: 1-line block ×3, first 2 shown]
	v_cndmask_b32_e64 v32, 0x3ff00000, v31, s2
	v_cndmask_b32_e64 v31, 0, s18, s2
	v_cmp_neq_f64_e64 s2, 0, v[31:32]
	v_cmp_neq_f64_e64 s7, v[31:32], |v[31:32]|
	v_cndmask_b32_e64 v8, 0x3ff00000, v8, s2
	v_cndmask_b32_e64 v7, 0, v7, s2
	v_frexp_mant_f64_e64 v[33:34], |v[7:8]|
	v_frexp_exp_i32_f64_e32 v35, v[7:8]
	v_cmp_gt_f64_e64 s2, s[24:25], v[33:34]
	v_subrev_co_ci_u32_e64 v53, null, 0, v35, s2
	v_cndmask_b32_e64 v35, 0, 1, s2
	v_ldexp_f64 v[33:34], v[33:34], v35
	v_add_f64 v[35:36], v[33:34], 1.0
	v_add_f64 v[41:42], v[33:34], -1.0
	v_rcp_f64_e32 v[37:38], v[35:36]
	v_add_f64 v[43:44], v[35:36], -1.0
	v_add_f64 v[33:34], v[33:34], -v[43:44]
	v_fma_f64 v[39:40], -v[35:36], v[37:38], 1.0
	v_fma_f64 v[37:38], v[39:40], v[37:38], v[37:38]
	v_fma_f64 v[39:40], -v[35:36], v[37:38], 1.0
	v_fma_f64 v[37:38], v[39:40], v[37:38], v[37:38]
	v_mul_f64 v[39:40], v[41:42], v[37:38]
	v_mul_f64 v[45:46], v[35:36], v[39:40]
	v_fma_f64 v[35:36], v[39:40], v[35:36], -v[45:46]
	v_fma_f64 v[33:34], v[39:40], v[33:34], v[35:36]
	v_add_f64 v[35:36], v[45:46], v[33:34]
	v_add_f64 v[43:44], v[41:42], -v[35:36]
	v_add_f64 v[45:46], v[35:36], -v[45:46]
	;; [unrolled: 1-line block ×5, first 2 shown]
	v_add_f64 v[33:34], v[33:34], v[35:36]
	v_add_f64 v[33:34], v[43:44], v[33:34]
	v_mul_f64 v[33:34], v[37:38], v[33:34]
	v_add_f64 v[35:36], v[39:40], v[33:34]
	v_add_f64 v[37:38], v[35:36], -v[39:40]
	v_mul_f64 v[39:40], v[35:36], v[35:36]
	v_add_f64 v[33:34], v[33:34], -v[37:38]
	v_fma_f64 v[37:38], v[35:36], v[35:36], -v[39:40]
	v_add_f64 v[41:42], v[33:34], v[33:34]
	v_fma_f64 v[37:38], v[35:36], v[41:42], v[37:38]
	v_add_f64 v[41:42], v[39:40], v[37:38]
	v_fma_f64 v[43:44], v[41:42], s[34:35], s[30:31]
	v_add_f64 v[39:40], v[41:42], -v[39:40]
	v_mul_f64 v[49:50], v[35:36], v[41:42]
	v_fma_f64 v[43:44], v[41:42], v[43:44], s[36:37]
	v_add_f64 v[37:38], v[37:38], -v[39:40]
	v_fma_f64 v[51:52], v[41:42], v[35:36], -v[49:50]
	v_fma_f64 v[43:44], v[41:42], v[43:44], s[38:39]
	v_fma_f64 v[43:44], v[41:42], v[43:44], s[40:41]
	;; [unrolled: 1-line block ×6, first 2 shown]
	v_mul_f64 v[45:46], v[41:42], v[43:44]
	v_fma_f64 v[39:40], v[41:42], v[43:44], -v[45:46]
	v_fma_f64 v[41:42], v[41:42], v[33:34], v[51:52]
	v_ldexp_f64 v[33:34], v[33:34], 1
	v_fma_f64 v[39:40], v[37:38], v[43:44], v[39:40]
	v_fma_f64 v[37:38], v[37:38], v[35:36], v[41:42]
	v_ldexp_f64 v[35:36], v[35:36], 1
	v_add_f64 v[43:44], v[45:46], v[39:40]
	v_add_f64 v[45:46], v[43:44], -v[45:46]
	v_add_f64 v[47:48], v[43:44], s[24:25]
	v_add_f64 v[39:40], v[39:40], -v[45:46]
	v_add_f64 v[45:46], v[47:48], s[52:53]
	v_cmp_lt_f64_e64 s52, |v[7:8]|, 1.0
	v_add_f64 v[39:40], v[39:40], s[50:51]
	v_add_f64 v[43:44], v[43:44], -v[45:46]
	s_xor_b32 s7, s7, s52
	v_cmp_class_f64_e64 s52, v[7:8], 0x204
	v_add_f64 v[39:40], v[39:40], v[43:44]
	v_add_f64 v[43:44], v[49:50], v[37:38]
	;; [unrolled: 1-line block ×3, first 2 shown]
	v_add_f64 v[49:50], v[43:44], -v[49:50]
	v_add_f64 v[45:46], v[47:48], -v[41:42]
	v_mul_f64 v[47:48], v[43:44], v[41:42]
	v_add_f64 v[37:38], v[37:38], -v[49:50]
	v_add_f64 v[39:40], v[39:40], v[45:46]
	v_fma_f64 v[45:46], v[43:44], v[41:42], -v[47:48]
	v_fma_f64 v[39:40], v[43:44], v[39:40], v[45:46]
	v_fma_f64 v[37:38], v[37:38], v[41:42], v[39:40]
	v_cvt_f64_i32_e32 v[41:42], v53
	v_add_f64 v[39:40], v[47:48], v[37:38]
	v_add_f64 v[43:44], v[39:40], -v[47:48]
	v_add_f64 v[45:46], v[35:36], v[39:40]
	v_mul_f64 v[47:48], v[41:42], s[26:27]
	v_add_f64 v[37:38], v[37:38], -v[43:44]
	v_add_f64 v[35:36], v[45:46], -v[35:36]
	v_fma_f64 v[43:44], v[41:42], s[26:27], -v[47:48]
	v_add_f64 v[33:34], v[33:34], v[37:38]
	v_add_f64 v[35:36], v[39:40], -v[35:36]
	v_fma_f64 v[37:38], v[41:42], s[28:29], v[43:44]
	v_add_f64 v[33:34], v[33:34], v[35:36]
	v_add_f64 v[35:36], v[47:48], v[37:38]
	;; [unrolled: 1-line block ×3, first 2 shown]
	v_add_f64 v[47:48], v[35:36], -v[47:48]
	v_add_f64 v[41:42], v[35:36], v[39:40]
	v_add_f64 v[45:46], v[39:40], -v[45:46]
	v_add_f64 v[37:38], v[37:38], -v[47:48]
	;; [unrolled: 1-line block ×6, first 2 shown]
	v_add_f64 v[43:44], v[37:38], v[33:34]
	v_add_f64 v[35:36], v[35:36], -v[49:50]
	v_add_f64 v[35:36], v[39:40], v[35:36]
	v_add_f64 v[39:40], v[43:44], -v[37:38]
	;; [unrolled: 2-line block ×3, first 2 shown]
	v_add_f64 v[33:34], v[33:34], -v[39:40]
	v_add_f64 v[45:46], v[41:42], v[35:36]
	v_add_f64 v[37:38], v[37:38], -v[43:44]
	v_add_f64 v[39:40], v[45:46], -v[41:42]
	v_add_f64 v[33:34], v[33:34], v[37:38]
	v_add_f64 v[35:36], v[35:36], -v[39:40]
	v_add_f64 v[33:34], v[33:34], v[35:36]
	v_add_f64 v[35:36], v[45:46], v[33:34]
	v_add_f64 v[37:38], v[35:36], -v[45:46]
	v_mul_f64 v[39:40], v[31:32], v[35:36]
	v_add_f64 v[33:34], v[33:34], -v[37:38]
	v_fma_f64 v[35:36], v[31:32], v[35:36], -v[39:40]
	v_cmp_class_f64_e64 s2, v[39:40], 0x204
	v_fma_f64 v[33:34], v[31:32], v[33:34], v[35:36]
	v_add_f64 v[35:36], v[39:40], v[33:34]
	v_cndmask_b32_e64 v38, v36, v40, s2
	v_cndmask_b32_e64 v37, v35, v39, s2
	v_add_f64 v[35:36], v[35:36], -v[39:40]
	v_mul_f64 v[41:42], v[37:38], s[54:55]
	v_cmp_nlt_f64_e64 s3, 0x40900000, v[37:38]
	v_cmp_neq_f64_e64 s2, 0x7ff00000, |v[37:38]|
	v_cmp_ngt_f64_e64 s6, 0xc090cc00, v[37:38]
	v_add_f64 v[33:34], v[33:34], -v[35:36]
	v_trunc_f64_e32 v[35:36], v[31:32]
	v_rndne_f64_e32 v[41:42], v[41:42]
	v_cndmask_b32_e64 v34, 0, v34, s2
	v_cndmask_b32_e64 v33, 0, v33, s2
	s_and_b32 s2, s6, s3
	v_fma_f64 v[43:44], v[41:42], s[56:57], v[37:38]
	v_cvt_i32_f64_e32 v47, v[41:42]
	v_fma_f64 v[43:44], v[41:42], s[58:59], v[43:44]
	v_fma_f64 v[45:46], v[43:44], s[62:63], s[60:61]
	;; [unrolled: 1-line block ×10, first 2 shown]
	v_fma_f64 v[45:46], v[43:44], v[45:46], 1.0
	v_fma_f64 v[41:42], v[43:44], v[45:46], 1.0
	v_ldexp_f64 v[39:40], v[41:42], v47
	v_mul_f64 v[41:42], v[31:32], 0.5
	v_cndmask_b32_e64 v40, 0x7ff00000, v40, s3
	v_trunc_f64_e32 v[37:38], v[41:42]
	v_cndmask_b32_e64 v39, 0, v39, s2
	v_cmp_eq_f64_e64 s2, v[35:36], v[31:32]
	v_cndmask_b32_e64 v40, 0, v40, s6
	v_fma_f64 v[33:34], v[39:40], v[33:34], v[39:40]
	v_cmp_class_f64_e64 s6, v[39:40], 0x204
	v_cmp_neq_f64_e64 s3, v[37:38], v[41:42]
	v_cndmask_b32_e64 v38, 0x7ff00000, 0, s7
	v_cmp_neq_f64_e64 s7, |v[7:8]|, 1.0
	v_cndmask_b32_e64 v34, v34, v40, s6
	v_cndmask_b32_e64 v33, v33, v39, s6
	v_cmp_eq_f64_e64 s6, 0, v[7:8]
	v_cndmask_b32_e64 v37, 0, v33, s2
	s_and_b32 s3, s2, s3
	v_cndmask_b32_e64 v36, 0x3ff00000, v8, s3
	v_cndmask_b32_e64 v35, 0, v8, s3
	v_cmp_gt_f64_e64 s3, 0, v[31:32]
	v_cndmask_b32_e64 v38, 0x3ff00000, v38, s7
	v_bfi_b32 v34, 0x7fffffff, v34, v36
	v_cndmask_b32_e64 v36, 0x7ff80000, v34, s2
	v_cmp_gt_f64_e64 s2, 0, v[7:8]
	s_xor_b32 s3, s3, s6
	v_cndmask_b32_e64 v33, v33, v37, s2
	v_cndmask_b32_e64 v34, v34, v36, s2
	v_cmp_class_f64_e64 s2, v[31:32], 0x204
	v_cndmask_b32_e64 v36, 0x7ff00000, 0, s3
	s_or_b32 s3, s6, s52
	v_bfi_b32 v35, 0x7fffffff, v36, v35
	v_cndmask_b32_e64 v34, v34, v38, s2
	s_or_b32 s2, s3, s2
	v_cndmask_b32_e64 v33, v33, 0, s2
	v_cmp_o_f64_e64 s2, v[7:8], v[31:32]
	v_cndmask_b32_e64 v34, v34, v35, s3
	v_add_co_u32 v7, s3, v11, s8
	v_add_co_ci_u32_e64 v8, null, s9, v12, s3
	v_cndmask_b32_e64 v31, 0, v33, s2
	v_cndmask_b32_e64 v32, 0x7ff80000, v34, s2
	global_store_dwordx2 v[7:8], v[31:32], off
	s_or_b32 exec_lo, exec_lo, s81
	s_and_saveexec_b32 s81, s1
	s_cbranch_execz .LBB90_13
.LBB90_17:                              ;   in Loop: Header=BB90_4 Depth=1
	s_waitcnt vmcnt(0)
	v_cmp_neq_f64_e64 s1, 1.0, v[5:6]
	v_mov_b32_e32 v7, s19
	s_mov_b32 s52, s24
	s_mov_b32 s56, s26
	;; [unrolled: 1-line block ×3, first 2 shown]
	v_cndmask_b32_e64 v8, 0x3ff00000, v7, s1
	v_cndmask_b32_e64 v7, 0, s18, s1
	v_cmp_neq_f64_e64 s1, 0, v[7:8]
	v_cmp_neq_f64_e64 s7, v[7:8], |v[7:8]|
	v_cndmask_b32_e64 v6, 0x3ff00000, v6, s1
	v_cndmask_b32_e64 v5, 0, v5, s1
	v_frexp_mant_f64_e64 v[31:32], |v[5:6]|
	v_cmp_eq_f64_e64 s6, 0, v[5:6]
	v_cmp_gt_f64_e64 s1, s[24:25], v[31:32]
	v_cndmask_b32_e64 v33, 0, 1, s1
	v_ldexp_f64 v[31:32], v[31:32], v33
	v_add_f64 v[33:34], v[31:32], 1.0
	v_add_f64 v[39:40], v[31:32], -1.0
	v_rcp_f64_e32 v[35:36], v[33:34]
	v_add_f64 v[41:42], v[33:34], -1.0
	v_add_f64 v[31:32], v[31:32], -v[41:42]
	v_fma_f64 v[37:38], -v[33:34], v[35:36], 1.0
	v_fma_f64 v[35:36], v[37:38], v[35:36], v[35:36]
	v_fma_f64 v[37:38], -v[33:34], v[35:36], 1.0
	v_fma_f64 v[35:36], v[37:38], v[35:36], v[35:36]
	v_mul_f64 v[37:38], v[39:40], v[35:36]
	v_mul_f64 v[43:44], v[33:34], v[37:38]
	v_fma_f64 v[33:34], v[37:38], v[33:34], -v[43:44]
	v_fma_f64 v[31:32], v[37:38], v[31:32], v[33:34]
	v_add_f64 v[33:34], v[43:44], v[31:32]
	v_add_f64 v[41:42], v[39:40], -v[33:34]
	v_add_f64 v[43:44], v[33:34], -v[43:44]
	;; [unrolled: 1-line block ×5, first 2 shown]
	v_add_f64 v[31:32], v[31:32], v[33:34]
	v_add_f64 v[31:32], v[41:42], v[31:32]
	v_mul_f64 v[31:32], v[35:36], v[31:32]
	v_add_f64 v[33:34], v[37:38], v[31:32]
	v_add_f64 v[35:36], v[33:34], -v[37:38]
	v_mul_f64 v[37:38], v[33:34], v[33:34]
	v_add_f64 v[31:32], v[31:32], -v[35:36]
	v_fma_f64 v[35:36], v[33:34], v[33:34], -v[37:38]
	v_add_f64 v[39:40], v[31:32], v[31:32]
	v_fma_f64 v[35:36], v[33:34], v[39:40], v[35:36]
	v_add_f64 v[39:40], v[37:38], v[35:36]
	v_fma_f64 v[41:42], v[39:40], s[34:35], s[30:31]
	v_add_f64 v[37:38], v[39:40], -v[37:38]
	v_mul_f64 v[47:48], v[33:34], v[39:40]
	v_fma_f64 v[41:42], v[39:40], v[41:42], s[36:37]
	v_add_f64 v[35:36], v[35:36], -v[37:38]
	v_fma_f64 v[41:42], v[39:40], v[41:42], s[38:39]
	v_fma_f64 v[41:42], v[39:40], v[41:42], s[40:41]
	v_fma_f64 v[41:42], v[39:40], v[41:42], s[42:43]
	v_fma_f64 v[41:42], v[39:40], v[41:42], s[44:45]
	v_fma_f64 v[41:42], v[39:40], v[41:42], s[46:47]
	v_fma_f64 v[41:42], v[39:40], v[41:42], s[48:49]
	v_mul_f64 v[43:44], v[39:40], v[41:42]
	v_fma_f64 v[37:38], v[39:40], v[41:42], -v[43:44]
	v_fma_f64 v[37:38], v[35:36], v[41:42], v[37:38]
	v_add_f64 v[41:42], v[43:44], v[37:38]
	v_add_f64 v[45:46], v[41:42], s[24:25]
	v_add_f64 v[43:44], v[41:42], -v[43:44]
	v_add_f64 v[49:50], v[45:46], s[52:53]
	v_add_f64 v[37:38], v[37:38], -v[43:44]
	v_fma_f64 v[43:44], v[39:40], v[33:34], -v[47:48]
	v_cmp_lt_f64_e64 s52, |v[5:6]|, 1.0
	v_add_f64 v[41:42], v[41:42], -v[49:50]
	v_add_f64 v[37:38], v[37:38], s[50:51]
	v_fma_f64 v[39:40], v[39:40], v[31:32], v[43:44]
	v_ldexp_f64 v[31:32], v[31:32], 1
	s_xor_b32 s7, s7, s52
	v_cmp_class_f64_e64 s52, v[5:6], 0x204
	v_add_f64 v[37:38], v[37:38], v[41:42]
	v_fma_f64 v[35:36], v[35:36], v[33:34], v[39:40]
	v_ldexp_f64 v[33:34], v[33:34], 1
	v_add_f64 v[39:40], v[45:46], v[37:38]
	v_add_f64 v[41:42], v[47:48], v[35:36]
	v_add_f64 v[43:44], v[45:46], -v[39:40]
	v_mul_f64 v[45:46], v[41:42], v[39:40]
	v_add_f64 v[47:48], v[41:42], -v[47:48]
	v_add_f64 v[37:38], v[37:38], v[43:44]
	v_fma_f64 v[43:44], v[41:42], v[39:40], -v[45:46]
	v_add_f64 v[35:36], v[35:36], -v[47:48]
	v_fma_f64 v[37:38], v[41:42], v[37:38], v[43:44]
	v_fma_f64 v[35:36], v[35:36], v[39:40], v[37:38]
	v_frexp_exp_i32_f64_e32 v39, v[5:6]
	v_add_f64 v[37:38], v[45:46], v[35:36]
	v_subrev_co_ci_u32_e64 v39, null, 0, v39, s1
	v_cvt_f64_i32_e32 v[39:40], v39
	v_add_f64 v[41:42], v[33:34], v[37:38]
	v_add_f64 v[43:44], v[37:38], -v[45:46]
	v_mul_f64 v[45:46], v[39:40], s[26:27]
	v_add_f64 v[33:34], v[41:42], -v[33:34]
	v_add_f64 v[35:36], v[35:36], -v[43:44]
	v_fma_f64 v[43:44], v[39:40], s[26:27], -v[45:46]
	v_add_f64 v[33:34], v[37:38], -v[33:34]
	v_add_f64 v[31:32], v[31:32], v[35:36]
	v_fma_f64 v[35:36], v[39:40], s[28:29], v[43:44]
	v_add_f64 v[31:32], v[31:32], v[33:34]
	v_add_f64 v[33:34], v[45:46], v[35:36]
	;; [unrolled: 1-line block ×3, first 2 shown]
	v_add_f64 v[45:46], v[33:34], -v[45:46]
	v_add_f64 v[39:40], v[33:34], v[37:38]
	v_add_f64 v[41:42], v[37:38], -v[41:42]
	v_add_f64 v[35:36], v[35:36], -v[45:46]
	;; [unrolled: 1-line block ×6, first 2 shown]
	v_add_f64 v[41:42], v[35:36], v[31:32]
	v_add_f64 v[33:34], v[33:34], -v[47:48]
	v_add_f64 v[33:34], v[37:38], v[33:34]
	v_add_f64 v[37:38], v[41:42], -v[35:36]
	;; [unrolled: 2-line block ×3, first 2 shown]
	v_add_f64 v[31:32], v[31:32], -v[37:38]
	v_add_f64 v[43:44], v[39:40], v[33:34]
	v_add_f64 v[35:36], v[35:36], -v[41:42]
	v_add_f64 v[37:38], v[43:44], -v[39:40]
	v_add_f64 v[31:32], v[31:32], v[35:36]
	v_add_f64 v[33:34], v[33:34], -v[37:38]
	v_add_f64 v[31:32], v[31:32], v[33:34]
	v_add_f64 v[33:34], v[43:44], v[31:32]
	v_add_f64 v[35:36], v[33:34], -v[43:44]
	v_mul_f64 v[37:38], v[7:8], v[33:34]
	v_add_f64 v[31:32], v[31:32], -v[35:36]
	v_fma_f64 v[33:34], v[7:8], v[33:34], -v[37:38]
	v_cmp_class_f64_e64 s1, v[37:38], 0x204
	v_fma_f64 v[31:32], v[7:8], v[31:32], v[33:34]
	v_add_f64 v[33:34], v[37:38], v[31:32]
	v_cndmask_b32_e64 v36, v34, v38, s1
	v_cndmask_b32_e64 v35, v33, v37, s1
	v_add_f64 v[33:34], v[33:34], -v[37:38]
	v_mul_f64 v[39:40], v[35:36], s[54:55]
	v_cmp_nlt_f64_e64 s2, 0x40900000, v[35:36]
	v_cmp_neq_f64_e64 s1, 0x7ff00000, |v[35:36]|
	v_cmp_ngt_f64_e64 s3, 0xc090cc00, v[35:36]
	v_add_f64 v[31:32], v[31:32], -v[33:34]
	v_trunc_f64_e32 v[33:34], v[7:8]
	v_rndne_f64_e32 v[39:40], v[39:40]
	v_cndmask_b32_e64 v32, 0, v32, s1
	v_cndmask_b32_e64 v31, 0, v31, s1
	s_and_b32 s1, s3, s2
	v_fma_f64 v[41:42], v[39:40], s[56:57], v[35:36]
	v_cvt_i32_f64_e32 v45, v[39:40]
	v_fma_f64 v[41:42], v[39:40], s[58:59], v[41:42]
	v_fma_f64 v[43:44], v[41:42], s[62:63], s[60:61]
	;; [unrolled: 1-line block ×10, first 2 shown]
	v_fma_f64 v[43:44], v[41:42], v[43:44], 1.0
	v_fma_f64 v[39:40], v[41:42], v[43:44], 1.0
	v_ldexp_f64 v[37:38], v[39:40], v45
	v_mul_f64 v[39:40], v[7:8], 0.5
	v_cndmask_b32_e64 v38, 0x7ff00000, v38, s2
	v_trunc_f64_e32 v[35:36], v[39:40]
	v_cndmask_b32_e64 v37, 0, v37, s1
	v_cmp_eq_f64_e64 s1, v[33:34], v[7:8]
	v_cndmask_b32_e64 v38, 0, v38, s3
	v_fma_f64 v[31:32], v[37:38], v[31:32], v[37:38]
	v_cmp_class_f64_e64 s3, v[37:38], 0x204
	v_cmp_neq_f64_e64 s2, v[35:36], v[39:40]
	v_cndmask_b32_e64 v35, 0x7ff00000, 0, s7
	v_cmp_neq_f64_e64 s7, |v[5:6]|, 1.0
	v_cndmask_b32_e64 v32, v32, v38, s3
	v_cndmask_b32_e64 v31, v31, v37, s3
	v_cmp_gt_f64_e64 s3, 0, v[7:8]
	v_cndmask_b32_e64 v34, 0, v31, s1
	s_and_b32 s2, s1, s2
	v_cndmask_b32_e64 v33, 0x3ff00000, v6, s2
	v_cndmask_b32_e64 v35, 0x3ff00000, v35, s7
	v_bfi_b32 v32, 0x7fffffff, v32, v33
	v_cndmask_b32_e64 v33, 0x7ff80000, v32, s1
	v_cmp_gt_f64_e64 s1, 0, v[5:6]
	s_xor_b32 s3, s3, s6
	v_cndmask_b32_e64 v31, v31, v34, s1
	v_cndmask_b32_e64 v32, v32, v33, s1
	v_cmp_class_f64_e64 s1, v[7:8], 0x204
	v_cndmask_b32_e64 v34, 0, v6, s2
	s_or_b32 s2, s6, s52
	v_cndmask_b32_e64 v33, 0x7ff00000, 0, s3
	v_bfi_b32 v33, 0x7fffffff, v33, v34
	v_cndmask_b32_e64 v32, v32, v35, s1
	s_or_b32 s1, s2, s1
	v_cndmask_b32_e64 v31, v31, 0, s1
	v_cmp_o_f64_e64 s1, v[5:6], v[7:8]
	v_cndmask_b32_e64 v32, v32, v33, s2
	v_cndmask_b32_e64 v5, 0, v31, s1
	;; [unrolled: 1-line block ×3, first 2 shown]
	v_add_co_u32 v7, s1, v29, s8
	v_add_co_ci_u32_e64 v8, null, s9, v30, s1
	global_store_dwordx2 v[7:8], v[5:6], off
	s_or_b32 exec_lo, exec_lo, s81
	s_and_saveexec_b32 s7, s0
	s_cbranch_execz .LBB90_14
.LBB90_18:                              ;   in Loop: Header=BB90_4 Depth=1
	s_waitcnt vmcnt(0)
	v_cmp_neq_f64_e64 s0, 1.0, v[3:4]
	v_mov_b32_e32 v5, s19
	s_mov_b32 s52, s24
	s_mov_b32 s56, s26
	s_mov_b32 s58, s28
	v_cndmask_b32_e64 v6, 0x3ff00000, v5, s0
	v_cndmask_b32_e64 v5, 0, s18, s0
	v_cmp_neq_f64_e64 s0, 0, v[5:6]
	v_cmp_neq_f64_e64 s6, v[5:6], |v[5:6]|
	v_cndmask_b32_e64 v4, 0x3ff00000, v4, s0
	v_cndmask_b32_e64 v3, 0, v3, s0
	v_frexp_mant_f64_e64 v[7:8], |v[3:4]|
	v_cmp_eq_f64_e64 s3, 0, v[3:4]
	v_cmp_gt_f64_e64 s0, s[24:25], v[7:8]
	v_cndmask_b32_e64 v31, 0, 1, s0
	v_ldexp_f64 v[7:8], v[7:8], v31
	v_add_f64 v[31:32], v[7:8], 1.0
	v_add_f64 v[37:38], v[7:8], -1.0
	v_rcp_f64_e32 v[33:34], v[31:32]
	v_add_f64 v[39:40], v[31:32], -1.0
	v_add_f64 v[7:8], v[7:8], -v[39:40]
	v_fma_f64 v[35:36], -v[31:32], v[33:34], 1.0
	v_fma_f64 v[33:34], v[35:36], v[33:34], v[33:34]
	v_fma_f64 v[35:36], -v[31:32], v[33:34], 1.0
	v_fma_f64 v[33:34], v[35:36], v[33:34], v[33:34]
	v_mul_f64 v[35:36], v[37:38], v[33:34]
	v_mul_f64 v[41:42], v[31:32], v[35:36]
	v_fma_f64 v[31:32], v[35:36], v[31:32], -v[41:42]
	v_fma_f64 v[7:8], v[35:36], v[7:8], v[31:32]
	v_add_f64 v[31:32], v[41:42], v[7:8]
	v_add_f64 v[39:40], v[37:38], -v[31:32]
	v_add_f64 v[41:42], v[31:32], -v[41:42]
	;; [unrolled: 1-line block ×5, first 2 shown]
	v_add_f64 v[7:8], v[7:8], v[31:32]
	v_add_f64 v[7:8], v[39:40], v[7:8]
	v_mul_f64 v[7:8], v[33:34], v[7:8]
	v_add_f64 v[31:32], v[35:36], v[7:8]
	v_add_f64 v[33:34], v[31:32], -v[35:36]
	v_mul_f64 v[35:36], v[31:32], v[31:32]
	v_add_f64 v[7:8], v[7:8], -v[33:34]
	v_fma_f64 v[33:34], v[31:32], v[31:32], -v[35:36]
	v_add_f64 v[37:38], v[7:8], v[7:8]
	v_fma_f64 v[33:34], v[31:32], v[37:38], v[33:34]
	v_add_f64 v[37:38], v[35:36], v[33:34]
	v_fma_f64 v[39:40], v[37:38], s[34:35], s[30:31]
	v_add_f64 v[35:36], v[37:38], -v[35:36]
	v_mul_f64 v[45:46], v[31:32], v[37:38]
	v_fma_f64 v[39:40], v[37:38], v[39:40], s[36:37]
	v_add_f64 v[33:34], v[33:34], -v[35:36]
	v_fma_f64 v[39:40], v[37:38], v[39:40], s[38:39]
	v_fma_f64 v[39:40], v[37:38], v[39:40], s[40:41]
	;; [unrolled: 1-line block ×6, first 2 shown]
	v_mul_f64 v[41:42], v[37:38], v[39:40]
	v_fma_f64 v[35:36], v[37:38], v[39:40], -v[41:42]
	v_fma_f64 v[35:36], v[33:34], v[39:40], v[35:36]
	v_add_f64 v[39:40], v[41:42], v[35:36]
	v_add_f64 v[43:44], v[39:40], s[24:25]
	v_add_f64 v[41:42], v[39:40], -v[41:42]
	v_add_f64 v[47:48], v[43:44], s[52:53]
	v_add_f64 v[35:36], v[35:36], -v[41:42]
	v_fma_f64 v[41:42], v[37:38], v[31:32], -v[45:46]
	v_cmp_lt_f64_e64 s52, |v[3:4]|, 1.0
	v_add_f64 v[39:40], v[39:40], -v[47:48]
	v_add_f64 v[35:36], v[35:36], s[50:51]
	v_fma_f64 v[37:38], v[37:38], v[7:8], v[41:42]
	v_ldexp_f64 v[7:8], v[7:8], 1
	s_xor_b32 s6, s6, s52
	v_cmp_class_f64_e64 s52, v[3:4], 0x204
	v_add_f64 v[35:36], v[35:36], v[39:40]
	v_fma_f64 v[33:34], v[33:34], v[31:32], v[37:38]
	v_ldexp_f64 v[31:32], v[31:32], 1
	v_add_f64 v[37:38], v[43:44], v[35:36]
	v_add_f64 v[39:40], v[45:46], v[33:34]
	v_add_f64 v[41:42], v[43:44], -v[37:38]
	v_mul_f64 v[43:44], v[39:40], v[37:38]
	v_add_f64 v[45:46], v[39:40], -v[45:46]
	v_add_f64 v[35:36], v[35:36], v[41:42]
	v_fma_f64 v[41:42], v[39:40], v[37:38], -v[43:44]
	v_add_f64 v[33:34], v[33:34], -v[45:46]
	v_fma_f64 v[35:36], v[39:40], v[35:36], v[41:42]
	v_fma_f64 v[33:34], v[33:34], v[37:38], v[35:36]
	v_frexp_exp_i32_f64_e32 v37, v[3:4]
	v_add_f64 v[35:36], v[43:44], v[33:34]
	v_subrev_co_ci_u32_e64 v37, null, 0, v37, s0
	v_cvt_f64_i32_e32 v[37:38], v37
	v_add_f64 v[39:40], v[31:32], v[35:36]
	v_add_f64 v[41:42], v[35:36], -v[43:44]
	v_mul_f64 v[43:44], v[37:38], s[26:27]
	v_add_f64 v[31:32], v[39:40], -v[31:32]
	v_add_f64 v[33:34], v[33:34], -v[41:42]
	v_fma_f64 v[41:42], v[37:38], s[26:27], -v[43:44]
	v_add_f64 v[31:32], v[35:36], -v[31:32]
	v_add_f64 v[7:8], v[7:8], v[33:34]
	v_fma_f64 v[33:34], v[37:38], s[28:29], v[41:42]
	v_add_f64 v[7:8], v[7:8], v[31:32]
	v_add_f64 v[31:32], v[43:44], v[33:34]
	;; [unrolled: 1-line block ×3, first 2 shown]
	v_add_f64 v[43:44], v[31:32], -v[43:44]
	v_add_f64 v[37:38], v[31:32], v[35:36]
	v_add_f64 v[39:40], v[35:36], -v[39:40]
	v_add_f64 v[33:34], v[33:34], -v[43:44]
	;; [unrolled: 1-line block ×6, first 2 shown]
	v_add_f64 v[39:40], v[33:34], v[7:8]
	v_add_f64 v[31:32], v[31:32], -v[45:46]
	v_add_f64 v[31:32], v[35:36], v[31:32]
	v_add_f64 v[35:36], v[39:40], -v[33:34]
	;; [unrolled: 2-line block ×3, first 2 shown]
	v_add_f64 v[7:8], v[7:8], -v[35:36]
	v_add_f64 v[41:42], v[37:38], v[31:32]
	v_add_f64 v[33:34], v[33:34], -v[39:40]
	v_add_f64 v[35:36], v[41:42], -v[37:38]
	v_add_f64 v[7:8], v[7:8], v[33:34]
	v_add_f64 v[31:32], v[31:32], -v[35:36]
	v_add_f64 v[7:8], v[7:8], v[31:32]
	v_add_f64 v[31:32], v[41:42], v[7:8]
	v_add_f64 v[33:34], v[31:32], -v[41:42]
	v_mul_f64 v[35:36], v[5:6], v[31:32]
	v_add_f64 v[7:8], v[7:8], -v[33:34]
	v_fma_f64 v[31:32], v[5:6], v[31:32], -v[35:36]
	v_cmp_class_f64_e64 s0, v[35:36], 0x204
	v_fma_f64 v[7:8], v[5:6], v[7:8], v[31:32]
	v_add_f64 v[31:32], v[35:36], v[7:8]
	v_cndmask_b32_e64 v34, v32, v36, s0
	v_cndmask_b32_e64 v33, v31, v35, s0
	v_add_f64 v[31:32], v[31:32], -v[35:36]
	v_mul_f64 v[37:38], v[33:34], s[54:55]
	v_cmp_nlt_f64_e64 s1, 0x40900000, v[33:34]
	v_cmp_neq_f64_e64 s0, 0x7ff00000, |v[33:34]|
	v_cmp_ngt_f64_e64 s2, 0xc090cc00, v[33:34]
	v_add_f64 v[7:8], v[7:8], -v[31:32]
	v_trunc_f64_e32 v[31:32], v[5:6]
	v_rndne_f64_e32 v[37:38], v[37:38]
	v_cndmask_b32_e64 v8, 0, v8, s0
	v_cndmask_b32_e64 v7, 0, v7, s0
	s_and_b32 s0, s2, s1
	v_fma_f64 v[39:40], v[37:38], s[56:57], v[33:34]
	v_cvt_i32_f64_e32 v43, v[37:38]
	v_fma_f64 v[39:40], v[37:38], s[58:59], v[39:40]
	v_fma_f64 v[41:42], v[39:40], s[62:63], s[60:61]
	;; [unrolled: 1-line block ×10, first 2 shown]
	v_fma_f64 v[41:42], v[39:40], v[41:42], 1.0
	v_fma_f64 v[37:38], v[39:40], v[41:42], 1.0
	v_ldexp_f64 v[35:36], v[37:38], v43
	v_mul_f64 v[37:38], v[5:6], 0.5
	v_cndmask_b32_e64 v36, 0x7ff00000, v36, s1
	v_trunc_f64_e32 v[33:34], v[37:38]
	v_cndmask_b32_e64 v35, 0, v35, s0
	v_cmp_eq_f64_e64 s0, v[31:32], v[5:6]
	v_cndmask_b32_e64 v36, 0, v36, s2
	v_fma_f64 v[7:8], v[35:36], v[7:8], v[35:36]
	v_cmp_class_f64_e64 s2, v[35:36], 0x204
	v_cmp_neq_f64_e64 s1, v[33:34], v[37:38]
	v_cndmask_b32_e64 v33, 0x7ff00000, 0, s6
	v_cmp_neq_f64_e64 s6, |v[3:4]|, 1.0
	v_cndmask_b32_e64 v8, v8, v36, s2
	v_cndmask_b32_e64 v7, v7, v35, s2
	v_cmp_gt_f64_e64 s2, 0, v[5:6]
	v_cndmask_b32_e64 v32, 0, v7, s0
	s_and_b32 s1, s0, s1
	v_cndmask_b32_e64 v31, 0x3ff00000, v4, s1
	v_cndmask_b32_e64 v33, 0x3ff00000, v33, s6
	v_bfi_b32 v8, 0x7fffffff, v8, v31
	v_cndmask_b32_e64 v31, 0x7ff80000, v8, s0
	v_cmp_gt_f64_e64 s0, 0, v[3:4]
	s_xor_b32 s2, s2, s3
	v_cndmask_b32_e64 v7, v7, v32, s0
	v_cndmask_b32_e64 v8, v8, v31, s0
	v_cmp_class_f64_e64 s0, v[5:6], 0x204
	v_cndmask_b32_e64 v32, 0, v4, s1
	s_or_b32 s1, s3, s52
	v_cndmask_b32_e64 v31, 0x7ff00000, 0, s2
	v_bfi_b32 v31, 0x7fffffff, v31, v32
	v_cndmask_b32_e64 v8, v8, v33, s0
	s_or_b32 s0, s1, s0
	v_cndmask_b32_e64 v7, v7, 0, s0
	v_cmp_o_f64_e64 s0, v[3:4], v[5:6]
	v_cndmask_b32_e64 v8, v8, v31, s1
	v_cndmask_b32_e64 v3, 0, v7, s0
	;; [unrolled: 1-line block ×3, first 2 shown]
	v_add_co_u32 v5, s0, v22, s8
	v_add_co_ci_u32_e64 v6, null, s9, v23, s0
	global_store_dwordx2 v[5:6], v[3:4], off
	s_or_b32 exec_lo, exec_lo, s7
	s_and_saveexec_b32 s6, vcc_lo
	s_cbranch_execz .LBB90_3
.LBB90_19:                              ;   in Loop: Header=BB90_4 Depth=1
	s_waitcnt vmcnt(0)
	v_cmp_neq_f64_e32 vcc_lo, 1.0, v[1:2]
	v_mov_b32_e32 v3, s19
	s_mov_b32 s52, s24
	s_mov_b32 s56, s26
	;; [unrolled: 1-line block ×3, first 2 shown]
	v_cndmask_b32_e32 v4, 0x3ff00000, v3, vcc_lo
	v_cndmask_b32_e64 v3, 0, s18, vcc_lo
	v_cmp_neq_f64_e32 vcc_lo, 0, v[3:4]
	v_cmp_neq_f64_e64 s3, v[3:4], |v[3:4]|
	v_cndmask_b32_e32 v2, 0x3ff00000, v2, vcc_lo
	v_cndmask_b32_e32 v1, 0, v1, vcc_lo
	v_frexp_mant_f64_e64 v[5:6], |v[1:2]|
	v_cmp_lt_f64_e64 s7, |v[1:2]|, 1.0
	v_cmp_eq_f64_e64 s2, 0, v[1:2]
	v_cmp_gt_f64_e32 vcc_lo, s[24:25], v[5:6]
	s_xor_b32 s3, s3, s7
	v_cmp_class_f64_e64 s7, v[1:2], 0x204
	v_cndmask_b32_e64 v7, 0, 1, vcc_lo
	v_ldexp_f64 v[5:6], v[5:6], v7
	v_add_f64 v[7:8], v[5:6], 1.0
	v_add_f64 v[35:36], v[5:6], -1.0
	v_rcp_f64_e32 v[31:32], v[7:8]
	v_add_f64 v[37:38], v[7:8], -1.0
	v_add_f64 v[5:6], v[5:6], -v[37:38]
	v_fma_f64 v[33:34], -v[7:8], v[31:32], 1.0
	v_fma_f64 v[31:32], v[33:34], v[31:32], v[31:32]
	v_fma_f64 v[33:34], -v[7:8], v[31:32], 1.0
	v_fma_f64 v[31:32], v[33:34], v[31:32], v[31:32]
	v_mul_f64 v[33:34], v[35:36], v[31:32]
	v_mul_f64 v[39:40], v[7:8], v[33:34]
	v_fma_f64 v[7:8], v[33:34], v[7:8], -v[39:40]
	v_fma_f64 v[5:6], v[33:34], v[5:6], v[7:8]
	v_add_f64 v[7:8], v[39:40], v[5:6]
	v_add_f64 v[37:38], v[35:36], -v[7:8]
	v_add_f64 v[39:40], v[7:8], -v[39:40]
	;; [unrolled: 1-line block ×5, first 2 shown]
	v_add_f64 v[5:6], v[5:6], v[7:8]
	v_add_f64 v[5:6], v[37:38], v[5:6]
	v_mul_f64 v[5:6], v[31:32], v[5:6]
	v_add_f64 v[7:8], v[33:34], v[5:6]
	v_add_f64 v[31:32], v[7:8], -v[33:34]
	v_mul_f64 v[33:34], v[7:8], v[7:8]
	v_add_f64 v[5:6], v[5:6], -v[31:32]
	v_fma_f64 v[31:32], v[7:8], v[7:8], -v[33:34]
	v_add_f64 v[35:36], v[5:6], v[5:6]
	v_fma_f64 v[31:32], v[7:8], v[35:36], v[31:32]
	v_add_f64 v[35:36], v[33:34], v[31:32]
	v_fma_f64 v[37:38], v[35:36], s[34:35], s[30:31]
	v_add_f64 v[33:34], v[35:36], -v[33:34]
	v_mul_f64 v[43:44], v[7:8], v[35:36]
	v_fma_f64 v[37:38], v[35:36], v[37:38], s[36:37]
	v_add_f64 v[31:32], v[31:32], -v[33:34]
	v_fma_f64 v[37:38], v[35:36], v[37:38], s[38:39]
	v_fma_f64 v[37:38], v[35:36], v[37:38], s[40:41]
	;; [unrolled: 1-line block ×6, first 2 shown]
	v_mul_f64 v[39:40], v[35:36], v[37:38]
	v_fma_f64 v[33:34], v[35:36], v[37:38], -v[39:40]
	v_fma_f64 v[33:34], v[31:32], v[37:38], v[33:34]
	v_add_f64 v[37:38], v[39:40], v[33:34]
	v_add_f64 v[41:42], v[37:38], s[24:25]
	v_add_f64 v[39:40], v[37:38], -v[39:40]
	v_add_f64 v[45:46], v[41:42], s[52:53]
	v_add_f64 v[33:34], v[33:34], -v[39:40]
	v_fma_f64 v[39:40], v[35:36], v[7:8], -v[43:44]
	v_add_f64 v[37:38], v[37:38], -v[45:46]
	v_add_f64 v[33:34], v[33:34], s[50:51]
	v_fma_f64 v[35:36], v[35:36], v[5:6], v[39:40]
	v_ldexp_f64 v[5:6], v[5:6], 1
	v_add_f64 v[33:34], v[33:34], v[37:38]
	v_fma_f64 v[31:32], v[31:32], v[7:8], v[35:36]
	v_ldexp_f64 v[7:8], v[7:8], 1
	v_add_f64 v[35:36], v[41:42], v[33:34]
	v_add_f64 v[37:38], v[43:44], v[31:32]
	v_add_f64 v[39:40], v[41:42], -v[35:36]
	v_mul_f64 v[41:42], v[37:38], v[35:36]
	v_add_f64 v[43:44], v[37:38], -v[43:44]
	v_add_f64 v[33:34], v[33:34], v[39:40]
	v_fma_f64 v[39:40], v[37:38], v[35:36], -v[41:42]
	v_add_f64 v[31:32], v[31:32], -v[43:44]
	v_fma_f64 v[33:34], v[37:38], v[33:34], v[39:40]
	v_fma_f64 v[31:32], v[31:32], v[35:36], v[33:34]
	v_frexp_exp_i32_f64_e32 v35, v[1:2]
	v_add_f64 v[33:34], v[41:42], v[31:32]
	v_subrev_co_ci_u32_e64 v35, null, 0, v35, vcc_lo
	v_cvt_f64_i32_e32 v[35:36], v35
	v_add_f64 v[37:38], v[7:8], v[33:34]
	v_add_f64 v[39:40], v[33:34], -v[41:42]
	v_mul_f64 v[41:42], v[35:36], s[26:27]
	v_add_f64 v[7:8], v[37:38], -v[7:8]
	v_add_f64 v[31:32], v[31:32], -v[39:40]
	v_fma_f64 v[39:40], v[35:36], s[26:27], -v[41:42]
	v_add_f64 v[7:8], v[33:34], -v[7:8]
	v_add_f64 v[5:6], v[5:6], v[31:32]
	v_fma_f64 v[31:32], v[35:36], s[28:29], v[39:40]
	v_add_f64 v[5:6], v[5:6], v[7:8]
	v_add_f64 v[7:8], v[41:42], v[31:32]
	;; [unrolled: 1-line block ×3, first 2 shown]
	v_add_f64 v[41:42], v[7:8], -v[41:42]
	v_add_f64 v[35:36], v[7:8], v[33:34]
	v_add_f64 v[37:38], v[33:34], -v[37:38]
	v_add_f64 v[31:32], v[31:32], -v[41:42]
	;; [unrolled: 1-line block ×6, first 2 shown]
	v_add_f64 v[37:38], v[31:32], v[5:6]
	v_add_f64 v[7:8], v[7:8], -v[43:44]
	v_add_f64 v[7:8], v[33:34], v[7:8]
	v_add_f64 v[33:34], v[37:38], -v[31:32]
	;; [unrolled: 2-line block ×3, first 2 shown]
	v_add_f64 v[5:6], v[5:6], -v[33:34]
	v_add_f64 v[39:40], v[35:36], v[7:8]
	v_add_f64 v[31:32], v[31:32], -v[37:38]
	v_add_f64 v[33:34], v[39:40], -v[35:36]
	v_add_f64 v[5:6], v[5:6], v[31:32]
	v_add_f64 v[7:8], v[7:8], -v[33:34]
	v_add_f64 v[5:6], v[5:6], v[7:8]
	v_add_f64 v[7:8], v[39:40], v[5:6]
	v_add_f64 v[31:32], v[7:8], -v[39:40]
	v_mul_f64 v[33:34], v[3:4], v[7:8]
	v_add_f64 v[5:6], v[5:6], -v[31:32]
	v_fma_f64 v[7:8], v[3:4], v[7:8], -v[33:34]
	v_cmp_class_f64_e64 vcc_lo, v[33:34], 0x204
	v_fma_f64 v[5:6], v[3:4], v[5:6], v[7:8]
	v_add_f64 v[7:8], v[33:34], v[5:6]
	v_cndmask_b32_e32 v32, v8, v34, vcc_lo
	v_cndmask_b32_e32 v31, v7, v33, vcc_lo
	v_add_f64 v[7:8], v[7:8], -v[33:34]
	v_mul_f64 v[35:36], v[31:32], s[54:55]
	v_cmp_nlt_f64_e64 s0, 0x40900000, v[31:32]
	v_cmp_neq_f64_e64 vcc_lo, 0x7ff00000, |v[31:32]|
	v_cmp_ngt_f64_e64 s1, 0xc090cc00, v[31:32]
	v_add_f64 v[5:6], v[5:6], -v[7:8]
	v_trunc_f64_e32 v[7:8], v[3:4]
	v_rndne_f64_e32 v[35:36], v[35:36]
	v_cndmask_b32_e32 v6, 0, v6, vcc_lo
	v_cndmask_b32_e32 v5, 0, v5, vcc_lo
	s_and_b32 vcc_lo, s1, s0
	v_fma_f64 v[37:38], v[35:36], s[56:57], v[31:32]
	v_cvt_i32_f64_e32 v41, v[35:36]
	v_fma_f64 v[37:38], v[35:36], s[58:59], v[37:38]
	v_fma_f64 v[39:40], v[37:38], s[62:63], s[60:61]
	;; [unrolled: 1-line block ×10, first 2 shown]
	v_fma_f64 v[39:40], v[37:38], v[39:40], 1.0
	v_fma_f64 v[35:36], v[37:38], v[39:40], 1.0
	v_ldexp_f64 v[33:34], v[35:36], v41
	v_mul_f64 v[35:36], v[3:4], 0.5
	v_cndmask_b32_e64 v34, 0x7ff00000, v34, s0
	v_trunc_f64_e32 v[31:32], v[35:36]
	v_cndmask_b32_e32 v33, 0, v33, vcc_lo
	v_cmp_eq_f64_e32 vcc_lo, v[7:8], v[3:4]
	v_cndmask_b32_e64 v34, 0, v34, s1
	v_fma_f64 v[5:6], v[33:34], v[5:6], v[33:34]
	v_cmp_class_f64_e64 s1, v[33:34], 0x204
	v_cmp_neq_f64_e64 s0, v[31:32], v[35:36]
	v_cndmask_b32_e64 v31, 0x7ff00000, 0, s3
	v_cmp_neq_f64_e64 s3, |v[1:2]|, 1.0
	v_cndmask_b32_e64 v6, v6, v34, s1
	v_cndmask_b32_e64 v5, v5, v33, s1
	v_cmp_gt_f64_e64 s1, 0, v[3:4]
	v_cndmask_b32_e32 v8, 0, v5, vcc_lo
	s_and_b32 s0, vcc_lo, s0
	v_cndmask_b32_e64 v7, 0x3ff00000, v2, s0
	v_cndmask_b32_e64 v31, 0x3ff00000, v31, s3
	v_bfi_b32 v6, 0x7fffffff, v6, v7
	v_cndmask_b32_e32 v7, 0x7ff80000, v6, vcc_lo
	v_cmp_gt_f64_e32 vcc_lo, 0, v[1:2]
	s_xor_b32 s1, s1, s2
	v_cndmask_b32_e32 v5, v5, v8, vcc_lo
	v_cndmask_b32_e32 v6, v6, v7, vcc_lo
	v_cmp_class_f64_e64 vcc_lo, v[3:4], 0x204
	v_cndmask_b32_e64 v7, 0x7ff00000, 0, s1
	v_cndmask_b32_e64 v8, 0, v2, s0
	s_or_b32 s0, s2, s7
	v_bfi_b32 v7, 0x7fffffff, v7, v8
	v_cndmask_b32_e32 v6, v6, v31, vcc_lo
	v_cndmask_b32_e64 v6, v6, v7, s0
	s_or_b32 s0, s0, vcc_lo
	v_cmp_o_f64_e32 vcc_lo, v[1:2], v[3:4]
	v_cndmask_b32_e64 v5, v5, 0, s0
	v_cndmask_b32_e32 v1, 0, v5, vcc_lo
	v_cndmask_b32_e32 v2, 0x7ff80000, v6, vcc_lo
	v_add_co_u32 v3, vcc_lo, v15, s8
	v_add_co_ci_u32_e64 v4, null, s9, v16, vcc_lo
	global_store_dwordx2 v[3:4], v[1:2], off
	s_branch .LBB90_3
.LBB90_20:
	s_mov_b32 s0, 0
.LBB90_21:
	s_andn2_b32 vcc_lo, exec_lo, s0
	s_cbranch_vccnz .LBB90_25
; %bb.22:
	v_cmp_gt_i64_e64 s0, 0x10000, s[10:11]
	s_waitcnt vmcnt(0)
	v_mov_b32_e32 v2, 0
	v_lshlrev_b32_e32 v1, 2, v0
	s_mov_b32 s15, 0
	s_and_b32 s0, s0, exec_lo
	s_cselect_b32 s23, s11, 0
	s_cselect_b32 s22, s10, 0x10000
	s_mov_b32 s0, exec_lo
	v_cmpx_gt_i64_e64 s[22:23], v[1:2]
	s_cbranch_execz .LBB90_25
; %bb.23:
	s_load_dword s0, s[4:5], 0xe54
	v_mov_b32_e32 v1, v2
	v_lshlrev_b32_e32 v2, 5, v0
	v_mov_b32_e32 v38, s19
	s_mov_b32 s24, 0x55555555
	s_mov_b32 s26, 0x968915a9
	;; [unrolled: 1-line block ×16, first 2 shown]
	s_waitcnt lgkmcnt(0)
	s_and_b32 s19, s0, 0xffff
	v_add_co_u32 v39, s0, s8, v2
	v_add_co_ci_u32_e64 v40, null, s9, 0, s0
	s_mov_b32 s64, 0x623fde64
	s_mov_b32 s66, 0x7c89e6b0
	s_mov_b32 s68, 0x14761f6e
	s_mov_b32 s70, 0x1852b7b0
	s_mov_b32 s72, 0x11122322
	s_mov_b32 s74, 0x555502a1
	s_mov_b32 s76, 0x55555511
	s_mov_b32 s78, 11
	s_mov_b32 s25, 0x3fe55555
	s_mov_b32 s27, 0x3fba6564
	s_mov_b32 s29, 0x3fbdee67
	s_mov_b32 s31, 0x3fbe25e4
	s_mov_b32 s35, 0x3fc110ef
	s_mov_b32 s37, 0x3fc3b13b
	s_mov_b32 s39, 0x3fc745d1
	s_lshl_b32 s33, s19, 5
	s_mov_b32 s41, 0x3fcc71c7
	s_mov_b32 s43, 0x3fd24924
	s_mov_b32 s45, 0x3fd99999
	s_mov_b32 s47, 0x3fe62e42
	s_mov_b32 s49, 0x3c7abc9e
	s_mov_b32 s51, 0xbfe55555
	s_mov_b32 s50, s24
	s_mov_b32 s53, 0x3c8543b0
	s_mov_b32 s55, 0x3ff71547
	s_mov_b32 s57, 0xbfe62e42
	s_mov_b32 s56, s46
	s_mov_b32 s59, 0xbc7abc9e
	s_mov_b32 s58, s48
	s_mov_b32 s61, 0x3e928af3
	s_mov_b32 s63, 0x3e5ade15
	s_mov_b32 s65, 0x3ec71dee
	s_mov_b32 s67, 0x3efa0199
	s_mov_b32 s69, 0x3f2a01a0
	s_mov_b32 s71, 0x3f56c16c
	s_mov_b32 s73, 0x3f811111
	s_mov_b32 s75, 0x3fa55555
	s_mov_b32 s77, 0x3fc55555
	s_mov_b32 s79, 0x3fe00000
.LBB90_24:                              ; =>This Inner Loop Header: Depth=1
	v_add_co_u32 v2, vcc_lo, s16, v39
	v_add_co_ci_u32_e64 v3, null, s17, v40, vcc_lo
	v_add_co_u32 v0, vcc_lo, v0, s19
	v_add_co_ci_u32_e64 v1, null, 0, v1, vcc_lo
	s_clause 0x1
	global_load_dwordx4 v[10:13], v[2:3], off
	global_load_dwordx4 v[18:21], v[2:3], off offset:16
	s_waitcnt vmcnt(1)
	v_cmp_neq_f64_e32 vcc_lo, 1.0, v[10:11]
	v_cmp_neq_f64_e64 s0, 1.0, v[12:13]
	s_waitcnt vmcnt(0)
	v_cmp_neq_f64_e64 s1, 1.0, v[18:19]
	v_cmp_neq_f64_e64 s2, 1.0, v[20:21]
	v_cndmask_b32_e32 v9, 0x3ff00000, v38, vcc_lo
	v_cndmask_b32_e64 v8, 0, s18, vcc_lo
	v_cndmask_b32_e64 v7, 0x3ff00000, v38, s0
	v_cndmask_b32_e64 v5, 0x3ff00000, v38, s1
	v_cndmask_b32_e64 v3, 0x3ff00000, v38, s2
	v_cndmask_b32_e64 v6, 0, s18, s0
	v_cmp_neq_f64_e32 vcc_lo, 0, v[8:9]
	v_cndmask_b32_e64 v4, 0, s18, s1
	v_cndmask_b32_e64 v2, 0, s18, s2
	v_mul_f64 v[22:23], v[8:9], 0.5
	v_cmp_neq_f64_e64 s0, 0, v[6:7]
	v_mul_f64 v[24:25], v[6:7], 0.5
	v_cmp_neq_f64_e64 s1, 0, v[4:5]
	v_cmp_neq_f64_e64 s2, 0, v[2:3]
	v_mul_f64 v[26:27], v[4:5], 0.5
	v_mul_f64 v[28:29], v[2:3], 0.5
	v_cmp_gt_f64_e64 s7, 0, v[8:9]
	v_cmp_gt_f64_e64 s9, 0, v[4:5]
	;; [unrolled: 1-line block ×3, first 2 shown]
	v_cmp_neq_f64_e64 s12, v[6:7], |v[6:7]|
	v_cmp_neq_f64_e64 s14, v[2:3], |v[2:3]|
	;; [unrolled: 1-line block ×3, first 2 shown]
	v_cmp_gt_f64_e64 s10, 0, v[2:3]
	v_cmp_neq_f64_e64 s11, v[8:9], |v[8:9]|
	v_cndmask_b32_e32 v17, 0x3ff00000, v11, vcc_lo
	v_cndmask_b32_e32 v16, 0, v10, vcc_lo
	v_trunc_f64_e32 v[30:31], v[22:23]
	v_cndmask_b32_e64 v15, 0x3ff00000, v13, s0
	v_cndmask_b32_e64 v14, 0, v12, s0
	v_frexp_mant_f64_e64 v[34:35], |v[16:17]|
	v_cndmask_b32_e64 v13, 0x3ff00000, v19, s1
	v_cndmask_b32_e64 v11, 0x3ff00000, v21, s2
	;; [unrolled: 1-line block ×4, first 2 shown]
	v_trunc_f64_e32 v[18:19], v[26:27]
	v_frexp_mant_f64_e64 v[36:37], |v[14:15]|
	v_trunc_f64_e32 v[32:33], v[24:25]
	v_frexp_mant_f64_e64 v[41:42], |v[12:13]|
	v_frexp_mant_f64_e64 v[43:44], |v[10:11]|
	v_trunc_f64_e32 v[20:21], v[28:29]
	v_frexp_exp_i32_f64_e32 v75, v[16:17]
	v_cmp_lt_f64_e64 s85, |v[14:15]|, 1.0
	v_cmp_lt_f64_e64 s87, |v[10:11]|, 1.0
	;; [unrolled: 1-line block ×4, first 2 shown]
	v_cmp_class_f64_e64 s83, v[14:15], 0x204
	v_cmp_class_f64_e64 s81, v[12:13], 0x204
	;; [unrolled: 1-line block ×3, first 2 shown]
	v_cmp_neq_f64_e64 s2, v[30:31], v[22:23]
	v_cmp_class_f64_e64 s82, v[16:17], 0x204
	v_cmp_gt_f64_e64 s3, s[24:25], v[34:35]
	v_cmp_neq_f64_e64 s0, v[18:19], v[26:27]
	v_cmp_gt_f64_e64 s4, s[24:25], v[36:37]
	v_cmp_neq_f64_e64 s1, v[32:33], v[24:25]
	v_cmp_gt_f64_e64 s5, s[24:25], v[41:42]
	v_cmp_gt_f64_e64 s6, s[24:25], v[43:44]
	v_cmp_neq_f64_e32 vcc_lo, v[20:21], v[28:29]
	s_xor_b32 s11, s11, s84
	v_cndmask_b32_e64 v18, 0, 1, s3
	v_ldexp_f64 v[18:19], v[34:35], v18
	v_cndmask_b32_e64 v20, 0, 1, s4
	v_cndmask_b32_e64 v22, 0, 1, s5
	;; [unrolled: 1-line block ×3, first 2 shown]
	v_ldexp_f64 v[20:21], v[36:37], v20
	v_ldexp_f64 v[22:23], v[41:42], v22
	v_ldexp_f64 v[24:25], v[43:44], v24
	v_add_f64 v[26:27], v[18:19], 1.0
	v_add_f64 v[34:35], v[18:19], -1.0
	v_add_f64 v[28:29], v[20:21], 1.0
	v_add_f64 v[36:37], v[20:21], -1.0
	v_add_f64 v[30:31], v[22:23], 1.0
	v_add_f64 v[32:33], v[24:25], 1.0
	v_add_f64 v[41:42], v[22:23], -1.0
	v_add_f64 v[43:44], v[24:25], -1.0
	v_rcp_f64_e32 v[47:48], v[26:27]
	v_add_f64 v[45:46], v[26:27], -1.0
	v_rcp_f64_e32 v[55:56], v[28:29]
	v_add_f64 v[49:50], v[28:29], -1.0
	v_rcp_f64_e32 v[57:58], v[30:31]
	v_rcp_f64_e32 v[59:60], v[32:33]
	v_add_f64 v[51:52], v[30:31], -1.0
	v_add_f64 v[53:54], v[32:33], -1.0
	v_add_f64 v[18:19], v[18:19], -v[45:46]
	v_fma_f64 v[45:46], -v[26:27], v[47:48], 1.0
	v_add_f64 v[20:21], v[20:21], -v[49:50]
	v_fma_f64 v[49:50], -v[28:29], v[55:56], 1.0
	v_add_f64 v[22:23], v[22:23], -v[51:52]
	v_add_f64 v[24:25], v[24:25], -v[53:54]
	v_fma_f64 v[51:52], -v[30:31], v[57:58], 1.0
	v_fma_f64 v[53:54], -v[32:33], v[59:60], 1.0
	v_fma_f64 v[45:46], v[45:46], v[47:48], v[47:48]
	v_fma_f64 v[47:48], v[49:50], v[55:56], v[55:56]
	;; [unrolled: 1-line block ×4, first 2 shown]
	v_fma_f64 v[53:54], -v[26:27], v[45:46], 1.0
	v_fma_f64 v[55:56], -v[28:29], v[47:48], 1.0
	;; [unrolled: 1-line block ×4, first 2 shown]
	v_fma_f64 v[45:46], v[53:54], v[45:46], v[45:46]
	v_fma_f64 v[47:48], v[55:56], v[47:48], v[47:48]
	;; [unrolled: 1-line block ×4, first 2 shown]
	v_mul_f64 v[53:54], v[34:35], v[45:46]
	v_mul_f64 v[55:56], v[36:37], v[47:48]
	;; [unrolled: 1-line block ×8, first 2 shown]
	v_fma_f64 v[26:27], v[53:54], v[26:27], -v[61:62]
	v_fma_f64 v[28:29], v[55:56], v[28:29], -v[63:64]
	;; [unrolled: 1-line block ×4, first 2 shown]
	v_fma_f64 v[18:19], v[53:54], v[18:19], v[26:27]
	v_fma_f64 v[20:21], v[55:56], v[20:21], v[28:29]
	;; [unrolled: 1-line block ×4, first 2 shown]
	v_add_f64 v[26:27], v[61:62], v[18:19]
	v_add_f64 v[28:29], v[63:64], v[20:21]
	;; [unrolled: 1-line block ×4, first 2 shown]
	v_add_f64 v[61:62], v[26:27], -v[61:62]
	v_add_f64 v[69:70], v[34:35], -v[26:27]
	;; [unrolled: 1-line block ×20, first 2 shown]
	v_add_f64 v[18:19], v[18:19], v[26:27]
	v_add_f64 v[20:21], v[20:21], v[28:29]
	;; [unrolled: 1-line block ×8, first 2 shown]
	v_mul_f64 v[18:19], v[45:46], v[18:19]
	v_mul_f64 v[26:27], v[47:48], v[20:21]
	;; [unrolled: 1-line block ×4, first 2 shown]
	v_add_f64 v[36:37], v[53:54], v[18:19]
	v_add_f64 v[32:33], v[55:56], v[26:27]
	;; [unrolled: 1-line block ×4, first 2 shown]
	v_add_f64 v[30:31], v[36:37], -v[53:54]
	v_mul_f64 v[43:44], v[36:37], v[36:37]
	v_add_f64 v[41:42], v[32:33], -v[55:56]
	v_mul_f64 v[47:48], v[32:33], v[32:33]
	;; [unrolled: 2-line block ×3, first 2 shown]
	v_add_f64 v[51:52], v[20:21], -v[59:60]
	v_add_f64 v[34:35], v[18:19], -v[30:31]
	v_mul_f64 v[53:54], v[20:21], v[20:21]
	v_fma_f64 v[30:31], v[36:37], v[36:37], -v[43:44]
	v_add_f64 v[26:27], v[26:27], -v[41:42]
	v_fma_f64 v[41:42], v[32:33], v[32:33], -v[47:48]
	v_add_f64 v[22:23], v[22:23], -v[45:46]
	;; [unrolled: 2-line block ×3, first 2 shown]
	v_add_f64 v[51:52], v[34:35], v[34:35]
	v_fma_f64 v[28:29], v[20:21], v[20:21], -v[53:54]
	v_add_f64 v[55:56], v[26:27], v[26:27]
	v_add_f64 v[57:58], v[22:23], v[22:23]
	;; [unrolled: 1-line block ×3, first 2 shown]
	v_fma_f64 v[30:31], v[36:37], v[51:52], v[30:31]
	v_fma_f64 v[41:42], v[32:33], v[55:56], v[41:42]
	;; [unrolled: 1-line block ×4, first 2 shown]
	v_add_f64 v[51:52], v[43:44], v[30:31]
	v_add_f64 v[55:56], v[47:48], v[41:42]
	;; [unrolled: 1-line block ×4, first 2 shown]
	v_fma_f64 v[61:62], v[51:52], s[28:29], s[26:27]
	v_mul_f64 v[63:64], v[36:37], v[51:52]
	v_add_f64 v[43:44], v[51:52], -v[43:44]
	v_fma_f64 v[65:66], v[55:56], s[28:29], s[26:27]
	v_add_f64 v[47:48], v[55:56], -v[47:48]
	v_mul_f64 v[67:68], v[32:33], v[55:56]
	v_fma_f64 v[69:70], v[57:58], s[28:29], s[26:27]
	v_add_f64 v[49:50], v[57:58], -v[49:50]
	v_mul_f64 v[71:72], v[24:25], v[57:58]
	v_add_f64 v[53:54], v[59:60], -v[53:54]
	v_fma_f64 v[61:62], v[51:52], v[61:62], s[30:31]
	v_fma_f64 v[73:74], v[59:60], s[28:29], s[26:27]
	v_add_f64 v[30:31], v[30:31], -v[43:44]
	v_mul_f64 v[43:44], v[20:21], v[59:60]
	v_fma_f64 v[65:66], v[55:56], v[65:66], s[30:31]
	v_add_f64 v[41:42], v[41:42], -v[47:48]
	v_fma_f64 v[47:48], v[51:52], v[36:37], -v[63:64]
	v_fma_f64 v[69:70], v[57:58], v[69:70], s[30:31]
	v_add_f64 v[45:46], v[45:46], -v[49:50]
	v_fma_f64 v[49:50], v[55:56], v[32:33], -v[67:68]
	v_add_f64 v[28:29], v[28:29], -v[53:54]
	v_fma_f64 v[53:54], v[51:52], v[61:62], s[34:35]
	v_fma_f64 v[73:74], v[59:60], v[73:74], s[30:31]
	;; [unrolled: 1-line block ×4, first 2 shown]
	v_ldexp_f64 v[34:35], v[34:35], 1
	v_fma_f64 v[69:70], v[57:58], v[69:70], s[34:35]
	v_fma_f64 v[49:50], v[55:56], v[26:27], v[49:50]
	v_ldexp_f64 v[26:27], v[26:27], 1
	v_fma_f64 v[53:54], v[51:52], v[53:54], s[36:37]
	v_fma_f64 v[73:74], v[59:60], v[73:74], s[34:35]
	;; [unrolled: 1-line block ×11, first 2 shown]
	v_mul_f64 v[61:62], v[51:52], v[53:54]
	v_fma_f64 v[51:52], v[51:52], v[53:54], -v[61:62]
	v_fma_f64 v[51:52], v[30:31], v[53:54], v[51:52]
	v_fma_f64 v[30:31], v[30:31], v[36:37], v[47:48]
	;; [unrolled: 1-line block ×3, first 2 shown]
	v_fma_f64 v[53:54], v[57:58], v[24:25], -v[71:72]
	v_ldexp_f64 v[36:37], v[36:37], 1
	v_fma_f64 v[47:48], v[55:56], v[47:48], s[40:41]
	v_fma_f64 v[53:54], v[57:58], v[22:23], v[53:54]
	v_ldexp_f64 v[22:23], v[22:23], 1
	v_fma_f64 v[47:48], v[55:56], v[47:48], s[42:43]
	v_fma_f64 v[47:48], v[55:56], v[47:48], s[44:45]
	v_mul_f64 v[65:66], v[55:56], v[47:48]
	v_fma_f64 v[55:56], v[55:56], v[47:48], -v[65:66]
	v_fma_f64 v[47:48], v[41:42], v[47:48], v[55:56]
	v_fma_f64 v[41:42], v[41:42], v[32:33], v[49:50]
	;; [unrolled: 1-line block ×4, first 2 shown]
	v_add_f64 v[73:74], v[63:64], v[30:31]
	v_fma_f64 v[55:56], v[59:60], v[20:21], -v[43:44]
	v_ldexp_f64 v[32:33], v[32:33], 1
	v_ldexp_f64 v[24:25], v[24:25], 1
	v_fma_f64 v[53:54], v[59:60], v[53:54], s[38:39]
	v_add_f64 v[63:64], v[73:74], -v[63:64]
	v_fma_f64 v[55:56], v[59:60], v[18:19], v[55:56]
	v_ldexp_f64 v[18:19], v[18:19], 1
	v_fma_f64 v[53:54], v[59:60], v[53:54], s[40:41]
	v_add_f64 v[30:31], v[30:31], -v[63:64]
	v_fma_f64 v[63:64], v[57:58], v[69:70], s[44:45]
	v_fma_f64 v[55:56], v[28:29], v[20:21], v[55:56]
	v_ldexp_f64 v[20:21], v[20:21], 1
	v_fma_f64 v[53:54], v[59:60], v[53:54], s[42:43]
	v_mul_f64 v[69:70], v[57:58], v[63:64]
	v_fma_f64 v[53:54], v[59:60], v[53:54], s[44:45]
	v_fma_f64 v[57:58], v[57:58], v[63:64], -v[69:70]
	v_fma_f64 v[45:46], v[45:46], v[63:64], v[57:58]
	v_mul_f64 v[57:58], v[59:60], v[53:54]
	v_fma_f64 v[59:60], v[59:60], v[53:54], -v[57:58]
	v_fma_f64 v[53:54], v[28:29], v[53:54], v[59:60]
	v_add_f64 v[28:29], v[61:62], v[51:52]
	v_add_f64 v[59:60], v[65:66], v[47:48]
	v_add_f64 v[61:62], v[28:29], -v[61:62]
	v_add_f64 v[63:64], v[59:60], -v[65:66]
	v_add_f64 v[65:66], v[28:29], s[24:25]
	v_add_f64 v[51:52], v[51:52], -v[61:62]
	v_add_f64 v[47:48], v[47:48], -v[63:64]
	v_add_f64 v[63:64], v[65:66], s[50:51]
	v_add_f64 v[61:62], v[59:60], s[24:25]
	;; [unrolled: 1-line block ×4, first 2 shown]
	v_add_f64 v[28:29], v[28:29], -v[63:64]
	v_add_f64 v[63:64], v[61:62], s[50:51]
	v_add_f64 v[28:29], v[51:52], v[28:29]
	v_add_f64 v[59:60], v[59:60], -v[63:64]
	v_add_f64 v[63:64], v[67:68], v[41:42]
	v_add_f64 v[51:52], v[65:66], v[28:29]
	;; [unrolled: 1-line block ×3, first 2 shown]
	v_add_f64 v[67:68], v[63:64], -v[67:68]
	v_add_f64 v[59:60], v[65:66], -v[51:52]
	v_mul_f64 v[65:66], v[73:74], v[51:52]
	v_add_f64 v[41:42], v[41:42], -v[67:68]
	v_frexp_exp_i32_f64_e32 v67, v[10:11]
	v_subrev_co_ci_u32_e64 v68, null, 0, v75, s3
	v_cmp_eq_f64_e64 s3, 0, v[14:15]
	v_add_f64 v[28:29], v[28:29], v[59:60]
	v_fma_f64 v[59:60], v[73:74], v[51:52], -v[65:66]
	v_subrev_co_ci_u32_e64 v75, null, 0, v67, s6
	v_cvt_f64_i32_e32 v[67:68], v68
	v_cmp_eq_f64_e64 s6, 0, v[16:17]
	s_xor_b32 s8, s8, s3
	s_or_b32 s3, s3, s83
	v_cndmask_b32_e64 v78, 0x7ff00000, 0, s8
	s_xor_b32 s8, s13, s86
	v_cndmask_b32_e64 v79, 0x7ff00000, 0, s8
	v_cmp_neq_f64_e64 s8, |v[12:13]|, 1.0
	v_fma_f64 v[59:60], v[73:74], v[28:29], v[59:60]
	v_add_f64 v[73:74], v[61:62], v[47:48]
	s_xor_b32 s7, s7, s6
	s_or_b32 s6, s6, s82
	v_cndmask_b32_e64 v76, 0x7ff00000, 0, s7
	s_xor_b32 s7, s12, s85
	v_cndmask_b32_e64 v77, 0x7ff00000, 0, s7
	v_cmp_neq_f64_e64 s7, |v[14:15]|, 1.0
	v_fma_f64 v[51:52], v[30:31], v[51:52], v[59:60]
	v_add_f64 v[28:29], v[61:62], -v[73:74]
	v_mul_f64 v[61:62], v[63:64], v[73:74]
	v_add_f64 v[28:29], v[47:48], v[28:29]
	v_fma_f64 v[47:48], v[63:64], v[73:74], -v[61:62]
	v_fma_f64 v[47:48], v[63:64], v[28:29], v[47:48]
	v_add_f64 v[28:29], v[69:70], v[45:46]
	v_fma_f64 v[41:42], v[41:42], v[73:74], v[47:48]
	v_add_f64 v[63:64], v[28:29], -v[69:70]
	v_add_f64 v[69:70], v[28:29], s[24:25]
	v_add_f64 v[47:48], v[57:58], v[53:54]
	v_add_f64 v[45:46], v[45:46], -v[63:64]
	v_add_f64 v[63:64], v[69:70], s[50:51]
	v_add_f64 v[57:58], v[47:48], -v[57:58]
	v_add_f64 v[73:74], v[47:48], s[24:25]
	v_add_f64 v[45:46], v[45:46], s[52:53]
	v_add_f64 v[63:64], v[28:29], -v[63:64]
	v_add_f64 v[53:54], v[53:54], -v[57:58]
	v_add_f64 v[57:58], v[73:74], s[50:51]
	v_trunc_f64_e32 v[28:29], v[8:9]
	v_add_f64 v[45:46], v[45:46], v[63:64]
	v_add_f64 v[63:64], v[71:72], v[49:50]
	v_add_f64 v[47:48], v[47:48], -v[57:58]
	v_add_f64 v[53:54], v[53:54], s[52:53]
	v_cvt_f64_i32_e32 v[57:58], v75
	v_cndmask_b32_e64 v75, 0x7ff00000, 0, s11
	v_add_f64 v[59:60], v[69:70], v[45:46]
	v_add_f64 v[47:48], v[53:54], v[47:48]
	;; [unrolled: 1-line block ×3, first 2 shown]
	v_add_f64 v[30:31], v[69:70], -v[59:60]
	v_mul_f64 v[69:70], v[63:64], v[59:60]
	v_add_f64 v[43:44], v[53:54], -v[43:44]
	v_add_f64 v[30:31], v[45:46], v[30:31]
	v_fma_f64 v[45:46], v[63:64], v[59:60], -v[69:70]
	v_add_f64 v[43:44], v[55:56], -v[43:44]
	v_fma_f64 v[45:46], v[63:64], v[30:31], v[45:46]
	v_add_f64 v[63:64], v[63:64], -v[71:72]
	v_frexp_exp_i32_f64_e32 v71, v[14:15]
	v_frexp_exp_i32_f64_e32 v72, v[12:13]
	v_trunc_f64_e32 v[30:31], v[6:7]
	v_add_f64 v[49:50], v[49:50], -v[63:64]
	v_subrev_co_ci_u32_e64 v71, null, 0, v71, s4
	v_subrev_co_ci_u32_e64 v72, null, 0, v72, s5
	v_cmp_eq_f64_e64 s4, 0, v[12:13]
	v_cvt_f64_i32_e32 v[63:64], v71
	v_cmp_eq_f64_e64 s5, 0, v[10:11]
	v_cvt_f64_i32_e32 v[71:72], v72
	v_fma_f64 v[45:46], v[49:50], v[59:60], v[45:46]
	v_add_f64 v[49:50], v[73:74], v[47:48]
	s_xor_b32 s9, s9, s4
	s_or_b32 s4, s4, s81
	s_xor_b32 s10, s10, s5
	v_mul_f64 v[55:56], v[71:72], s[46:47]
	s_or_b32 s5, s5, s80
	v_add_f64 v[59:60], v[73:74], -v[49:50]
	v_mul_f64 v[73:74], v[53:54], v[49:50]
	v_add_f64 v[47:48], v[47:48], v[59:60]
	v_fma_f64 v[59:60], v[53:54], v[49:50], -v[73:74]
	v_fma_f64 v[47:48], v[53:54], v[47:48], v[59:60]
	v_mul_f64 v[59:60], v[67:68], s[46:47]
	v_mul_f64 v[53:54], v[63:64], s[46:47]
	v_fma_f64 v[43:44], v[43:44], v[49:50], v[47:48]
	v_fma_f64 v[49:50], v[67:68], s[46:47], -v[59:60]
	v_mul_f64 v[47:48], v[57:58], s[46:47]
	v_fma_f64 v[49:50], v[67:68], s[48:49], v[49:50]
	v_fma_f64 v[67:68], v[63:64], s[46:47], -v[53:54]
	v_fma_f64 v[63:64], v[63:64], s[48:49], v[67:68]
	v_fma_f64 v[67:68], v[71:72], s[46:47], -v[55:56]
	;; [unrolled: 2-line block ×3, first 2 shown]
	v_fma_f64 v[57:58], v[57:58], s[48:49], v[71:72]
	v_add_f64 v[71:72], v[59:60], v[49:50]
	v_add_f64 v[59:60], v[71:72], -v[59:60]
	v_add_f64 v[49:50], v[49:50], -v[59:60]
	v_add_f64 v[59:60], v[53:54], v[63:64]
	v_add_f64 v[53:54], v[59:60], -v[53:54]
	v_add_f64 v[53:54], v[63:64], -v[53:54]
	;; [unrolled: 3-line block ×5, first 2 shown]
	v_add_f64 v[65:66], v[61:62], v[41:42]
	v_add_f64 v[34:35], v[34:35], v[51:52]
	v_add_f64 v[61:62], v[65:66], -v[61:62]
	v_add_f64 v[51:52], v[32:33], v[65:66]
	v_add_f64 v[41:42], v[41:42], -v[61:62]
	;; [unrolled: 2-line block ×5, first 2 shown]
	v_trunc_f64_e32 v[32:33], v[2:3]
	v_add_f64 v[45:46], v[45:46], -v[69:70]
	v_add_f64 v[69:70], v[73:74], v[43:44]
	v_add_f64 v[24:25], v[41:42], -v[24:25]
	v_add_f64 v[26:27], v[26:27], v[65:66]
	v_add_f64 v[22:23], v[22:23], v[45:46]
	v_add_f64 v[73:74], v[69:70], -v[73:74]
	v_add_f64 v[45:46], v[20:21], v[69:70]
	v_add_f64 v[24:25], v[61:62], -v[24:25]
	v_add_f64 v[43:44], v[43:44], -v[73:74]
	v_add_f64 v[73:74], v[36:37], v[57:58]
	v_add_f64 v[20:21], v[45:46], -v[20:21]
	v_add_f64 v[22:23], v[22:23], v[24:25]
	v_add_f64 v[24:25], v[51:52], v[26:27]
	;; [unrolled: 1-line block ×3, first 2 shown]
	v_add_f64 v[36:37], v[73:74], -v[36:37]
	v_add_f64 v[20:21], v[69:70], -v[20:21]
	v_add_f64 v[43:44], v[41:42], v[22:23]
	v_add_f64 v[51:52], v[24:25], -v[51:52]
	v_add_f64 v[57:58], v[57:58], -v[36:37]
	v_add_f64 v[18:19], v[18:19], v[20:21]
	;; [unrolled: 3-line block ×3, first 2 shown]
	v_trunc_f64_e32 v[36:37], v[4:5]
	v_add_f64 v[34:35], v[34:35], v[57:58]
	v_add_f64 v[57:58], v[45:46], v[18:19]
	v_add_f64 v[22:23], v[22:23], -v[41:42]
	v_add_f64 v[20:21], v[73:74], v[34:35]
	v_add_f64 v[45:46], v[57:58], -v[45:46]
	;; [unrolled: 2-line block ×4, first 2 shown]
	v_add_f64 v[34:35], v[34:35], -v[61:62]
	v_add_f64 v[61:62], v[59:60], v[24:25]
	v_add_f64 v[45:46], v[65:66], -v[71:72]
	v_add_f64 v[69:70], v[61:62], -v[59:60]
	;; [unrolled: 1-line block ×7, first 2 shown]
	v_cndmask_b32_e64 v71, 0x3ff00000, v77, s7
	v_cndmask_b32_e64 v72, 0x3ff00000, v79, s8
	v_add_f64 v[59:60], v[59:60], -v[69:70]
	v_add_f64 v[69:70], v[51:52], -v[63:64]
	v_add_f64 v[20:21], v[20:21], v[45:46]
	v_add_f64 v[45:46], v[49:50], v[34:35]
	;; [unrolled: 1-line block ×3, first 2 shown]
	v_add_f64 v[43:44], v[43:44], -v[69:70]
	v_add_f64 v[69:70], v[51:52], -v[69:70]
	v_add_f64 v[59:60], v[53:54], v[26:27]
	v_add_f64 v[20:21], v[45:46], v[20:21]
	v_add_f64 v[63:64], v[63:64], -v[69:70]
	v_add_f64 v[69:70], v[41:42], -v[67:68]
	v_add_f64 v[24:25], v[59:60], v[24:25]
	v_add_f64 v[43:44], v[43:44], v[63:64]
	v_add_f64 v[57:58], v[57:58], -v[69:70]
	v_add_f64 v[69:70], v[41:42], -v[69:70]
	v_add_f64 v[63:64], v[55:56], v[22:23]
	v_add_f64 v[67:68], v[67:68], -v[69:70]
	v_add_f64 v[43:44], v[63:64], v[43:44]
	v_cndmask_b32_e64 v69, 0x7ff00000, 0, s9
	s_xor_b32 s9, s14, s87
	v_cndmask_b32_e64 v70, 0x7ff00000, 0, s9
	v_cmp_neq_f64_e64 s9, |v[10:11]|, 1.0
	v_add_f64 v[57:58], v[57:58], v[67:68]
	v_add_f64 v[67:68], v[45:46], -v[49:50]
	v_cndmask_b32_e64 v70, 0x3ff00000, v70, s9
	v_add_f64 v[34:35], v[34:35], -v[67:68]
	v_add_f64 v[67:68], v[45:46], -v[67:68]
	v_add_f64 v[45:46], v[59:60], -v[53:54]
	v_add_f64 v[49:50], v[49:50], -v[67:68]
	v_add_f64 v[67:68], v[47:48], v[18:19]
	v_add_f64 v[26:27], v[26:27], -v[45:46]
	v_add_f64 v[45:46], v[59:60], -v[45:46]
	;; [unrolled: 1-line block ×3, first 2 shown]
	v_add_f64 v[34:35], v[34:35], v[49:50]
	v_add_f64 v[57:58], v[67:68], v[57:58]
	v_add_f64 v[45:46], v[53:54], -v[45:46]
	v_add_f64 v[22:23], v[22:23], -v[59:60]
	;; [unrolled: 1-line block ×4, first 2 shown]
	v_add_f64 v[49:50], v[41:42], v[57:58]
	v_add_f64 v[26:27], v[26:27], v[45:46]
	v_add_f64 v[53:54], v[55:56], -v[59:60]
	v_add_f64 v[18:19], v[18:19], -v[63:64]
	;; [unrolled: 1-line block ×3, first 2 shown]
	v_add_f64 v[55:56], v[65:66], v[20:21]
	v_add_f64 v[59:60], v[61:62], v[24:25]
	v_cndmask_b32_e64 v67, 0x7ff00000, 0, s10
	v_cmp_neq_f64_e64 s10, |v[16:17]|, 1.0
	v_add_f64 v[41:42], v[49:50], -v[41:42]
	v_add_f64 v[22:23], v[22:23], v[53:54]
	v_add_f64 v[47:48], v[47:48], -v[63:64]
	v_add_f64 v[63:64], v[51:52], v[43:44]
	v_add_f64 v[45:46], v[55:56], -v[65:66]
	v_cndmask_b32_e64 v68, 0x3ff00000, v75, s10
	v_add_f64 v[41:42], v[57:58], -v[41:42]
	v_add_f64 v[18:19], v[18:19], v[47:48]
	v_add_f64 v[51:52], v[63:64], -v[51:52]
	v_add_f64 v[47:48], v[59:60], -v[61:62]
	;; [unrolled: 1-line block ×3, first 2 shown]
	v_add_f64 v[18:19], v[18:19], v[41:42]
	v_add_f64 v[43:44], v[43:44], -v[51:52]
	v_add_f64 v[24:25], v[24:25], -v[47:48]
	v_add_f64 v[20:21], v[34:35], v[20:21]
	v_add_f64 v[22:23], v[22:23], v[43:44]
	;; [unrolled: 1-line block ×7, first 2 shown]
	v_add_f64 v[45:46], v[26:27], -v[55:56]
	v_mul_f64 v[47:48], v[8:9], v[26:27]
	v_add_f64 v[49:50], v[43:44], -v[49:50]
	v_add_f64 v[55:56], v[41:42], -v[63:64]
	v_mul_f64 v[57:58], v[4:5], v[41:42]
	v_add_f64 v[51:52], v[34:35], -v[59:60]
	v_mul_f64 v[53:54], v[6:7], v[34:35]
	v_mul_f64 v[59:60], v[2:3], v[43:44]
	v_add_f64 v[20:21], v[20:21], -v[45:46]
	v_fma_f64 v[26:27], v[8:9], v[26:27], -v[47:48]
	v_add_f64 v[18:19], v[18:19], -v[49:50]
	v_cmp_class_f64_e64 s7, v[47:48], 0x204
	v_add_f64 v[22:23], v[22:23], -v[55:56]
	v_fma_f64 v[41:42], v[4:5], v[41:42], -v[57:58]
	v_add_f64 v[24:25], v[24:25], -v[51:52]
	v_fma_f64 v[34:35], v[6:7], v[34:35], -v[53:54]
	v_fma_f64 v[43:44], v[2:3], v[43:44], -v[59:60]
	v_cmp_class_f64_e64 s9, v[57:58], 0x204
	v_fma_f64 v[20:21], v[8:9], v[20:21], v[26:27]
	v_cmp_class_f64_e64 s8, v[53:54], 0x204
	v_cmp_class_f64_e64 s10, v[59:60], 0x204
	v_fma_f64 v[22:23], v[4:5], v[22:23], v[41:42]
	v_fma_f64 v[24:25], v[6:7], v[24:25], v[34:35]
	;; [unrolled: 1-line block ×3, first 2 shown]
	v_add_f64 v[26:27], v[47:48], v[20:21]
	v_add_f64 v[41:42], v[57:58], v[22:23]
	;; [unrolled: 1-line block ×4, first 2 shown]
	v_cndmask_b32_e64 v46, v27, v48, s7
	v_cndmask_b32_e64 v45, v26, v47, s7
	v_add_f64 v[26:27], v[26:27], -v[47:48]
	v_cmp_neq_f64_e64 s7, 0x7ff00000, |v[45:46]|
	v_cmp_ngt_f64_e64 s11, 0xc090cc00, v[45:46]
	v_cndmask_b32_e64 v48, v42, v58, s9
	v_cndmask_b32_e64 v47, v41, v57, s9
	;; [unrolled: 1-line block ×6, first 2 shown]
	v_add_f64 v[41:42], v[41:42], -v[57:58]
	v_mul_f64 v[57:58], v[47:48], s[54:55]
	v_add_f64 v[34:35], v[34:35], -v[53:54]
	v_mul_f64 v[55:56], v[49:50], s[54:55]
	;; [unrolled: 2-line block ×3, first 2 shown]
	v_mul_f64 v[59:60], v[51:52], s[54:55]
	v_add_f64 v[20:21], v[20:21], -v[26:27]
	v_cmp_neq_f64_e64 s8, 0x7ff00000, |v[49:50]|
	v_cmp_neq_f64_e64 s10, 0x7ff00000, |v[51:52]|
	;; [unrolled: 1-line block ×3, first 2 shown]
	v_cmp_ngt_f64_e64 s12, 0xc090cc00, v[49:50]
	v_cmp_ngt_f64_e64 s13, 0xc090cc00, v[47:48]
	;; [unrolled: 1-line block ×3, first 2 shown]
	v_add_f64 v[22:23], v[22:23], -v[41:42]
	v_rndne_f64_e32 v[41:42], v[57:58]
	v_add_f64 v[24:25], v[24:25], -v[34:35]
	v_rndne_f64_e32 v[34:35], v[55:56]
	;; [unrolled: 2-line block ×3, first 2 shown]
	v_rndne_f64_e32 v[43:44], v[59:60]
	v_cndmask_b32_e64 v21, 0, v21, s7
	v_cndmask_b32_e64 v20, 0, v20, s7
	v_cmp_nlt_f64_e64 s7, 0x40900000, v[49:50]
	v_cndmask_b32_e64 v23, 0, v23, s9
	v_fma_f64 v[57:58], v[41:42], s[56:57], v[47:48]
	v_cvt_i32_f64_e32 v63, v[41:42]
	v_fma_f64 v[55:56], v[34:35], s[56:57], v[49:50]
	v_cvt_i32_f64_e32 v62, v[34:35]
	v_fma_f64 v[53:54], v[26:27], s[56:57], v[45:46]
	v_fma_f64 v[59:60], v[43:44], s[56:57], v[51:52]
	v_cvt_i32_f64_e32 v61, v[26:27]
	v_cvt_i32_f64_e32 v64, v[43:44]
	v_cndmask_b32_e64 v25, 0, v25, s8
	v_cndmask_b32_e64 v24, 0, v24, s8
	v_cmp_nlt_f64_e64 s8, 0x40900000, v[47:48]
	v_cndmask_b32_e64 v19, 0, v19, s10
	v_cndmask_b32_e64 v18, 0, v18, s10
	v_cmp_nlt_f64_e64 s10, 0x40900000, v[45:46]
	v_cndmask_b32_e64 v22, 0, v22, s9
	v_cmp_nlt_f64_e64 s9, 0x40900000, v[51:52]
	v_fma_f64 v[41:42], v[41:42], s[58:59], v[57:58]
	v_fma_f64 v[34:35], v[34:35], s[58:59], v[55:56]
	;; [unrolled: 1-line block ×40, first 2 shown]
	v_fma_f64 v[57:58], v[41:42], v[57:58], 1.0
	v_fma_f64 v[55:56], v[34:35], v[55:56], 1.0
	;; [unrolled: 1-line block ×8, first 2 shown]
	v_ldexp_f64 v[41:42], v[41:42], v63
	v_ldexp_f64 v[34:35], v[34:35], v62
	;; [unrolled: 1-line block ×4, first 2 shown]
	v_cndmask_b32_e64 v42, 0x7ff00000, v42, s8
	v_cndmask_b32_e64 v35, 0x7ff00000, v35, s7
	s_and_b32 s7, s12, s7
	v_cndmask_b32_e64 v27, 0x7ff00000, v27, s10
	v_cndmask_b32_e64 v44, 0x7ff00000, v44, s9
	;; [unrolled: 1-line block ×3, first 2 shown]
	s_and_b32 s7, s13, s8
	v_cndmask_b32_e64 v42, 0, v42, s13
	s_and_b32 s10, s11, s10
	v_cndmask_b32_e64 v41, 0, v41, s7
	;; [unrolled: 2-line block ×3, first 2 shown]
	v_cndmask_b32_e64 v26, 0, v26, s10
	v_cndmask_b32_e64 v35, 0, v35, s12
	;; [unrolled: 1-line block ×4, first 2 shown]
	v_fma_f64 v[22:23], v[41:42], v[22:23], v[41:42]
	v_cmp_class_f64_e64 s9, v[41:42], 0x204
	v_fma_f64 v[20:21], v[26:27], v[20:21], v[26:27]
	v_cmp_class_f64_e64 s7, v[26:27], 0x204
	v_fma_f64 v[24:25], v[34:35], v[24:25], v[34:35]
	v_fma_f64 v[18:19], v[43:44], v[18:19], v[43:44]
	v_cmp_class_f64_e64 s8, v[34:35], 0x204
	v_cmp_class_f64_e64 s10, v[43:44], 0x204
	v_cmp_eq_f64_e64 s14, v[32:33], v[2:3]
	v_cmp_eq_f64_e64 s12, v[30:31], v[6:7]
	;; [unrolled: 1-line block ×4, first 2 shown]
	v_cndmask_b32_e64 v22, v22, v41, s9
	v_cndmask_b32_e64 v23, v23, v42, s9
	v_cmp_gt_f64_e64 s9, 0, v[10:11]
	v_cndmask_b32_e64 v20, v20, v26, s7
	v_cndmask_b32_e64 v21, v21, v27, s7
	v_cmp_gt_f64_e64 s7, 0, v[14:15]
	v_cndmask_b32_e64 v24, v24, v34, s8
	v_cndmask_b32_e64 v18, v18, v43, s10
	;; [unrolled: 1-line block ×4, first 2 shown]
	v_cmp_gt_f64_e64 s8, 0, v[12:13]
	v_cmp_gt_f64_e64 s10, 0, v[16:17]
	v_cndmask_b32_e64 v29, 0, v18, s14
	v_cndmask_b32_e64 v26, 0, v24, s12
	v_cndmask_b32_e64 v27, 0, v20, s11
	v_cndmask_b32_e64 v28, 0, v22, s13
	s_and_b32 vcc_lo, s14, vcc_lo
	s_and_b32 s2, s11, s2
	v_cndmask_b32_e32 v33, 0, v11, vcc_lo
	s_and_b32 s1, s12, s1
	s_and_b32 s0, s13, s0
	v_cndmask_b32_e64 v30, 0, v17, s2
	v_cndmask_b32_e64 v31, 0, v15, s1
	;; [unrolled: 1-line block ×4, first 2 shown]
	v_cndmask_b32_e32 v29, 0x3ff00000, v11, vcc_lo
	v_cmp_class_f64_e64 vcc_lo, v[8:9], 0x204
	v_cndmask_b32_e64 v24, v24, v26, s7
	v_cndmask_b32_e64 v26, 0x3ff00000, v17, s2
	v_cmp_class_f64_e64 s2, v[2:3], 0x204
	v_bfi_b32 v19, 0x7fffffff, v19, v29
	v_bfi_b32 v29, 0x7fffffff, v67, v33
	v_cndmask_b32_e64 v22, v22, v28, s8
	v_cndmask_b32_e64 v20, v20, v27, s10
	;; [unrolled: 1-line block ×4, first 2 shown]
	v_cmp_class_f64_e64 s0, v[6:7], 0x204
	v_cmp_class_f64_e64 s1, v[4:5], 0x204
	v_bfi_b32 v21, 0x7fffffff, v21, v26
	v_bfi_b32 v25, 0x7fffffff, v25, v27
	v_bfi_b32 v23, 0x7fffffff, v23, v28
	v_bfi_b32 v26, 0x7fffffff, v76, v30
	v_bfi_b32 v27, 0x7fffffff, v78, v31
	v_cndmask_b32_e64 v30, 0x7ff80000, v21, s11
	v_bfi_b32 v28, 0x7fffffff, v69, v32
	v_cndmask_b32_e64 v31, 0x7ff80000, v25, s12
	v_cndmask_b32_e64 v32, 0x7ff80000, v23, s13
	;; [unrolled: 1-line block ×7, first 2 shown]
	v_cndmask_b32_e32 v21, v21, v68, vcc_lo
	v_cndmask_b32_e64 v19, v19, v70, s2
	v_cndmask_b32_e64 v25, v25, v71, s0
	;; [unrolled: 1-line block ×3, first 2 shown]
	s_or_b32 s0, s3, s0
	s_or_b32 s1, s4, s1
	;; [unrolled: 1-line block ×3, first 2 shown]
	v_cndmask_b32_e64 v21, v21, v26, s6
	s_or_b32 s6, s6, vcc_lo
	v_cmp_o_f64_e32 vcc_lo, v[16:17], v[8:9]
	v_cndmask_b32_e64 v8, v24, 0, s0
	v_cmp_o_f64_e64 s0, v[14:15], v[6:7]
	v_cndmask_b32_e64 v6, v22, 0, s1
	v_cmp_o_f64_e64 s1, v[12:13], v[4:5]
	;; [unrolled: 2-line block ×3, first 2 shown]
	v_lshlrev_b64 v[2:3], 2, v[0:1]
	v_cndmask_b32_e64 v25, v25, v27, s3
	v_cndmask_b32_e64 v20, v20, 0, s6
	v_add_co_u32 v10, s3, s20, v39
	v_cndmask_b32_e64 v23, v23, v28, s4
	v_cndmask_b32_e64 v19, v19, v29, s5
	v_add_co_ci_u32_e64 v11, null, s21, v40, s3
	v_cmp_le_i64_e64 s3, s[22:23], v[2:3]
	v_add_co_u32 v39, s4, v39, s33
	v_add_co_ci_u32_e64 v40, null, 0, v40, s4
	v_cndmask_b32_e32 v2, 0, v20, vcc_lo
	v_cndmask_b32_e32 v3, 0x7ff80000, v21, vcc_lo
	v_cndmask_b32_e64 v4, 0, v8, s0
	s_or_b32 s15, s3, s15
	v_cndmask_b32_e64 v6, 0, v6, s1
	v_cndmask_b32_e64 v7, 0x7ff80000, v23, s1
	;; [unrolled: 1-line block ×5, first 2 shown]
	global_store_dwordx4 v[10:11], v[2:5], off
	global_store_dwordx4 v[10:11], v[6:9], off offset:16
	s_andn2_b32 exec_lo, exec_lo, s15
	s_cbranch_execnz .LBB90_24
.LBB90_25:
	s_endpgm
	.section	.rodata,"a",@progbits
	.p2align	6, 0x0
	.amdhsa_kernel _ZN2at6native12_GLOBAL__N_125multi_tensor_apply_kernelINS1_28TensorListScalarListMetadataIdLi2EEENS1_25BinaryOpScalarListFunctorIdLi2ELi1ELi1EEEJNS1_13power_functorIdEEEEEvT_T0_DpT1_
		.amdhsa_group_segment_fixed_size 0
		.amdhsa_private_segment_fixed_size 0
		.amdhsa_kernarg_size 3912
		.amdhsa_user_sgpr_count 6
		.amdhsa_user_sgpr_private_segment_buffer 1
		.amdhsa_user_sgpr_dispatch_ptr 0
		.amdhsa_user_sgpr_queue_ptr 0
		.amdhsa_user_sgpr_kernarg_segment_ptr 1
		.amdhsa_user_sgpr_dispatch_id 0
		.amdhsa_user_sgpr_flat_scratch_init 0
		.amdhsa_user_sgpr_private_segment_size 0
		.amdhsa_wavefront_size32 1
		.amdhsa_uses_dynamic_stack 0
		.amdhsa_system_sgpr_private_segment_wavefront_offset 0
		.amdhsa_system_sgpr_workgroup_id_x 1
		.amdhsa_system_sgpr_workgroup_id_y 0
		.amdhsa_system_sgpr_workgroup_id_z 0
		.amdhsa_system_sgpr_workgroup_info 0
		.amdhsa_system_vgpr_workitem_id 0
		.amdhsa_next_free_vgpr 80
		.amdhsa_next_free_sgpr 88
		.amdhsa_reserve_vcc 1
		.amdhsa_reserve_flat_scratch 0
		.amdhsa_float_round_mode_32 0
		.amdhsa_float_round_mode_16_64 0
		.amdhsa_float_denorm_mode_32 3
		.amdhsa_float_denorm_mode_16_64 3
		.amdhsa_dx10_clamp 1
		.amdhsa_ieee_mode 1
		.amdhsa_fp16_overflow 0
		.amdhsa_workgroup_processor_mode 1
		.amdhsa_memory_ordered 1
		.amdhsa_forward_progress 1
		.amdhsa_shared_vgpr_count 0
		.amdhsa_exception_fp_ieee_invalid_op 0
		.amdhsa_exception_fp_denorm_src 0
		.amdhsa_exception_fp_ieee_div_zero 0
		.amdhsa_exception_fp_ieee_overflow 0
		.amdhsa_exception_fp_ieee_underflow 0
		.amdhsa_exception_fp_ieee_inexact 0
		.amdhsa_exception_int_div_zero 0
	.end_amdhsa_kernel
	.section	.text._ZN2at6native12_GLOBAL__N_125multi_tensor_apply_kernelINS1_28TensorListScalarListMetadataIdLi2EEENS1_25BinaryOpScalarListFunctorIdLi2ELi1ELi1EEEJNS1_13power_functorIdEEEEEvT_T0_DpT1_,"axG",@progbits,_ZN2at6native12_GLOBAL__N_125multi_tensor_apply_kernelINS1_28TensorListScalarListMetadataIdLi2EEENS1_25BinaryOpScalarListFunctorIdLi2ELi1ELi1EEEJNS1_13power_functorIdEEEEEvT_T0_DpT1_,comdat
.Lfunc_end90:
	.size	_ZN2at6native12_GLOBAL__N_125multi_tensor_apply_kernelINS1_28TensorListScalarListMetadataIdLi2EEENS1_25BinaryOpScalarListFunctorIdLi2ELi1ELi1EEEJNS1_13power_functorIdEEEEEvT_T0_DpT1_, .Lfunc_end90-_ZN2at6native12_GLOBAL__N_125multi_tensor_apply_kernelINS1_28TensorListScalarListMetadataIdLi2EEENS1_25BinaryOpScalarListFunctorIdLi2ELi1ELi1EEEJNS1_13power_functorIdEEEEEvT_T0_DpT1_
                                        ; -- End function
	.set _ZN2at6native12_GLOBAL__N_125multi_tensor_apply_kernelINS1_28TensorListScalarListMetadataIdLi2EEENS1_25BinaryOpScalarListFunctorIdLi2ELi1ELi1EEEJNS1_13power_functorIdEEEEEvT_T0_DpT1_.num_vgpr, 80
	.set _ZN2at6native12_GLOBAL__N_125multi_tensor_apply_kernelINS1_28TensorListScalarListMetadataIdLi2EEENS1_25BinaryOpScalarListFunctorIdLi2ELi1ELi1EEEJNS1_13power_functorIdEEEEEvT_T0_DpT1_.num_agpr, 0
	.set _ZN2at6native12_GLOBAL__N_125multi_tensor_apply_kernelINS1_28TensorListScalarListMetadataIdLi2EEENS1_25BinaryOpScalarListFunctorIdLi2ELi1ELi1EEEJNS1_13power_functorIdEEEEEvT_T0_DpT1_.numbered_sgpr, 88
	.set _ZN2at6native12_GLOBAL__N_125multi_tensor_apply_kernelINS1_28TensorListScalarListMetadataIdLi2EEENS1_25BinaryOpScalarListFunctorIdLi2ELi1ELi1EEEJNS1_13power_functorIdEEEEEvT_T0_DpT1_.num_named_barrier, 0
	.set _ZN2at6native12_GLOBAL__N_125multi_tensor_apply_kernelINS1_28TensorListScalarListMetadataIdLi2EEENS1_25BinaryOpScalarListFunctorIdLi2ELi1ELi1EEEJNS1_13power_functorIdEEEEEvT_T0_DpT1_.private_seg_size, 0
	.set _ZN2at6native12_GLOBAL__N_125multi_tensor_apply_kernelINS1_28TensorListScalarListMetadataIdLi2EEENS1_25BinaryOpScalarListFunctorIdLi2ELi1ELi1EEEJNS1_13power_functorIdEEEEEvT_T0_DpT1_.uses_vcc, 1
	.set _ZN2at6native12_GLOBAL__N_125multi_tensor_apply_kernelINS1_28TensorListScalarListMetadataIdLi2EEENS1_25BinaryOpScalarListFunctorIdLi2ELi1ELi1EEEJNS1_13power_functorIdEEEEEvT_T0_DpT1_.uses_flat_scratch, 0
	.set _ZN2at6native12_GLOBAL__N_125multi_tensor_apply_kernelINS1_28TensorListScalarListMetadataIdLi2EEENS1_25BinaryOpScalarListFunctorIdLi2ELi1ELi1EEEJNS1_13power_functorIdEEEEEvT_T0_DpT1_.has_dyn_sized_stack, 0
	.set _ZN2at6native12_GLOBAL__N_125multi_tensor_apply_kernelINS1_28TensorListScalarListMetadataIdLi2EEENS1_25BinaryOpScalarListFunctorIdLi2ELi1ELi1EEEJNS1_13power_functorIdEEEEEvT_T0_DpT1_.has_recursion, 0
	.set _ZN2at6native12_GLOBAL__N_125multi_tensor_apply_kernelINS1_28TensorListScalarListMetadataIdLi2EEENS1_25BinaryOpScalarListFunctorIdLi2ELi1ELi1EEEJNS1_13power_functorIdEEEEEvT_T0_DpT1_.has_indirect_call, 0
	.section	.AMDGPU.csdata,"",@progbits
; Kernel info:
; codeLenInByte = 14536
; TotalNumSgprs: 90
; NumVgprs: 80
; ScratchSize: 0
; MemoryBound: 0
; FloatMode: 240
; IeeeMode: 1
; LDSByteSize: 0 bytes/workgroup (compile time only)
; SGPRBlocks: 0
; VGPRBlocks: 9
; NumSGPRsForWavesPerEU: 90
; NumVGPRsForWavesPerEU: 80
; Occupancy: 12
; WaveLimiterHint : 1
; COMPUTE_PGM_RSRC2:SCRATCH_EN: 0
; COMPUTE_PGM_RSRC2:USER_SGPR: 6
; COMPUTE_PGM_RSRC2:TRAP_HANDLER: 0
; COMPUTE_PGM_RSRC2:TGID_X_EN: 1
; COMPUTE_PGM_RSRC2:TGID_Y_EN: 0
; COMPUTE_PGM_RSRC2:TGID_Z_EN: 0
; COMPUTE_PGM_RSRC2:TIDIG_COMP_CNT: 0
	.section	.text._ZN2at6native12_GLOBAL__N_125multi_tensor_apply_kernelINS1_28TensorListScalarListMetadataIfLi2EEENS1_25BinaryOpScalarListFunctorIfLi2ELi1ELi1EEEJNS1_13power_functorIfEEEEEvT_T0_DpT1_,"axG",@progbits,_ZN2at6native12_GLOBAL__N_125multi_tensor_apply_kernelINS1_28TensorListScalarListMetadataIfLi2EEENS1_25BinaryOpScalarListFunctorIfLi2ELi1ELi1EEEJNS1_13power_functorIfEEEEEvT_T0_DpT1_,comdat
	.globl	_ZN2at6native12_GLOBAL__N_125multi_tensor_apply_kernelINS1_28TensorListScalarListMetadataIfLi2EEENS1_25BinaryOpScalarListFunctorIfLi2ELi1ELi1EEEJNS1_13power_functorIfEEEEEvT_T0_DpT1_ ; -- Begin function _ZN2at6native12_GLOBAL__N_125multi_tensor_apply_kernelINS1_28TensorListScalarListMetadataIfLi2EEENS1_25BinaryOpScalarListFunctorIfLi2ELi1ELi1EEEJNS1_13power_functorIfEEEEEvT_T0_DpT1_
	.p2align	8
	.type	_ZN2at6native12_GLOBAL__N_125multi_tensor_apply_kernelINS1_28TensorListScalarListMetadataIfLi2EEENS1_25BinaryOpScalarListFunctorIfLi2ELi1ELi1EEEJNS1_13power_functorIfEEEEEvT_T0_DpT1_,@function
_ZN2at6native12_GLOBAL__N_125multi_tensor_apply_kernelINS1_28TensorListScalarListMetadataIfLi2EEENS1_25BinaryOpScalarListFunctorIfLi2ELi1ELi1EEEJNS1_13power_functorIfEEEEEvT_T0_DpT1_: ; @_ZN2at6native12_GLOBAL__N_125multi_tensor_apply_kernelINS1_28TensorListScalarListMetadataIfLi2EEENS1_25BinaryOpScalarListFunctorIfLi2ELi1ELi1EEEJNS1_13power_functorIfEEEEEvT_T0_DpT1_
; %bb.0:
	v_mov_b32_e32 v1, s6
	s_add_u32 s0, s4, s6
	s_mul_hi_u32 s1, s6, 3
	s_mul_i32 s6, s6, 3
	s_addc_u32 s2, s5, 0
	global_load_ubyte v1, v1, s[4:5] offset:1792
	s_add_u32 s0, s0, s6
	s_addc_u32 s1, s2, s1
	s_load_dword s0, s[0:1], 0x840
	s_waitcnt vmcnt(0)
	v_readfirstlane_b32 s1, v1
	v_lshlrev_b32_e32 v1, 2, v1
	s_lshl_b32 s6, s1, 3
	v_sub_co_u32 v1, s1, 0, v1
	v_sub_co_ci_u32_e64 v2, null, 0, 0, s1
	s_waitcnt lgkmcnt(0)
	s_ashr_i32 s1, s0, 31
	s_clause 0x2
	s_load_dwordx2 s[2:3], s[4:5], s6 offset:0x400
	s_load_dwordx2 s[18:19], s[4:5], s6 offset:0x0
	s_load_dwordx2 s[20:21], s[4:5], s6 offset:0x200
	s_add_u32 s6, s4, s6
	s_addc_u32 s7, s5, 0
	v_add_co_u32 v1, vcc_lo, s6, v1
	v_add_co_ci_u32_e64 v2, null, s7, v2, vcc_lo
	s_lshl_b64 s[8:9], s[0:1], 18
	v_readfirstlane_b32 s6, v1
	s_lshl_b64 s[0:1], s[0:1], 16
	v_readfirstlane_b32 s7, v2
	s_load_dword s24, s[6:7], 0x600
	s_mov_b32 s7, 0
	s_mov_b32 s13, s7
	s_waitcnt lgkmcnt(0)
	s_add_u32 s6, s18, s8
	s_and_b32 s12, s20, 15
	s_and_b32 s6, s6, 15
	s_sub_u32 s10, s2, s0
	s_subb_u32 s11, s3, s1
	s_and_b32 s0, s2, 3
	s_mov_b32 s1, s7
	s_or_b64 s[0:1], s[12:13], s[0:1]
	s_or_b64 s[0:1], s[0:1], s[6:7]
	s_cmp_eq_u64 s[0:1], 0
	s_mov_b32 s0, -1
	s_cbranch_scc1 .LBB91_21
; %bb.1:
	v_cmp_lt_i64_e64 s0, s[10:11], 1
	s_and_b32 vcc_lo, exec_lo, s0
	s_cbranch_vccnz .LBB91_20
; %bb.2:
	s_load_dword s0, s[4:5], 0xd54
	v_lshlrev_b32_e32 v9, 2, v0
	v_cmp_gt_i64_e64 s1, 0x10000, s[10:11]
	v_cmp_gt_u64_e64 s2, 0x10000, s[10:11]
	v_mov_b32_e32 v10, 0
	s_mov_b64 s[16:17], 0
	v_add_co_u32 v1, s3, s18, v9
	s_and_b32 s1, s1, exec_lo
	v_add_co_ci_u32_e64 v2, null, s19, 0, s3
	v_add_co_u32 v3, s3, s20, v9
	s_cselect_b32 s13, s11, 0
	s_cselect_b32 s12, s10, 0x10000
	v_add_co_ci_u32_e64 v4, null, s21, 0, s3
	s_mov_b32 s23, 0x3e76c4e1
	s_waitcnt lgkmcnt(0)
	s_and_b32 s0, s0, 0xffff
	s_and_b32 s1, s2, exec_lo
	s_cselect_b32 s15, s11, 0
	s_cselect_b32 s14, s10, 0x10000
	s_mul_i32 s2, s0, 3
	s_lshl_b32 s3, s0, 3
	v_mad_u64_u32 v[7:8], null, s0, 12, v[9:10]
	v_add_co_u32 v14, s3, s3, v9
	v_add_co_u32 v9, s2, s2, v0
	v_add_co_ci_u32_e64 v10, null, 0, 0, s2
	v_add_co_u32 v13, s2, v0, s0
	s_lshl_b32 s1, s0, 1
	v_add_co_u32 v5, vcc_lo, s18, v7
	v_lshlrev_b32_e32 v21, 2, v13
	v_add_co_ci_u32_e64 v15, null, 0, 0, s3
	v_add_co_ci_u32_e64 v6, null, s19, v8, vcc_lo
	v_add_co_u32 v7, vcc_lo, s20, v7
	v_add_co_u32 v17, s1, s1, v0
	v_add_co_ci_u32_e64 v8, null, s21, v8, vcc_lo
	v_add_co_u32 v11, vcc_lo, s18, v14
	v_add_co_ci_u32_e64 v18, null, 0, 0, s1
	v_add_co_u32 v19, s1, s18, v21
	v_add_co_ci_u32_e64 v12, null, s19, v15, vcc_lo
	v_add_co_u32 v14, vcc_lo, s20, v14
	v_add_co_ci_u32_e64 v20, null, s19, 0, s1
	v_add_co_u32 v21, s1, s20, v21
	v_add_co_ci_u32_e64 v15, null, s21, v15, vcc_lo
	v_add_co_ci_u32_e64 v16, null, 0, 0, s2
	v_add_co_ci_u32_e64 v22, null, s21, 0, s1
	s_lshl_b32 s7, s0, 2
	s_lshl_b32 s22, s0, 4
	s_branch .LBB91_4
.LBB91_3:                               ;   in Loop: Header=BB91_4 Depth=1
	s_or_b32 exec_lo, exec_lo, s3
	v_add_co_u32 v1, vcc_lo, v1, s22
	v_add_co_ci_u32_e64 v2, null, 0, v2, vcc_lo
	v_add_co_u32 v3, vcc_lo, v3, s22
	v_add_co_ci_u32_e64 v4, null, 0, v4, vcc_lo
	;; [unrolled: 2-line block ×4, first 2 shown]
	v_add_co_u32 v11, vcc_lo, v11, s22
	s_add_u32 s16, s16, s7
	v_add_co_ci_u32_e64 v12, null, 0, v12, vcc_lo
	v_add_co_u32 v14, vcc_lo, v14, s22
	s_addc_u32 s17, s17, 0
	v_add_co_ci_u32_e64 v15, null, 0, v15, vcc_lo
	v_add_co_u32 v19, vcc_lo, v19, s22
	v_cmp_lt_i64_e64 s0, s[16:17], s[12:13]
	v_add_co_ci_u32_e64 v20, null, 0, v20, vcc_lo
	v_add_co_u32 v21, vcc_lo, v21, s22
	v_add_co_ci_u32_e64 v22, null, 0, v22, vcc_lo
	s_and_b32 vcc_lo, exec_lo, s0
	s_cbranch_vccz .LBB91_20
.LBB91_4:                               ; =>This Inner Loop Header: Depth=1
	s_waitcnt vmcnt(0)
	v_add_co_u32 v23, s0, v0, s16
	v_add_co_ci_u32_e64 v24, null, 0, s17, s0
	v_mov_b32_e32 v26, 0
	v_cmp_gt_u64_e64 s2, s[14:15], v[23:24]
	s_and_saveexec_b32 s0, s2
	s_cbranch_execz .LBB91_6
; %bb.5:                                ;   in Loop: Header=BB91_4 Depth=1
	v_add_co_u32 v23, vcc_lo, v1, s8
	v_add_co_ci_u32_e64 v24, null, s9, v2, vcc_lo
	global_load_dword v26, v[23:24], off
.LBB91_6:                               ;   in Loop: Header=BB91_4 Depth=1
	s_or_b32 exec_lo, exec_lo, s0
	v_add_co_u32 v23, vcc_lo, v13, s16
	v_add_co_ci_u32_e64 v24, null, s17, v16, vcc_lo
	v_mov_b32_e32 v25, 0
	v_cmp_gt_u64_e64 s1, s[14:15], v[23:24]
	v_mov_b32_e32 v24, 0
	s_and_saveexec_b32 s0, s1
	s_cbranch_execz .LBB91_8
; %bb.7:                                ;   in Loop: Header=BB91_4 Depth=1
	v_add_co_u32 v27, vcc_lo, v19, s8
	v_add_co_ci_u32_e64 v28, null, s9, v20, vcc_lo
	global_load_dword v25, v[27:28], off
.LBB91_8:                               ;   in Loop: Header=BB91_4 Depth=1
	s_or_b32 exec_lo, exec_lo, s0
	v_add_co_u32 v27, vcc_lo, v17, s16
	v_add_co_ci_u32_e64 v28, null, s17, v18, vcc_lo
	v_cmp_gt_u64_e64 s0, s[14:15], v[27:28]
	s_and_saveexec_b32 s3, s0
	s_cbranch_execz .LBB91_10
; %bb.9:                                ;   in Loop: Header=BB91_4 Depth=1
	v_add_co_u32 v23, vcc_lo, v11, s8
	v_add_co_ci_u32_e64 v24, null, s9, v12, vcc_lo
	global_load_dword v24, v[23:24], off
.LBB91_10:                              ;   in Loop: Header=BB91_4 Depth=1
	s_or_b32 exec_lo, exec_lo, s3
	v_add_co_u32 v27, vcc_lo, v9, s16
	v_add_co_ci_u32_e64 v28, null, s17, v10, vcc_lo
	v_mov_b32_e32 v23, 0
	v_cmp_gt_u64_e32 vcc_lo, s[14:15], v[27:28]
	s_and_saveexec_b32 s6, vcc_lo
	s_cbranch_execnz .LBB91_15
; %bb.11:                               ;   in Loop: Header=BB91_4 Depth=1
	s_or_b32 exec_lo, exec_lo, s6
	s_and_saveexec_b32 s25, s2
	s_cbranch_execnz .LBB91_16
.LBB91_12:                              ;   in Loop: Header=BB91_4 Depth=1
	s_or_b32 exec_lo, exec_lo, s25
	s_and_saveexec_b32 s25, s1
	s_cbranch_execnz .LBB91_17
.LBB91_13:                              ;   in Loop: Header=BB91_4 Depth=1
	s_or_b32 exec_lo, exec_lo, s25
	s_and_saveexec_b32 s6, s0
	s_cbranch_execnz .LBB91_18
.LBB91_14:                              ;   in Loop: Header=BB91_4 Depth=1
	s_or_b32 exec_lo, exec_lo, s6
	s_and_saveexec_b32 s3, vcc_lo
	s_cbranch_execz .LBB91_3
	s_branch .LBB91_19
.LBB91_15:                              ;   in Loop: Header=BB91_4 Depth=1
	v_add_co_u32 v27, s3, v5, s8
	v_add_co_ci_u32_e64 v28, null, s9, v6, s3
	global_load_dword v23, v[27:28], off
	s_or_b32 exec_lo, exec_lo, s6
	s_and_saveexec_b32 s25, s2
	s_cbranch_execz .LBB91_12
.LBB91_16:                              ;   in Loop: Header=BB91_4 Depth=1
	s_waitcnt vmcnt(0)
	v_cmp_neq_f32_e64 s2, 1.0, v26
	v_cndmask_b32_e64 v28, 1.0, s24, s2
	v_cmp_neq_f32_e64 s2, 0, v28
	v_cmp_neq_f32_e64 s26, v28, |v28|
	v_cndmask_b32_e64 v29, 1.0, v26, s2
	v_cvt_f64_f32_e64 v[26:27], |v29|
	v_cmp_lt_f32_e64 s27, |v29|, 1.0
	v_cmp_eq_f32_e64 s6, 0, v29
	s_xor_b32 s26, s26, s27
	v_frexp_exp_i32_f64_e32 v26, v[26:27]
	v_frexp_mant_f32_e64 v27, |v29|
	v_cmp_gt_f32_e64 s2, 0x3f2aaaab, v27
	v_cndmask_b32_e64 v30, 1.0, 2.0, s2
	v_mul_f32_e32 v27, v27, v30
	v_add_f32_e32 v30, 1.0, v27
	v_add_f32_e32 v32, -1.0, v27
	v_subrev_co_ci_u32_e64 v26, null, 0, v26, s2
	v_rcp_f32_e32 v31, v30
	v_add_f32_e32 v34, -1.0, v30
	v_cvt_f32_i32_e32 v26, v26
	v_sub_f32_e32 v27, v27, v34
	v_mul_f32_e32 v33, v32, v31
	v_mul_f32_e32 v35, v30, v33
	v_fma_f32 v30, v33, v30, -v35
	v_fmac_f32_e32 v30, v33, v27
	v_add_f32_e32 v27, v35, v30
	v_sub_f32_e32 v34, v32, v27
	v_sub_f32_e32 v35, v27, v35
	;; [unrolled: 1-line block ×5, first 2 shown]
	v_add_f32_e32 v27, v30, v27
	v_add_f32_e32 v27, v34, v27
	v_mul_f32_e32 v27, v31, v27
	v_add_f32_e32 v30, v33, v27
	v_sub_f32_e32 v31, v30, v33
	v_mul_f32_e32 v32, v30, v30
	v_sub_f32_e32 v27, v27, v31
	v_fma_f32 v31, v30, v30, -v32
	v_add_f32_e32 v33, v27, v27
	v_fmac_f32_e32 v31, v30, v33
	v_add_f32_e32 v33, v32, v31
	v_fmaak_f32 v34, s23, v33, 0x3e91f4c4
	v_sub_f32_e32 v32, v33, v32
	v_mul_f32_e32 v37, v30, v33
	v_fmaak_f32 v34, v33, v34, 0x3ecccdef
	v_sub_f32_e32 v31, v31, v32
	v_fma_f32 v38, v33, v30, -v37
	v_mul_f32_e32 v35, v33, v34
	v_fmac_f32_e32 v38, v33, v27
	v_ldexp_f32 v27, v27, 1
	v_fma_f32 v32, v33, v34, -v35
	v_fmac_f32_e32 v38, v31, v30
	v_ldexp_f32 v30, v30, 1
	v_fmac_f32_e32 v32, v31, v34
	v_add_f32_e32 v33, v37, v38
	v_add_f32_e32 v34, v35, v32
	v_sub_f32_e32 v35, v34, v35
	v_add_f32_e32 v36, 0x3f2aaaaa, v34
	v_sub_f32_e32 v32, v32, v35
	v_add_f32_e32 v35, 0xbf2aaaaa, v36
	v_add_f32_e32 v32, 0x31739010, v32
	v_sub_f32_e32 v34, v34, v35
	v_add_f32_e32 v32, v32, v34
	v_add_f32_e32 v31, v36, v32
	v_sub_f32_e32 v34, v36, v31
	v_mul_f32_e32 v35, v33, v31
	v_sub_f32_e32 v36, v33, v37
	v_add_f32_e32 v32, v32, v34
	v_fma_f32 v34, v33, v31, -v35
	v_sub_f32_e32 v36, v38, v36
	v_fmac_f32_e32 v34, v33, v32
	v_fmac_f32_e32 v34, v36, v31
	v_add_f32_e32 v31, v35, v34
	v_sub_f32_e32 v32, v31, v35
	v_add_f32_e32 v33, v30, v31
	v_mul_f32_e32 v35, 0x3f317218, v26
	v_sub_f32_e32 v32, v34, v32
	v_sub_f32_e32 v30, v33, v30
	v_fma_f32 v34, 0x3f317218, v26, -v35
	v_add_f32_e32 v27, v27, v32
	v_sub_f32_e32 v30, v31, v30
	v_fmac_f32_e32 v34, 0xb102e308, v26
	v_add_f32_e32 v26, v27, v30
	v_add_f32_e32 v27, v35, v34
	;; [unrolled: 1-line block ×3, first 2 shown]
	v_sub_f32_e32 v35, v27, v35
	v_add_f32_e32 v31, v27, v30
	v_sub_f32_e32 v33, v30, v33
	v_sub_f32_e32 v34, v34, v35
	;; [unrolled: 1-line block ×6, first 2 shown]
	v_add_f32_e32 v32, v34, v26
	v_sub_f32_e32 v27, v27, v36
	v_add_f32_e32 v27, v30, v27
	v_sub_f32_e32 v30, v32, v34
	;; [unrolled: 2-line block ×3, first 2 shown]
	v_sub_f32_e32 v26, v26, v30
	v_add_f32_e32 v33, v31, v27
	v_sub_f32_e32 v30, v34, v32
	v_sub_f32_e32 v31, v33, v31
	v_add_f32_e32 v26, v26, v30
	v_sub_f32_e32 v27, v27, v31
	v_add_f32_e32 v26, v26, v27
	v_add_f32_e32 v27, v33, v26
	v_sub_f32_e32 v30, v27, v33
	v_mul_f32_e32 v31, v28, v27
	v_sub_f32_e32 v26, v26, v30
	v_fma_f32 v27, v28, v27, -v31
	v_cmp_class_f32_e64 s2, v31, 0x204
	v_fmac_f32_e32 v27, v28, v26
	v_add_f32_e32 v26, v31, v27
	v_cndmask_b32_e64 v30, v26, v31, s2
	v_sub_f32_e32 v26, v26, v31
	v_cmp_eq_f32_e64 s2, 0x42b17218, v30
	v_sub_f32_e32 v26, v27, v26
	v_trunc_f32_e32 v27, v28
	v_cndmask_b32_e64 v32, 0, 0x37000000, s2
	v_cmp_neq_f32_e64 s2, 0x7f800000, |v30|
	v_sub_f32_e32 v33, v30, v32
	v_cndmask_b32_e64 v26, 0, v26, s2
	v_mul_f32_e32 v34, 0x3fb8aa3b, v33
	v_cmp_ngt_f32_e64 s2, 0xc2ce8ed0, v33
	v_cmp_nlt_f32_e64 s3, 0x42b17218, v33
	v_add_f32_e32 v26, v32, v26
	v_fma_f32 v35, 0x3fb8aa3b, v33, -v34
	v_rndne_f32_e32 v36, v34
	v_fmac_f32_e32 v35, 0x32a5705f, v33
	v_sub_f32_e32 v34, v34, v36
	v_cvt_i32_f32_e32 v31, v36
	v_add_f32_e32 v34, v34, v35
	v_exp_f32_e32 v34, v34
	v_ldexp_f32 v31, v34, v31
	v_mul_f32_e32 v34, 0.5, v28
	v_cndmask_b32_e64 v30, 0, v31, s2
	v_trunc_f32_e32 v31, v34
	v_cmp_eq_f32_e64 s2, v27, v28
	v_cndmask_b32_e64 v27, 0x7f800000, v30, s3
	v_cmp_neq_f32_e64 s3, v31, v34
	v_fma_f32 v26, v27, v26, v27
	s_and_b32 s3, s2, s3
	v_cndmask_b32_e64 v30, 0, v29, s3
	v_cndmask_b32_e64 v31, 1.0, v29, s3
	v_cmp_class_f32_e64 s3, v27, 0x204
	v_cndmask_b32_e64 v26, v26, v27, s3
	v_cmp_gt_f32_e64 s3, 0, v28
	v_cndmask_b32_e64 v27, 0x7f800000, 0, s26
	v_bfi_b32 v26, 0x7fffffff, v26, v31
	v_cndmask_b32_e64 v31, 0x7fc00000, v26, s2
	s_xor_b32 s2, s3, s6
	v_cmp_class_f32_e64 s3, v29, 0x204
	v_cndmask_b32_e64 v32, 0x7f800000, 0, s2
	v_cmp_neq_f32_e64 s2, |v29|, 1.0
	v_bfi_b32 v30, 0x7fffffff, v32, v30
	v_cndmask_b32_e64 v27, 1.0, v27, s2
	v_cmp_gt_f32_e64 s2, 0, v29
	v_cndmask_b32_e64 v26, v26, v31, s2
	v_cmp_class_f32_e64 s2, v28, 0x204
	v_cndmask_b32_e64 v26, v26, v27, s2
	s_or_b32 s2, s6, s3
	v_cndmask_b32_e64 v30, v26, v30, s2
	v_add_co_u32 v26, s2, v3, s8
	v_add_co_ci_u32_e64 v27, null, s9, v4, s2
	v_cmp_o_f32_e64 s2, v29, v28
	v_cndmask_b32_e64 v28, 0x7fc00000, v30, s2
	global_store_dword v[26:27], v28, off
	s_or_b32 exec_lo, exec_lo, s25
	s_and_saveexec_b32 s25, s1
	s_cbranch_execz .LBB91_13
.LBB91_17:                              ;   in Loop: Header=BB91_4 Depth=1
	s_waitcnt vmcnt(0)
	v_cmp_neq_f32_e64 s1, 1.0, v25
	v_cndmask_b32_e64 v27, 1.0, s24, s1
	v_cmp_neq_f32_e64 s1, 0, v27
	v_cmp_neq_f32_e64 s26, v27, |v27|
	v_cndmask_b32_e64 v28, 1.0, v25, s1
	v_frexp_mant_f32_e64 v25, |v28|
	v_cmp_lt_f32_e64 s27, |v28|, 1.0
	v_cmp_eq_f32_e64 s6, 0, v28
	v_cmp_gt_f32_e64 s1, 0x3f2aaaab, v25
	s_xor_b32 s26, s26, s27
	v_cndmask_b32_e64 v26, 1.0, 2.0, s1
	v_mul_f32_e32 v25, v25, v26
	v_add_f32_e32 v26, 1.0, v25
	v_add_f32_e32 v30, -1.0, v25
	v_rcp_f32_e32 v29, v26
	v_add_f32_e32 v32, -1.0, v26
	v_sub_f32_e32 v25, v25, v32
	v_mul_f32_e32 v31, v30, v29
	v_mul_f32_e32 v33, v26, v31
	v_fma_f32 v26, v31, v26, -v33
	v_fmac_f32_e32 v26, v31, v25
	v_add_f32_e32 v25, v33, v26
	v_sub_f32_e32 v32, v30, v25
	v_sub_f32_e32 v33, v25, v33
	v_sub_f32_e32 v30, v30, v32
	v_sub_f32_e32 v26, v33, v26
	v_sub_f32_e32 v25, v30, v25
	v_add_f32_e32 v25, v26, v25
	v_add_f32_e32 v25, v32, v25
	v_mul_f32_e32 v25, v29, v25
	v_add_f32_e32 v29, v31, v25
	v_sub_f32_e32 v26, v29, v31
	v_mul_f32_e32 v30, v29, v29
	v_sub_f32_e32 v31, v25, v26
	v_fma_f32 v25, v29, v29, -v30
	v_add_f32_e32 v26, v31, v31
	v_fmac_f32_e32 v25, v29, v26
	v_add_f32_e32 v32, v30, v25
	v_fmaak_f32 v26, s23, v32, 0x3e91f4c4
	v_sub_f32_e32 v30, v32, v30
	v_mul_f32_e32 v37, v29, v32
	v_fmaak_f32 v26, v32, v26, 0x3ecccdef
	v_sub_f32_e32 v30, v25, v30
	v_fma_f32 v38, v32, v29, -v37
	v_mul_f32_e32 v33, v32, v26
	v_fmac_f32_e32 v38, v32, v31
	v_ldexp_f32 v31, v31, 1
	v_fma_f32 v34, v32, v26, -v33
	v_fmac_f32_e32 v38, v30, v29
	v_fmac_f32_e32 v34, v30, v26
	v_cvt_f64_f32_e64 v[25:26], |v28|
	v_add_f32_e32 v35, v33, v34
	v_sub_f32_e32 v33, v35, v33
	v_add_f32_e32 v36, 0x3f2aaaaa, v35
	v_sub_f32_e32 v33, v34, v33
	v_add_f32_e32 v34, 0xbf2aaaaa, v36
	v_add_f32_e32 v33, 0x31739010, v33
	v_sub_f32_e32 v34, v35, v34
	v_frexp_exp_i32_f64_e32 v25, v[25:26]
	v_add_f32_e32 v32, v33, v34
	v_add_f32_e32 v33, v37, v38
	;; [unrolled: 1-line block ×3, first 2 shown]
	v_sub_f32_e32 v35, v33, v37
	v_sub_f32_e32 v26, v36, v30
	v_mul_f32_e32 v34, v33, v30
	v_sub_f32_e32 v35, v38, v35
	v_add_f32_e32 v26, v32, v26
	v_fma_f32 v32, v33, v30, -v34
	v_subrev_co_ci_u32_e64 v25, null, 0, v25, s1
	v_fmac_f32_e32 v32, v33, v26
	v_ldexp_f32 v26, v29, 1
	v_cvt_f32_i32_e32 v25, v25
	v_fmac_f32_e32 v32, v35, v30
	v_add_f32_e32 v29, v34, v32
	v_add_f32_e32 v30, v26, v29
	v_sub_f32_e32 v33, v29, v34
	v_mul_f32_e32 v34, 0x3f317218, v25
	v_sub_f32_e32 v26, v30, v26
	v_sub_f32_e32 v32, v32, v33
	v_fma_f32 v33, 0x3f317218, v25, -v34
	v_sub_f32_e32 v26, v29, v26
	v_add_f32_e32 v29, v31, v32
	v_fmac_f32_e32 v33, 0xb102e308, v25
	v_add_f32_e32 v25, v29, v26
	v_add_f32_e32 v26, v34, v33
	v_add_f32_e32 v29, v30, v25
	v_sub_f32_e32 v34, v26, v34
	v_add_f32_e32 v31, v26, v29
	v_sub_f32_e32 v30, v29, v30
	v_sub_f32_e32 v33, v33, v34
	;; [unrolled: 1-line block ×6, first 2 shown]
	v_add_f32_e32 v30, v33, v25
	v_sub_f32_e32 v26, v26, v35
	v_add_f32_e32 v26, v29, v26
	v_sub_f32_e32 v29, v30, v33
	;; [unrolled: 2-line block ×3, first 2 shown]
	v_sub_f32_e32 v25, v25, v29
	v_add_f32_e32 v32, v31, v26
	v_sub_f32_e32 v29, v33, v30
	v_sub_f32_e32 v30, v32, v31
	v_add_f32_e32 v25, v25, v29
	v_sub_f32_e32 v26, v26, v30
	v_add_f32_e32 v25, v25, v26
	v_add_f32_e32 v26, v32, v25
	v_sub_f32_e32 v29, v26, v32
	v_mul_f32_e32 v30, v27, v26
	v_sub_f32_e32 v25, v25, v29
	v_fma_f32 v26, v27, v26, -v30
	v_cmp_class_f32_e64 s1, v30, 0x204
	v_fmac_f32_e32 v26, v27, v25
	v_add_f32_e32 v25, v30, v26
	v_cndmask_b32_e64 v29, v25, v30, s1
	v_sub_f32_e32 v25, v25, v30
	v_cmp_eq_f32_e64 s1, 0x42b17218, v29
	v_sub_f32_e32 v25, v26, v25
	v_cndmask_b32_e64 v31, 0, 0x37000000, s1
	v_cmp_neq_f32_e64 s1, 0x7f800000, |v29|
	v_sub_f32_e32 v32, v29, v31
	v_cndmask_b32_e64 v25, 0, v25, s1
	v_trunc_f32_e32 v29, v27
	v_mul_f32_e32 v33, 0x3fb8aa3b, v32
	v_cmp_ngt_f32_e64 s1, 0xc2ce8ed0, v32
	v_add_f32_e32 v25, v31, v25
	v_fma_f32 v34, 0x3fb8aa3b, v32, -v33
	v_rndne_f32_e32 v35, v33
	v_fmac_f32_e32 v34, 0x32a5705f, v32
	v_sub_f32_e32 v33, v33, v35
	v_cvt_i32_f32_e32 v30, v35
	v_add_f32_e32 v33, v33, v34
	v_exp_f32_e32 v33, v33
	v_ldexp_f32 v26, v33, v30
	v_mul_f32_e32 v30, 0.5, v27
	v_cndmask_b32_e64 v26, 0, v26, s1
	v_cmp_nlt_f32_e64 s1, 0x42b17218, v32
	v_trunc_f32_e32 v33, v30
	v_cndmask_b32_e64 v26, 0x7f800000, v26, s1
	v_cmp_eq_f32_e64 s1, v29, v27
	v_cmp_neq_f32_e64 s2, v33, v30
	v_fma_f32 v25, v26, v25, v26
	v_cmp_class_f32_e64 s3, v26, 0x204
	s_and_b32 s2, s1, s2
	v_cndmask_b32_e64 v29, 1.0, v28, s2
	v_cndmask_b32_e64 v31, 0, v28, s2
	v_cndmask_b32_e64 v25, v25, v26, s3
	;; [unrolled: 1-line block ×3, first 2 shown]
	v_cmp_gt_f32_e64 s3, 0, v27
	v_cmp_class_f32_e64 s2, v28, 0x204
	v_bfi_b32 v25, 0x7fffffff, v25, v29
	s_xor_b32 s3, s3, s6
	v_cndmask_b32_e64 v29, 0x7f800000, 0, s3
	v_cndmask_b32_e64 v30, 0x7fc00000, v25, s1
	v_cmp_neq_f32_e64 s1, |v28|, 1.0
	v_bfi_b32 v29, 0x7fffffff, v29, v31
	v_cndmask_b32_e64 v26, 1.0, v26, s1
	v_cmp_gt_f32_e64 s1, 0, v28
	v_cndmask_b32_e64 v25, v25, v30, s1
	v_cmp_class_f32_e64 s1, v27, 0x204
	v_cndmask_b32_e64 v25, v25, v26, s1
	s_or_b32 s1, s6, s2
	v_cndmask_b32_e64 v25, v25, v29, s1
	v_cmp_o_f32_e64 s1, v28, v27
	v_cndmask_b32_e64 v27, 0x7fc00000, v25, s1
	v_add_co_u32 v25, s1, v21, s8
	v_add_co_ci_u32_e64 v26, null, s9, v22, s1
	global_store_dword v[25:26], v27, off
	s_or_b32 exec_lo, exec_lo, s25
	s_and_saveexec_b32 s6, s0
	s_cbranch_execz .LBB91_14
.LBB91_18:                              ;   in Loop: Header=BB91_4 Depth=1
	s_waitcnt vmcnt(0)
	v_cmp_neq_f32_e64 s0, 1.0, v24
	v_cndmask_b32_e64 v26, 1.0, s24, s0
	v_cmp_neq_f32_e64 s0, 0, v26
	v_cmp_neq_f32_e64 s25, v26, |v26|
	v_cndmask_b32_e64 v27, 1.0, v24, s0
	v_frexp_mant_f32_e64 v24, |v27|
	v_cmp_lt_f32_e64 s26, |v27|, 1.0
	v_cmp_eq_f32_e64 s3, 0, v27
	v_cmp_gt_f32_e64 s0, 0x3f2aaaab, v24
	s_xor_b32 s25, s25, s26
	v_cndmask_b32_e64 v25, 1.0, 2.0, s0
	v_mul_f32_e32 v24, v24, v25
	v_add_f32_e32 v25, 1.0, v24
	v_add_f32_e32 v29, -1.0, v24
	v_rcp_f32_e32 v28, v25
	v_add_f32_e32 v31, -1.0, v25
	v_sub_f32_e32 v24, v24, v31
	v_mul_f32_e32 v30, v29, v28
	v_mul_f32_e32 v32, v25, v30
	v_fma_f32 v25, v30, v25, -v32
	v_fmac_f32_e32 v25, v30, v24
	v_add_f32_e32 v24, v32, v25
	v_sub_f32_e32 v31, v29, v24
	v_sub_f32_e32 v32, v24, v32
	;; [unrolled: 1-line block ×5, first 2 shown]
	v_add_f32_e32 v24, v25, v24
	v_add_f32_e32 v24, v31, v24
	v_mul_f32_e32 v24, v28, v24
	v_add_f32_e32 v28, v30, v24
	v_sub_f32_e32 v25, v28, v30
	v_mul_f32_e32 v29, v28, v28
	v_sub_f32_e32 v30, v24, v25
	v_fma_f32 v24, v28, v28, -v29
	v_add_f32_e32 v25, v30, v30
	v_fmac_f32_e32 v24, v28, v25
	v_add_f32_e32 v31, v29, v24
	v_fmaak_f32 v25, s23, v31, 0x3e91f4c4
	v_sub_f32_e32 v29, v31, v29
	v_mul_f32_e32 v36, v28, v31
	v_fmaak_f32 v25, v31, v25, 0x3ecccdef
	v_sub_f32_e32 v29, v24, v29
	v_fma_f32 v37, v31, v28, -v36
	v_mul_f32_e32 v32, v31, v25
	v_fmac_f32_e32 v37, v31, v30
	v_ldexp_f32 v30, v30, 1
	v_fma_f32 v33, v31, v25, -v32
	v_fmac_f32_e32 v37, v29, v28
	v_fmac_f32_e32 v33, v29, v25
	v_cvt_f64_f32_e64 v[24:25], |v27|
	v_add_f32_e32 v34, v32, v33
	v_sub_f32_e32 v32, v34, v32
	v_add_f32_e32 v35, 0x3f2aaaaa, v34
	v_sub_f32_e32 v32, v33, v32
	v_add_f32_e32 v33, 0xbf2aaaaa, v35
	v_add_f32_e32 v32, 0x31739010, v32
	v_sub_f32_e32 v33, v34, v33
	v_frexp_exp_i32_f64_e32 v24, v[24:25]
	v_add_f32_e32 v31, v32, v33
	v_add_f32_e32 v32, v36, v37
	;; [unrolled: 1-line block ×3, first 2 shown]
	v_sub_f32_e32 v34, v32, v36
	v_sub_f32_e32 v25, v35, v29
	v_mul_f32_e32 v33, v32, v29
	v_sub_f32_e32 v34, v37, v34
	v_add_f32_e32 v25, v31, v25
	v_fma_f32 v31, v32, v29, -v33
	v_subrev_co_ci_u32_e64 v24, null, 0, v24, s0
	v_fmac_f32_e32 v31, v32, v25
	v_ldexp_f32 v25, v28, 1
	v_cvt_f32_i32_e32 v24, v24
	v_fmac_f32_e32 v31, v34, v29
	v_add_f32_e32 v28, v33, v31
	v_add_f32_e32 v29, v25, v28
	v_sub_f32_e32 v32, v28, v33
	v_mul_f32_e32 v33, 0x3f317218, v24
	v_sub_f32_e32 v25, v29, v25
	v_sub_f32_e32 v31, v31, v32
	v_fma_f32 v32, 0x3f317218, v24, -v33
	v_sub_f32_e32 v25, v28, v25
	v_add_f32_e32 v28, v30, v31
	v_fmac_f32_e32 v32, 0xb102e308, v24
	v_add_f32_e32 v24, v28, v25
	v_add_f32_e32 v25, v33, v32
	;; [unrolled: 1-line block ×3, first 2 shown]
	v_sub_f32_e32 v33, v25, v33
	v_add_f32_e32 v30, v25, v28
	v_sub_f32_e32 v29, v28, v29
	v_sub_f32_e32 v32, v32, v33
	;; [unrolled: 1-line block ×6, first 2 shown]
	v_add_f32_e32 v29, v32, v24
	v_sub_f32_e32 v25, v25, v34
	v_add_f32_e32 v25, v28, v25
	v_sub_f32_e32 v28, v29, v32
	;; [unrolled: 2-line block ×3, first 2 shown]
	v_sub_f32_e32 v24, v24, v28
	v_add_f32_e32 v31, v30, v25
	v_sub_f32_e32 v28, v32, v29
	v_sub_f32_e32 v29, v31, v30
	v_add_f32_e32 v24, v24, v28
	v_sub_f32_e32 v25, v25, v29
	v_add_f32_e32 v24, v24, v25
	v_add_f32_e32 v25, v31, v24
	v_sub_f32_e32 v28, v25, v31
	v_mul_f32_e32 v29, v26, v25
	v_sub_f32_e32 v24, v24, v28
	v_fma_f32 v25, v26, v25, -v29
	v_cmp_class_f32_e64 s0, v29, 0x204
	v_fmac_f32_e32 v25, v26, v24
	v_add_f32_e32 v24, v29, v25
	v_cndmask_b32_e64 v28, v24, v29, s0
	v_sub_f32_e32 v24, v24, v29
	v_cmp_eq_f32_e64 s0, 0x42b17218, v28
	v_sub_f32_e32 v24, v25, v24
	v_cndmask_b32_e64 v30, 0, 0x37000000, s0
	v_cmp_neq_f32_e64 s0, 0x7f800000, |v28|
	v_sub_f32_e32 v31, v28, v30
	v_cndmask_b32_e64 v24, 0, v24, s0
	v_trunc_f32_e32 v28, v26
	v_mul_f32_e32 v32, 0x3fb8aa3b, v31
	v_cmp_ngt_f32_e64 s0, 0xc2ce8ed0, v31
	v_add_f32_e32 v24, v30, v24
	v_fma_f32 v33, 0x3fb8aa3b, v31, -v32
	v_rndne_f32_e32 v34, v32
	v_fmac_f32_e32 v33, 0x32a5705f, v31
	v_sub_f32_e32 v32, v32, v34
	v_cvt_i32_f32_e32 v29, v34
	v_add_f32_e32 v32, v32, v33
	v_exp_f32_e32 v32, v32
	v_ldexp_f32 v25, v32, v29
	v_mul_f32_e32 v29, 0.5, v26
	v_cndmask_b32_e64 v25, 0, v25, s0
	v_cmp_nlt_f32_e64 s0, 0x42b17218, v31
	v_trunc_f32_e32 v32, v29
	v_cndmask_b32_e64 v25, 0x7f800000, v25, s0
	v_cmp_eq_f32_e64 s0, v28, v26
	v_cmp_neq_f32_e64 s1, v32, v29
	v_fma_f32 v24, v25, v24, v25
	v_cmp_class_f32_e64 s2, v25, 0x204
	s_and_b32 s1, s0, s1
	v_cndmask_b32_e64 v28, 1.0, v27, s1
	v_cndmask_b32_e64 v30, 0, v27, s1
	v_cndmask_b32_e64 v24, v24, v25, s2
	;; [unrolled: 1-line block ×3, first 2 shown]
	v_cmp_gt_f32_e64 s2, 0, v26
	v_cmp_class_f32_e64 s1, v27, 0x204
	v_bfi_b32 v24, 0x7fffffff, v24, v28
	s_xor_b32 s2, s2, s3
	v_cndmask_b32_e64 v28, 0x7f800000, 0, s2
	v_cndmask_b32_e64 v29, 0x7fc00000, v24, s0
	v_cmp_neq_f32_e64 s0, |v27|, 1.0
	v_bfi_b32 v28, 0x7fffffff, v28, v30
	v_cndmask_b32_e64 v25, 1.0, v25, s0
	v_cmp_gt_f32_e64 s0, 0, v27
	v_cndmask_b32_e64 v24, v24, v29, s0
	v_cmp_class_f32_e64 s0, v26, 0x204
	v_cndmask_b32_e64 v24, v24, v25, s0
	s_or_b32 s0, s3, s1
	v_cndmask_b32_e64 v24, v24, v28, s0
	v_cmp_o_f32_e64 s0, v27, v26
	v_cndmask_b32_e64 v26, 0x7fc00000, v24, s0
	v_add_co_u32 v24, s0, v14, s8
	v_add_co_ci_u32_e64 v25, null, s9, v15, s0
	global_store_dword v[24:25], v26, off
	s_or_b32 exec_lo, exec_lo, s6
	s_and_saveexec_b32 s3, vcc_lo
	s_cbranch_execz .LBB91_3
.LBB91_19:                              ;   in Loop: Header=BB91_4 Depth=1
	s_waitcnt vmcnt(0)
	v_cmp_neq_f32_e32 vcc_lo, 1.0, v23
	v_cndmask_b32_e64 v25, 1.0, s24, vcc_lo
	v_cmp_neq_f32_e32 vcc_lo, 0, v25
	v_cmp_neq_f32_e64 s6, v25, |v25|
	v_cndmask_b32_e32 v26, 1.0, v23, vcc_lo
	v_frexp_mant_f32_e64 v23, |v26|
	v_cmp_lt_f32_e64 s25, |v26|, 1.0
	v_cmp_eq_f32_e64 s2, 0, v26
	v_cmp_gt_f32_e32 vcc_lo, 0x3f2aaaab, v23
	s_xor_b32 s6, s6, s25
	v_cndmask_b32_e64 v24, 1.0, 2.0, vcc_lo
	v_mul_f32_e32 v23, v23, v24
	v_add_f32_e32 v24, 1.0, v23
	v_add_f32_e32 v28, -1.0, v23
	v_rcp_f32_e32 v27, v24
	v_add_f32_e32 v30, -1.0, v24
	v_sub_f32_e32 v23, v23, v30
	v_mul_f32_e32 v29, v28, v27
	v_mul_f32_e32 v31, v24, v29
	v_fma_f32 v24, v29, v24, -v31
	v_fmac_f32_e32 v24, v29, v23
	v_add_f32_e32 v23, v31, v24
	v_sub_f32_e32 v30, v28, v23
	v_sub_f32_e32 v31, v23, v31
	;; [unrolled: 1-line block ×5, first 2 shown]
	v_add_f32_e32 v23, v24, v23
	v_add_f32_e32 v23, v30, v23
	v_mul_f32_e32 v23, v27, v23
	v_add_f32_e32 v27, v29, v23
	v_sub_f32_e32 v24, v27, v29
	v_mul_f32_e32 v28, v27, v27
	v_sub_f32_e32 v29, v23, v24
	v_fma_f32 v23, v27, v27, -v28
	v_add_f32_e32 v24, v29, v29
	v_fmac_f32_e32 v23, v27, v24
	v_add_f32_e32 v30, v28, v23
	v_fmaak_f32 v24, s23, v30, 0x3e91f4c4
	v_sub_f32_e32 v28, v30, v28
	v_mul_f32_e32 v35, v27, v30
	v_fmaak_f32 v24, v30, v24, 0x3ecccdef
	v_sub_f32_e32 v28, v23, v28
	v_fma_f32 v36, v30, v27, -v35
	v_mul_f32_e32 v31, v30, v24
	v_fmac_f32_e32 v36, v30, v29
	v_ldexp_f32 v29, v29, 1
	v_fma_f32 v32, v30, v24, -v31
	v_fmac_f32_e32 v36, v28, v27
	v_fmac_f32_e32 v32, v28, v24
	v_cvt_f64_f32_e64 v[23:24], |v26|
	v_add_f32_e32 v33, v31, v32
	v_sub_f32_e32 v31, v33, v31
	v_add_f32_e32 v34, 0x3f2aaaaa, v33
	v_sub_f32_e32 v31, v32, v31
	v_add_f32_e32 v32, 0xbf2aaaaa, v34
	v_add_f32_e32 v31, 0x31739010, v31
	v_sub_f32_e32 v32, v33, v32
	v_frexp_exp_i32_f64_e32 v23, v[23:24]
	v_add_f32_e32 v30, v31, v32
	v_add_f32_e32 v31, v35, v36
	;; [unrolled: 1-line block ×3, first 2 shown]
	v_sub_f32_e32 v33, v31, v35
	v_sub_f32_e32 v24, v34, v28
	v_mul_f32_e32 v32, v31, v28
	v_sub_f32_e32 v33, v36, v33
	v_add_f32_e32 v24, v30, v24
	v_fma_f32 v30, v31, v28, -v32
	v_subrev_co_ci_u32_e64 v23, null, 0, v23, vcc_lo
	v_fmac_f32_e32 v30, v31, v24
	v_ldexp_f32 v24, v27, 1
	v_cvt_f32_i32_e32 v23, v23
	v_fmac_f32_e32 v30, v33, v28
	v_add_f32_e32 v27, v32, v30
	v_add_f32_e32 v28, v24, v27
	v_sub_f32_e32 v31, v27, v32
	v_mul_f32_e32 v32, 0x3f317218, v23
	v_sub_f32_e32 v24, v28, v24
	v_sub_f32_e32 v30, v30, v31
	v_fma_f32 v31, 0x3f317218, v23, -v32
	v_sub_f32_e32 v24, v27, v24
	v_add_f32_e32 v27, v29, v30
	v_fmac_f32_e32 v31, 0xb102e308, v23
	v_add_f32_e32 v23, v27, v24
	v_add_f32_e32 v24, v32, v31
	;; [unrolled: 1-line block ×3, first 2 shown]
	v_sub_f32_e32 v32, v24, v32
	v_add_f32_e32 v29, v24, v27
	v_sub_f32_e32 v28, v27, v28
	v_sub_f32_e32 v31, v31, v32
	;; [unrolled: 1-line block ×6, first 2 shown]
	v_add_f32_e32 v28, v31, v23
	v_sub_f32_e32 v24, v24, v33
	v_add_f32_e32 v24, v27, v24
	v_sub_f32_e32 v27, v28, v31
	v_add_f32_e32 v24, v28, v24
	v_sub_f32_e32 v28, v28, v27
	v_sub_f32_e32 v23, v23, v27
	v_add_f32_e32 v30, v29, v24
	v_sub_f32_e32 v27, v31, v28
	v_sub_f32_e32 v28, v30, v29
	v_add_f32_e32 v23, v23, v27
	v_sub_f32_e32 v24, v24, v28
	v_add_f32_e32 v23, v23, v24
	v_add_f32_e32 v24, v30, v23
	v_sub_f32_e32 v27, v24, v30
	v_mul_f32_e32 v28, v25, v24
	v_sub_f32_e32 v23, v23, v27
	v_fma_f32 v24, v25, v24, -v28
	v_cmp_class_f32_e64 vcc_lo, v28, 0x204
	v_fmac_f32_e32 v24, v25, v23
	v_add_f32_e32 v23, v28, v24
	v_cndmask_b32_e32 v27, v23, v28, vcc_lo
	v_sub_f32_e32 v23, v23, v28
	v_cmp_eq_f32_e32 vcc_lo, 0x42b17218, v27
	v_sub_f32_e32 v23, v24, v23
	v_cndmask_b32_e64 v29, 0, 0x37000000, vcc_lo
	v_cmp_neq_f32_e64 vcc_lo, 0x7f800000, |v27|
	v_sub_f32_e32 v30, v27, v29
	v_cndmask_b32_e32 v23, 0, v23, vcc_lo
	v_trunc_f32_e32 v27, v25
	v_mul_f32_e32 v31, 0x3fb8aa3b, v30
	v_cmp_ngt_f32_e32 vcc_lo, 0xc2ce8ed0, v30
	v_add_f32_e32 v23, v29, v23
	v_fma_f32 v32, 0x3fb8aa3b, v30, -v31
	v_rndne_f32_e32 v33, v31
	v_fmac_f32_e32 v32, 0x32a5705f, v30
	v_sub_f32_e32 v31, v31, v33
	v_cvt_i32_f32_e32 v28, v33
	v_add_f32_e32 v31, v31, v32
	v_exp_f32_e32 v31, v31
	v_ldexp_f32 v24, v31, v28
	v_mul_f32_e32 v28, 0.5, v25
	v_cndmask_b32_e32 v24, 0, v24, vcc_lo
	v_cmp_nlt_f32_e32 vcc_lo, 0x42b17218, v30
	v_trunc_f32_e32 v31, v28
	v_cndmask_b32_e32 v24, 0x7f800000, v24, vcc_lo
	v_cmp_eq_f32_e32 vcc_lo, v27, v25
	v_cmp_neq_f32_e64 s0, v31, v28
	v_fma_f32 v23, v24, v23, v24
	v_cmp_class_f32_e64 s1, v24, 0x204
	s_and_b32 s0, vcc_lo, s0
	v_cndmask_b32_e64 v27, 1.0, v26, s0
	v_cndmask_b32_e64 v29, 0, v26, s0
	v_cndmask_b32_e64 v23, v23, v24, s1
	;; [unrolled: 1-line block ×3, first 2 shown]
	v_cmp_gt_f32_e64 s1, 0, v25
	v_cmp_class_f32_e64 s0, v26, 0x204
	v_bfi_b32 v23, 0x7fffffff, v23, v27
	s_xor_b32 s1, s1, s2
	v_cndmask_b32_e64 v27, 0x7f800000, 0, s1
	v_cndmask_b32_e32 v28, 0x7fc00000, v23, vcc_lo
	v_cmp_neq_f32_e64 vcc_lo, |v26|, 1.0
	v_bfi_b32 v27, 0x7fffffff, v27, v29
	v_cndmask_b32_e32 v24, 1.0, v24, vcc_lo
	v_cmp_gt_f32_e32 vcc_lo, 0, v26
	v_cndmask_b32_e32 v23, v23, v28, vcc_lo
	v_cmp_class_f32_e64 vcc_lo, v25, 0x204
	v_cndmask_b32_e32 v23, v23, v24, vcc_lo
	s_or_b32 vcc_lo, s2, s0
	v_cndmask_b32_e32 v23, v23, v27, vcc_lo
	v_cmp_o_f32_e32 vcc_lo, v26, v25
	v_cndmask_b32_e32 v25, 0x7fc00000, v23, vcc_lo
	v_add_co_u32 v23, vcc_lo, v7, s8
	v_add_co_ci_u32_e64 v24, null, s9, v8, vcc_lo
	global_store_dword v[23:24], v25, off
	s_branch .LBB91_3
.LBB91_20:
	s_mov_b32 s0, 0
.LBB91_21:
	s_andn2_b32 vcc_lo, exec_lo, s0
	s_cbranch_vccnz .LBB91_25
; %bb.22:
	v_cmp_gt_i64_e64 s0, 0x10000, s[10:11]
	v_mov_b32_e32 v2, 0
	v_lshlrev_b32_e32 v1, 2, v0
	s_mov_b32 s25, 0
	s_and_b32 s0, s0, exec_lo
	s_cselect_b32 s23, s11, 0
	s_cselect_b32 s22, s10, 0x10000
	s_mov_b32 s0, exec_lo
	v_cmpx_gt_i64_e64 s[22:23], v[1:2]
	s_cbranch_execz .LBB91_25
; %bb.23:
	s_load_dword s0, s[4:5], 0xd54
	v_lshlrev_b32_e32 v3, 4, v0
	v_mov_b32_e32 v1, v2
	s_mov_b32 s28, 0x3e76c4e1
	v_add_co_u32 v6, s1, s8, v3
	v_add_co_ci_u32_e64 v7, null, s9, 0, s1
	s_waitcnt lgkmcnt(0)
	s_and_b32 s26, s0, 0xffff
	s_lshl_b32 s27, s26, 4
.LBB91_24:                              ; =>This Inner Loop Header: Depth=1
	v_add_co_u32 v2, vcc_lo, s18, v6
	v_add_co_ci_u32_e64 v3, null, s19, v7, vcc_lo
	v_add_co_u32 v4, vcc_lo, s20, v6
	v_add_co_ci_u32_e64 v5, null, s21, v7, vcc_lo
	global_load_dwordx4 v[10:13], v[2:3], off
	v_add_co_u32 v0, vcc_lo, v0, s26
	v_add_co_ci_u32_e64 v1, null, 0, v1, vcc_lo
	v_add_co_u32 v6, vcc_lo, v6, s27
	v_add_co_ci_u32_e64 v7, null, 0, v7, vcc_lo
	v_lshlrev_b64 v[2:3], 2, v[0:1]
	v_cmp_le_i64_e64 s0, s[22:23], v[2:3]
	s_waitcnt vmcnt(0)
	v_cmp_neq_f32_e64 s1, 1.0, v10
	v_cndmask_b32_e64 v2, 1.0, s24, s1
	v_cmp_neq_f32_e64 s1, 1.0, v11
	v_trunc_f32_e32 v14, v2
	v_cndmask_b32_e64 v3, 1.0, s24, s1
	v_cmp_neq_f32_e64 s1, 1.0, v12
	v_mul_f32_e32 v15, 0.5, v2
	v_cmp_gt_f32_e64 s9, 0, v2
	v_cmp_eq_f32_e64 s4, v14, v2
	v_trunc_f32_e32 v16, v3
	v_cndmask_b32_e64 v8, 1.0, s24, s1
	v_cmp_neq_f32_e64 s1, 1.0, v13
	v_mul_f32_e32 v17, 0.5, v3
	v_trunc_f32_e32 v14, v15
	v_cmp_neq_f32_e64 s15, v2, |v2|
	v_trunc_f32_e32 v18, v8
	v_cndmask_b32_e64 v9, 1.0, s24, s1
	v_cmp_neq_f32_e64 s1, 0, v2
	v_mul_f32_e32 v19, 0.5, v8
	v_cmp_gt_f32_e64 s11, 0, v8
	v_cmp_neq_f32_e64 s16, v3, |v3|
	v_cmp_gt_f32_e64 s10, 0, v3
	v_cndmask_b32_e64 v10, 1.0, v10, s1
	v_cmp_neq_f32_e64 s1, 0, v3
	v_cmp_eq_f32_e64 s6, v16, v3
	v_trunc_f32_e32 v16, v17
	v_cmp_eq_f32_e64 s7, v18, v8
	v_frexp_mant_f32_e64 v30, |v10|
	v_cndmask_b32_e64 v11, 1.0, v11, s1
	v_cmp_neq_f32_e64 s1, 0, v8
	v_cvt_f64_f32_e64 v[22:23], |v10|
	v_cmp_lt_f32_e64 s17, |v10|, 1.0
	v_cmp_gt_f32_e64 s13, 0x3f2aaaab, v30
	v_frexp_mant_f32_e64 v31, |v11|
	v_cndmask_b32_e64 v12, 1.0, v12, s1
	v_cmp_neq_f32_e64 s1, 0, v9
	v_cmp_lt_f32_e64 s38, |v11|, 1.0
	v_cmp_eq_f32_e64 s2, 0, v11
	v_trunc_f32_e32 v18, v19
	v_cmp_eq_f32_e64 s3, 0, v12
	v_cndmask_b32_e64 v13, 1.0, v13, s1
	v_cmp_eq_f32_e64 s1, 0, v10
	v_frexp_mant_f32_e64 v32, |v12|
	v_cndmask_b32_e64 v34, 1.0, 2.0, s13
	s_xor_b32 s11, s11, s3
	v_frexp_mant_f32_e64 v33, |v13|
	s_xor_b32 s9, s9, s1
	v_cmp_neq_f32_e64 s14, v14, v15
	v_cndmask_b32_e64 v14, 0x7f800000, 0, s9
	v_cmp_gt_f32_e64 s9, 0x3f2aaaab, v31
	v_cndmask_b32_e64 v36, 0x7f800000, 0, s11
	v_cmp_gt_f32_e64 s11, 0x3f2aaaab, v33
	v_cmp_gt_f32_e64 s12, 0, v9
	v_cmp_eq_f32_e64 s5, 0, v13
	s_xor_b32 s15, s15, s17
	v_trunc_f32_e32 v20, v9
	v_mul_f32_e32 v21, 0.5, v9
	v_cvt_f64_f32_e64 v[24:25], |v11|
	v_cvt_f64_f32_e64 v[26:27], |v12|
	v_cndmask_b32_e64 v35, 0x7f800000, 0, s15
	v_cmp_neq_f32_e64 s15, v16, v17
	s_xor_b32 s38, s16, s38
	s_xor_b32 s10, s10, s2
	v_cmp_neq_f32_e64 s16, v18, v19
	v_cndmask_b32_e64 v15, 1.0, 2.0, s9
	v_cndmask_b32_e64 v17, 0x7f800000, 0, s10
	v_cmp_gt_f32_e64 s10, 0x3f2aaaab, v32
	v_cndmask_b32_e64 v37, 1.0, 2.0, s11
	v_mul_f32_e32 v30, v30, v34
	s_xor_b32 s12, s12, s5
	v_cmp_eq_f32_e64 s8, v20, v9
	v_trunc_f32_e32 v20, v21
	v_cndmask_b32_e64 v38, 0x7f800000, 0, s12
	s_and_b32 s12, s4, s14
	s_and_b32 s14, s6, s15
	;; [unrolled: 1-line block ×3, first 2 shown]
	v_cndmask_b32_e64 v16, 1.0, 2.0, s10
	v_mul_f32_e32 v31, v31, v15
	v_mul_f32_e32 v33, v33, v37
	v_cndmask_b32_e64 v15, 0, v10, s12
	v_cndmask_b32_e64 v37, 0, v12, s15
	v_add_f32_e32 v41, 1.0, v30
	v_cmp_neq_f32_e64 s17, v20, v21
	v_mul_f32_e32 v32, v32, v16
	v_cndmask_b32_e64 v34, 0, v11, s14
	v_bfi_b32 v16, 0x7fffffff, v14, v15
	v_bfi_b32 v15, 0x7fffffff, v36, v37
	v_rcp_f32_e32 v36, v41
	v_cvt_f64_f32_e64 v[28:29], |v13|
	s_and_b32 s16, s8, s17
	v_frexp_exp_i32_f64_e32 v22, v[22:23]
	v_cndmask_b32_e64 v39, 0, v13, s16
	v_add_f32_e32 v40, -1.0, v30
	v_add_f32_e32 v43, 1.0, v31
	v_bfi_b32 v17, 0x7fffffff, v17, v34
	v_add_f32_e32 v34, -1.0, v41
	v_add_f32_e32 v45, 1.0, v32
	v_bfi_b32 v14, 0x7fffffff, v38, v39
	v_rcp_f32_e32 v38, v43
	v_frexp_exp_i32_f64_e32 v23, v[24:25]
	v_frexp_exp_i32_f64_e32 v24, v[26:27]
	v_sub_f32_e32 v26, v30, v34
	v_mul_f32_e32 v30, v40, v36
	v_add_f32_e32 v42, -1.0, v31
	v_add_f32_e32 v47, 1.0, v33
	v_add_f32_e32 v37, -1.0, v43
	v_rcp_f32_e32 v48, v45
	v_mul_f32_e32 v34, v41, v30
	v_add_f32_e32 v44, -1.0, v32
	v_add_f32_e32 v39, -1.0, v45
	v_rcp_f32_e32 v50, v47
	v_sub_f32_e32 v27, v31, v37
	v_mul_f32_e32 v31, v42, v38
	v_fma_f32 v41, v30, v41, -v34
	v_frexp_exp_i32_f64_e32 v25, v[28:29]
	v_add_f32_e32 v46, -1.0, v33
	v_add_f32_e32 v49, -1.0, v47
	v_sub_f32_e32 v28, v32, v39
	v_mul_f32_e32 v32, v44, v48
	v_mul_f32_e32 v37, v43, v31
	v_subrev_co_ci_u32_e64 v22, null, 0, v22, s13
	v_fmac_f32_e32 v41, v30, v26
	v_sub_f32_e32 v29, v33, v49
	v_mul_f32_e32 v33, v46, v50
	v_mul_f32_e32 v39, v45, v32
	v_fma_f32 v43, v31, v43, -v37
	v_cvt_f32_i32_e32 v22, v22
	v_add_f32_e32 v26, v34, v41
	v_mul_f32_e32 v49, v47, v33
	v_fma_f32 v45, v32, v45, -v39
	v_subrev_co_ci_u32_e64 v23, null, 0, v23, s9
	v_fmac_f32_e32 v43, v31, v27
	v_mul_f32_e32 v51, 0x3f317218, v22
	v_sub_f32_e32 v55, v40, v26
	v_fma_f32 v47, v33, v47, -v49
	v_subrev_co_ci_u32_e64 v24, null, 0, v24, s10
	v_fmac_f32_e32 v45, v32, v28
	v_cvt_f32_i32_e32 v23, v23
	v_add_f32_e32 v27, v37, v43
	v_sub_f32_e32 v34, v26, v34
	v_fma_f32 v59, 0x3f317218, v22, -v51
	v_sub_f32_e32 v40, v40, v55
	v_subrev_co_ci_u32_e64 v25, null, 0, v25, s11
	v_fmac_f32_e32 v47, v33, v29
	v_cvt_f32_i32_e32 v24, v24
	v_add_f32_e32 v28, v39, v45
	v_mul_f32_e32 v52, 0x3f317218, v23
	v_sub_f32_e32 v56, v42, v27
	v_sub_f32_e32 v34, v34, v41
	v_fmac_f32_e32 v59, 0xb102e308, v22
	v_sub_f32_e32 v22, v40, v26
	v_cvt_f32_i32_e32 v25, v25
	v_add_f32_e32 v29, v49, v47
	v_mul_f32_e32 v53, 0x3f317218, v24
	v_sub_f32_e32 v37, v27, v37
	v_sub_f32_e32 v57, v44, v28
	v_fma_f32 v41, 0x3f317218, v23, -v52
	v_sub_f32_e32 v42, v42, v56
	v_add_f32_e32 v22, v34, v22
	v_mul_f32_e32 v54, 0x3f317218, v25
	v_sub_f32_e32 v39, v28, v39
	v_sub_f32_e32 v58, v46, v29
	;; [unrolled: 1-line block ×3, first 2 shown]
	v_fma_f32 v43, 0x3f317218, v24, -v53
	v_sub_f32_e32 v44, v44, v57
	v_fmac_f32_e32 v41, 0xb102e308, v23
	v_sub_f32_e32 v23, v42, v27
	v_add_f32_e32 v22, v55, v22
	v_sub_f32_e32 v49, v29, v49
	v_sub_f32_e32 v39, v39, v45
	v_fma_f32 v45, 0x3f317218, v25, -v54
	v_sub_f32_e32 v46, v46, v58
	v_fmac_f32_e32 v43, 0xb102e308, v24
	v_sub_f32_e32 v24, v44, v28
	v_add_f32_e32 v23, v37, v23
	v_mul_f32_e32 v22, v36, v22
	v_sub_f32_e32 v47, v49, v47
	v_fmac_f32_e32 v45, 0xb102e308, v25
	v_sub_f32_e32 v25, v46, v29
	v_add_f32_e32 v28, v53, v43
	v_add_f32_e32 v24, v39, v24
	;; [unrolled: 1-line block ×6, first 2 shown]
	v_sub_f32_e32 v39, v28, v53
	v_add_f32_e32 v24, v57, v24
	v_mul_f32_e32 v23, v38, v23
	v_sub_f32_e32 v30, v36, v30
	v_sub_f32_e32 v37, v27, v52
	v_add_f32_e32 v25, v58, v25
	v_sub_f32_e32 v39, v43, v39
	v_mul_f32_e32 v24, v48, v24
	v_add_f32_e32 v38, v31, v23
	v_mul_f32_e32 v43, v36, v36
	v_sub_f32_e32 v22, v22, v30
	v_add_f32_e32 v29, v54, v45
	v_sub_f32_e32 v37, v41, v37
	v_mul_f32_e32 v25, v50, v25
	v_add_f32_e32 v41, v32, v24
	v_sub_f32_e32 v31, v38, v31
	v_fma_f32 v30, v36, v36, -v43
	v_add_f32_e32 v47, v22, v22
	v_sub_f32_e32 v40, v29, v54
	v_add_f32_e32 v42, v33, v25
	v_mul_f32_e32 v44, v38, v38
	v_sub_f32_e32 v32, v41, v32
	v_sub_f32_e32 v23, v23, v31
	v_fmac_f32_e32 v30, v36, v47
	v_add_f32_e32 v26, v51, v59
	v_sub_f32_e32 v40, v45, v40
	v_mul_f32_e32 v45, v41, v41
	v_sub_f32_e32 v33, v42, v33
	v_fma_f32 v31, v38, v38, -v44
	v_sub_f32_e32 v24, v24, v32
	v_add_f32_e32 v48, v23, v23
	v_add_f32_e32 v47, v43, v30
	v_sub_f32_e32 v34, v26, v51
	v_mul_f32_e32 v46, v42, v42
	v_fma_f32 v32, v41, v41, -v45
	v_sub_f32_e32 v25, v25, v33
	v_add_f32_e32 v49, v24, v24
	v_fmac_f32_e32 v31, v38, v48
	v_fmaak_f32 v51, s28, v47, 0x3e91f4c4
	v_fma_f32 v33, v42, v42, -v46
	v_add_f32_e32 v50, v25, v25
	v_fmac_f32_e32 v32, v41, v49
	v_add_f32_e32 v48, v44, v31
	v_sub_f32_e32 v43, v47, v43
	v_mul_f32_e32 v52, v36, v47
	v_fmaak_f32 v51, v47, v51, 0x3ecccdef
	v_sub_f32_e32 v34, v59, v34
	v_fmac_f32_e32 v33, v42, v50
	v_add_f32_e32 v49, v45, v32
	v_fmaak_f32 v53, s28, v48, 0x3e91f4c4
	v_sub_f32_e32 v30, v30, v43
	v_fma_f32 v43, v47, v36, -v52
	v_mul_f32_e32 v59, v47, v51
	v_add_f32_e32 v50, v46, v33
	v_sub_f32_e32 v44, v48, v44
	v_mul_f32_e32 v54, v38, v48
	v_fmaak_f32 v55, s28, v49, 0x3e91f4c4
	v_sub_f32_e32 v45, v49, v45
	v_mul_f32_e32 v56, v41, v49
	v_fmaak_f32 v53, v48, v53, 0x3ecccdef
	v_fmac_f32_e32 v43, v47, v22
	v_fma_f32 v47, v47, v51, -v59
	v_fmaak_f32 v57, s28, v50, 0x3e91f4c4
	v_sub_f32_e32 v46, v50, v46
	v_mul_f32_e32 v58, v42, v50
	v_sub_f32_e32 v31, v31, v44
	v_fma_f32 v44, v48, v38, -v54
	v_fmaak_f32 v55, v49, v55, 0x3ecccdef
	v_sub_f32_e32 v32, v32, v45
	v_fma_f32 v45, v49, v41, -v56
	v_fmac_f32_e32 v47, v30, v51
	v_mul_f32_e32 v51, v48, v53
	v_fmaak_f32 v57, v50, v57, 0x3ecccdef
	v_sub_f32_e32 v33, v33, v46
	v_fma_f32 v46, v50, v42, -v58
	v_fmac_f32_e32 v44, v48, v23
	v_fmac_f32_e32 v45, v49, v24
	;; [unrolled: 1-line block ×3, first 2 shown]
	v_mul_f32_e32 v30, v49, v55
	v_fma_f32 v48, v48, v53, -v51
	v_fmac_f32_e32 v46, v50, v25
	v_fmac_f32_e32 v44, v31, v38
	;; [unrolled: 1-line block ×3, first 2 shown]
	v_ldexp_f32 v36, v36, 1
	v_fmac_f32_e32 v48, v31, v53
	v_mul_f32_e32 v53, v50, v57
	v_fma_f32 v31, v49, v55, -v30
	v_fmac_f32_e32 v46, v33, v42
	v_ldexp_f32 v38, v38, 1
	v_ldexp_f32 v41, v41, 1
	v_fma_f32 v49, v50, v57, -v53
	v_fmac_f32_e32 v31, v32, v55
	v_add_f32_e32 v55, v56, v45
	v_add_f32_e32 v50, v52, v43
	;; [unrolled: 1-line block ×3, first 2 shown]
	v_fmac_f32_e32 v49, v33, v57
	v_add_f32_e32 v33, v58, v46
	v_sub_f32_e32 v56, v55, v56
	v_sub_f32_e32 v52, v50, v52
	v_add_f32_e32 v57, v59, v47
	v_sub_f32_e32 v54, v32, v54
	v_sub_f32_e32 v58, v33, v58
	v_sub_f32_e32 v45, v45, v56
	v_add_f32_e32 v56, v53, v49
	v_sub_f32_e32 v43, v43, v52
	v_add_f32_e32 v52, v51, v48
	v_sub_f32_e32 v59, v57, v59
	v_sub_f32_e32 v46, v46, v58
	v_add_f32_e32 v58, 0x3f2aaaaa, v57
	v_sub_f32_e32 v53, v56, v53
	;; [unrolled: 3-line block ×4, first 2 shown]
	v_add_f32_e32 v53, 0xbf2aaaaa, v58
	v_sub_f32_e32 v30, v54, v30
	v_sub_f32_e32 v48, v48, v51
	v_add_f32_e32 v51, 0x3f2aaaaa, v54
	v_add_f32_e32 v47, 0x31739010, v47
	v_sub_f32_e32 v53, v57, v53
	v_add_f32_e32 v57, 0xbf2aaaaa, v59
	v_sub_f32_e32 v30, v31, v30
	v_add_f32_e32 v31, 0x3f2aaaaa, v56
	v_add_f32_e32 v49, 0x31739010, v49
	v_add_f32_e32 v47, v47, v53
	v_sub_f32_e32 v52, v52, v57
	v_add_f32_e32 v57, 0xbf2aaaaa, v51
	v_add_f32_e32 v30, 0x31739010, v30
	;; [unrolled: 1-line block ×3, first 2 shown]
	v_ldexp_f32 v42, v42, 1
	v_ldexp_f32 v22, v22, 1
	v_sub_f32_e32 v54, v54, v57
	v_add_f32_e32 v57, 0xbf2aaaaa, v31
	v_add_f32_e32 v48, v48, v52
	v_ldexp_f32 v23, v23, 1
	v_ldexp_f32 v24, v24, 1
	v_add_f32_e32 v30, v30, v54
	v_sub_f32_e32 v56, v56, v57
	v_add_f32_e32 v54, v58, v47
	v_ldexp_f32 v25, v25, 1
	v_cmp_neq_f32_e64 s34, v8, |v8|
	v_cmp_neq_f32_e64 s35, v9, |v9|
	v_add_f32_e32 v49, v49, v56
	v_sub_f32_e32 v56, v58, v54
	v_mul_f32_e32 v58, v50, v54
	v_cmp_lt_f32_e64 s36, |v12|, 1.0
	v_cmp_lt_f32_e64 s37, |v13|, 1.0
	v_cndmask_b32_e64 v18, 1.0, v10, s12
	v_add_f32_e32 v47, v47, v56
	v_fma_f32 v56, v50, v54, -v58
	s_xor_b32 s10, s34, s36
	s_xor_b32 s11, s35, s37
	v_cndmask_b32_e64 v57, 0x7f800000, 0, s38
	v_cmp_neq_f32_e64 s9, |v11|, 1.0
	v_fmac_f32_e32 v56, v50, v47
	v_add_f32_e32 v47, v59, v48
	v_cndmask_b32_e64 v53, 0x7f800000, 0, s10
	v_cmp_neq_f32_e64 s10, |v12|, 1.0
	v_cndmask_b32_e64 v52, 0x7f800000, 0, s11
	v_fmac_f32_e32 v56, v43, v54
	v_sub_f32_e32 v50, v59, v47
	v_mul_f32_e32 v59, v32, v47
	v_cmp_neq_f32_e64 s11, |v13|, 1.0
	v_cmp_neq_f32_e64 s12, |v10|, 1.0
	v_cndmask_b32_e64 v57, 1.0, v57, s9
	v_add_f32_e32 v48, v48, v50
	v_fma_f32 v50, v32, v47, -v59
	v_cndmask_b32_e64 v53, 1.0, v53, s10
	v_cndmask_b32_e64 v35, 1.0, v35, s12
	v_cndmask_b32_e64 v52, 1.0, v52, s11
	v_cndmask_b32_e64 v19, 1.0, v11, s14
	v_fmac_f32_e32 v50, v32, v48
	v_add_f32_e32 v32, v51, v30
	v_cndmask_b32_e64 v20, 1.0, v12, s15
	v_cndmask_b32_e64 v21, 1.0, v13, s16
	v_cmp_class_f32_e64 s29, v10, 0x204
	v_fmac_f32_e32 v50, v44, v47
	v_sub_f32_e32 v48, v51, v32
	v_mul_f32_e32 v51, v55, v32
	v_cmp_class_f32_e64 s30, v11, 0x204
	v_cmp_class_f32_e64 s31, v12, 0x204
	;; [unrolled: 1-line block ×3, first 2 shown]
	v_add_f32_e32 v30, v30, v48
	v_fma_f32 v48, v55, v32, -v51
	s_or_b32 s2, s2, s30
	s_or_b32 s3, s3, s31
	;; [unrolled: 1-line block ×3, first 2 shown]
	v_fmac_f32_e32 v48, v55, v30
	v_add_f32_e32 v30, v31, v49
	v_fmac_f32_e32 v48, v45, v32
	v_sub_f32_e32 v31, v31, v30
	v_mul_f32_e32 v55, v33, v30
	v_add_f32_e32 v32, v51, v48
	v_add_f32_e32 v31, v49, v31
	v_fma_f32 v49, v33, v30, -v55
	v_sub_f32_e32 v47, v32, v51
	v_add_f32_e32 v51, v41, v32
	v_fmac_f32_e32 v49, v33, v31
	v_add_f32_e32 v31, v59, v50
	v_sub_f32_e32 v47, v48, v47
	v_sub_f32_e32 v41, v51, v41
	v_fmac_f32_e32 v49, v46, v30
	v_add_f32_e32 v30, v58, v56
	v_sub_f32_e32 v45, v31, v59
	v_add_f32_e32 v46, v38, v31
	v_sub_f32_e32 v32, v32, v41
	v_add_f32_e32 v33, v55, v49
	v_sub_f32_e32 v43, v30, v58
	v_add_f32_e32 v44, v36, v30
	v_sub_f32_e32 v45, v50, v45
	v_sub_f32_e32 v38, v46, v38
	v_sub_f32_e32 v54, v33, v55
	v_add_f32_e32 v55, v42, v33
	v_sub_f32_e32 v43, v56, v43
	v_sub_f32_e32 v36, v44, v36
	;; [unrolled: 1-line block ×5, first 2 shown]
	v_add_f32_e32 v22, v22, v43
	v_sub_f32_e32 v30, v30, v36
	v_add_f32_e32 v23, v23, v45
	v_add_f32_e32 v24, v24, v47
	v_sub_f32_e32 v33, v33, v42
	v_add_f32_e32 v25, v25, v48
	v_add_f32_e32 v22, v22, v30
	;; [unrolled: 1-line block ×9, first 2 shown]
	v_sub_f32_e32 v36, v30, v44
	v_add_f32_e32 v38, v26, v30
	v_sub_f32_e32 v41, v31, v46
	v_add_f32_e32 v42, v27, v31
	;; [unrolled: 2-line block ×4, first 2 shown]
	v_sub_f32_e32 v22, v22, v36
	v_sub_f32_e32 v36, v38, v26
	v_sub_f32_e32 v23, v23, v41
	v_sub_f32_e32 v41, v42, v27
	v_sub_f32_e32 v24, v24, v43
	v_sub_f32_e32 v43, v44, v28
	v_sub_f32_e32 v25, v25, v45
	v_sub_f32_e32 v45, v46, v29
	v_sub_f32_e32 v47, v38, v36
	v_sub_f32_e32 v30, v30, v36
	v_add_f32_e32 v36, v34, v22
	v_sub_f32_e32 v48, v42, v41
	v_sub_f32_e32 v31, v31, v41
	v_add_f32_e32 v41, v37, v23
	v_sub_f32_e32 v49, v44, v43
	v_sub_f32_e32 v32, v32, v43
	;; [unrolled: 3-line block ×4, first 2 shown]
	v_sub_f32_e32 v27, v27, v48
	v_sub_f32_e32 v48, v41, v37
	;; [unrolled: 1-line block ×6, first 2 shown]
	v_add_f32_e32 v26, v30, v26
	v_sub_f32_e32 v30, v36, v47
	v_add_f32_e32 v27, v31, v27
	v_sub_f32_e32 v31, v41, v48
	;; [unrolled: 2-line block ×4, first 2 shown]
	v_sub_f32_e32 v22, v22, v47
	v_sub_f32_e32 v23, v23, v48
	;; [unrolled: 1-line block ×5, first 2 shown]
	v_add_f32_e32 v26, v36, v26
	v_sub_f32_e32 v31, v37, v31
	v_add_f32_e32 v27, v41, v27
	v_sub_f32_e32 v32, v39, v32
	;; [unrolled: 2-line block ×3, first 2 shown]
	v_add_f32_e32 v29, v45, v29
	v_add_f32_e32 v22, v22, v30
	v_add_f32_e32 v30, v38, v26
	v_add_f32_e32 v23, v23, v31
	v_add_f32_e32 v31, v42, v27
	v_add_f32_e32 v24, v24, v32
	v_add_f32_e32 v32, v44, v28
	v_add_f32_e32 v25, v25, v33
	v_add_f32_e32 v33, v46, v29
	v_sub_f32_e32 v34, v30, v38
	v_sub_f32_e32 v36, v31, v42
	;; [unrolled: 1-line block ×8, first 2 shown]
	v_add_f32_e32 v22, v22, v26
	v_add_f32_e32 v23, v23, v27
	;; [unrolled: 1-line block ×8, first 2 shown]
	v_sub_f32_e32 v30, v26, v30
	v_mul_f32_e32 v34, v2, v26
	v_sub_f32_e32 v31, v27, v31
	v_mul_f32_e32 v36, v3, v27
	;; [unrolled: 2-line block ×4, first 2 shown]
	v_sub_f32_e32 v22, v22, v30
	v_fma_f32 v26, v2, v26, -v34
	v_sub_f32_e32 v23, v23, v31
	v_fma_f32 v27, v3, v27, -v36
	;; [unrolled: 2-line block ×4, first 2 shown]
	v_fmac_f32_e32 v26, v2, v22
	v_fmac_f32_e32 v27, v3, v23
	;; [unrolled: 1-line block ×3, first 2 shown]
	v_cmp_class_f32_e64 s9, v34, 0x204
	v_fmac_f32_e32 v29, v9, v25
	v_add_f32_e32 v22, v34, v26
	v_add_f32_e32 v23, v36, v27
	v_cmp_class_f32_e64 s10, v36, 0x204
	v_add_f32_e32 v24, v37, v28
	v_cmp_class_f32_e64 s11, v37, 0x204
	;; [unrolled: 2-line block ×3, first 2 shown]
	v_sub_f32_e32 v30, v22, v34
	v_cndmask_b32_e64 v22, v22, v34, s9
	v_sub_f32_e32 v31, v23, v36
	v_cndmask_b32_e64 v23, v23, v36, s10
	v_sub_f32_e32 v32, v24, v37
	v_cndmask_b32_e64 v24, v24, v37, s11
	v_sub_f32_e32 v33, v25, v38
	v_cndmask_b32_e64 v25, v25, v38, s12
	v_cmp_eq_f32_e64 s9, 0x42b17218, v22
	v_cmp_eq_f32_e64 s10, 0x42b17218, v23
	;; [unrolled: 1-line block ×3, first 2 shown]
	v_sub_f32_e32 v26, v26, v30
	v_cmp_eq_f32_e64 s12, 0x42b17218, v25
	v_cndmask_b32_e64 v30, 0, 0x37000000, s9
	v_sub_f32_e32 v27, v27, v31
	v_cmp_neq_f32_e64 s9, 0x7f800000, |v23|
	v_cndmask_b32_e64 v31, 0, 0x37000000, s10
	v_sub_f32_e32 v28, v28, v32
	v_cmp_neq_f32_e64 s10, 0x7f800000, |v24|
	;; [unrolled: 3-line block ×3, first 2 shown]
	v_cndmask_b32_e64 v33, 0, 0x37000000, s12
	v_cmp_neq_f32_e64 s12, 0x7f800000, |v22|
	v_sub_f32_e32 v22, v22, v30
	v_cndmask_b32_e64 v27, 0, v27, s9
	v_sub_f32_e32 v23, v23, v31
	v_cndmask_b32_e64 v28, 0, v28, s10
	v_cndmask_b32_e64 v26, 0, v26, s12
	v_sub_f32_e32 v24, v24, v32
	v_cndmask_b32_e64 v29, 0, v29, s11
	v_sub_f32_e32 v25, v25, v33
	v_add_f32_e32 v27, v31, v27
	v_add_f32_e32 v26, v30, v26
	v_mul_f32_e32 v30, 0x3fb8aa3b, v22
	v_mul_f32_e32 v31, 0x3fb8aa3b, v23
	v_add_f32_e32 v28, v32, v28
	v_mul_f32_e32 v32, 0x3fb8aa3b, v24
	v_add_f32_e32 v29, v33, v29
	v_mul_f32_e32 v33, 0x3fb8aa3b, v25
	v_fma_f32 v34, 0x3fb8aa3b, v22, -v30
	v_rndne_f32_e32 v36, v30
	v_fma_f32 v37, 0x3fb8aa3b, v23, -v31
	v_rndne_f32_e32 v38, v31
	v_fma_f32 v39, 0x3fb8aa3b, v24, -v32
	v_rndne_f32_e32 v40, v32
	v_fma_f32 v41, 0x3fb8aa3b, v25, -v33
	v_rndne_f32_e32 v42, v33
	v_fmac_f32_e32 v34, 0x32a5705f, v22
	v_sub_f32_e32 v30, v30, v36
	v_fmac_f32_e32 v37, 0x32a5705f, v23
	v_sub_f32_e32 v31, v31, v38
	v_fmac_f32_e32 v39, 0x32a5705f, v24
	v_sub_f32_e32 v32, v32, v40
	v_fmac_f32_e32 v41, 0x32a5705f, v25
	v_sub_f32_e32 v33, v33, v42
	v_add_f32_e32 v30, v30, v34
	v_add_f32_e32 v31, v31, v37
	;; [unrolled: 1-line block ×3, first 2 shown]
	v_cvt_i32_f32_e32 v36, v36
	v_add_f32_e32 v33, v33, v41
	v_exp_f32_e32 v30, v30
	v_exp_f32_e32 v31, v31
	;; [unrolled: 1-line block ×3, first 2 shown]
	v_cvt_i32_f32_e32 v38, v38
	v_exp_f32_e32 v33, v33
	v_cvt_i32_f32_e32 v40, v40
	v_cvt_i32_f32_e32 v42, v42
	v_cmp_ngt_f32_e64 s9, 0xc2ce8ed0, v23
	v_cmp_ngt_f32_e64 s10, 0xc2ce8ed0, v24
	;; [unrolled: 1-line block ×3, first 2 shown]
	v_ldexp_f32 v30, v30, v36
	v_ldexp_f32 v31, v31, v38
	v_ldexp_f32 v32, v32, v40
	v_cmp_ngt_f32_e64 s12, 0xc2ce8ed0, v22
	v_ldexp_f32 v33, v33, v42
	v_cndmask_b32_e64 v31, 0, v31, s9
	v_cmp_nlt_f32_e64 s9, 0x42b17218, v23
	v_cndmask_b32_e64 v30, 0, v30, s12
	v_cndmask_b32_e64 v23, 0, v32, s10
	v_cmp_nlt_f32_e64 s10, 0x42b17218, v24
	v_cndmask_b32_e64 v24, 0, v33, s11
	v_cmp_nlt_f32_e64 s11, 0x42b17218, v25
	v_cmp_nlt_f32_e64 s12, 0x42b17218, v22
	v_cndmask_b32_e64 v25, 0x7f800000, v31, s9
	v_cndmask_b32_e64 v23, 0x7f800000, v23, s10
	;; [unrolled: 1-line block ×4, first 2 shown]
	v_fma_f32 v27, v25, v27, v25
	v_cmp_class_f32_e64 s9, v25, 0x204
	v_fma_f32 v28, v23, v28, v23
	v_cmp_class_f32_e64 s10, v23, 0x204
	v_fma_f32 v26, v22, v26, v22
	v_fma_f32 v29, v24, v29, v24
	v_cmp_class_f32_e64 s11, v24, 0x204
	v_cmp_class_f32_e64 s12, v22, 0x204
	v_cndmask_b32_e64 v25, v27, v25, s9
	v_cndmask_b32_e64 v23, v28, v23, s10
	;; [unrolled: 1-line block ×4, first 2 shown]
	v_bfi_b32 v19, 0x7fffffff, v25, v19
	v_bfi_b32 v20, 0x7fffffff, v23, v20
	;; [unrolled: 1-line block ×4, first 2 shown]
	v_cndmask_b32_e64 v23, 0x7fc00000, v19, s6
	v_cndmask_b32_e64 v24, 0x7fc00000, v20, s7
	v_cmp_gt_f32_e64 s6, 0, v12
	v_cndmask_b32_e64 v25, 0x7fc00000, v21, s8
	v_cndmask_b32_e64 v22, 0x7fc00000, v18, s4
	v_cmp_gt_f32_e64 s4, 0, v11
	v_cmp_gt_f32_e64 s7, 0, v13
	;; [unrolled: 1-line block ×3, first 2 shown]
	v_cndmask_b32_e64 v20, v20, v24, s6
	v_cmp_class_f32_e64 s6, v8, 0x204
	v_cndmask_b32_e64 v19, v19, v23, s4
	v_cmp_class_f32_e64 s4, v3, 0x204
	v_cndmask_b32_e64 v18, v18, v22, s8
	v_cndmask_b32_e64 v21, v21, v25, s7
	v_cmp_class_f32_e64 s7, v9, 0x204
	v_cmp_class_f32_e64 s8, v2, 0x204
	v_cndmask_b32_e64 v19, v19, v57, s4
	v_cndmask_b32_e64 v20, v20, v53, s6
	s_or_b32 s4, s5, s33
	v_cndmask_b32_e64 v21, v21, v52, s7
	v_cndmask_b32_e64 v18, v18, v35, s8
	v_cndmask_b32_e64 v17, v19, v17, s2
	v_cmp_o_f32_e64 s2, v12, v8
	s_or_b32 s25, s0, s25
	v_cndmask_b32_e64 v16, v18, v16, s1
	v_cmp_o_f32_e64 s1, v11, v3
	v_cndmask_b32_e64 v3, v20, v15, s3
	v_cndmask_b32_e64 v11, v21, v14, s4
	v_cmp_o_f32_e64 s3, v13, v9
	v_cmp_o_f32_e64 s4, v10, v2
	v_cndmask_b32_e64 v9, 0x7fc00000, v17, s1
	v_cndmask_b32_e64 v10, 0x7fc00000, v3, s2
	;; [unrolled: 1-line block ×4, first 2 shown]
	global_store_dwordx4 v[4:5], v[8:11], off
	s_andn2_b32 exec_lo, exec_lo, s25
	s_cbranch_execnz .LBB91_24
.LBB91_25:
	s_endpgm
	.section	.rodata,"a",@progbits
	.p2align	6, 0x0
	.amdhsa_kernel _ZN2at6native12_GLOBAL__N_125multi_tensor_apply_kernelINS1_28TensorListScalarListMetadataIfLi2EEENS1_25BinaryOpScalarListFunctorIfLi2ELi1ELi1EEEJNS1_13power_functorIfEEEEEvT_T0_DpT1_
		.amdhsa_group_segment_fixed_size 0
		.amdhsa_private_segment_fixed_size 0
		.amdhsa_kernarg_size 3656
		.amdhsa_user_sgpr_count 6
		.amdhsa_user_sgpr_private_segment_buffer 1
		.amdhsa_user_sgpr_dispatch_ptr 0
		.amdhsa_user_sgpr_queue_ptr 0
		.amdhsa_user_sgpr_kernarg_segment_ptr 1
		.amdhsa_user_sgpr_dispatch_id 0
		.amdhsa_user_sgpr_flat_scratch_init 0
		.amdhsa_user_sgpr_private_segment_size 0
		.amdhsa_wavefront_size32 1
		.amdhsa_uses_dynamic_stack 0
		.amdhsa_system_sgpr_private_segment_wavefront_offset 0
		.amdhsa_system_sgpr_workgroup_id_x 1
		.amdhsa_system_sgpr_workgroup_id_y 0
		.amdhsa_system_sgpr_workgroup_id_z 0
		.amdhsa_system_sgpr_workgroup_info 0
		.amdhsa_system_vgpr_workitem_id 0
		.amdhsa_next_free_vgpr 60
		.amdhsa_next_free_sgpr 39
		.amdhsa_reserve_vcc 1
		.amdhsa_reserve_flat_scratch 0
		.amdhsa_float_round_mode_32 0
		.amdhsa_float_round_mode_16_64 0
		.amdhsa_float_denorm_mode_32 3
		.amdhsa_float_denorm_mode_16_64 3
		.amdhsa_dx10_clamp 1
		.amdhsa_ieee_mode 1
		.amdhsa_fp16_overflow 0
		.amdhsa_workgroup_processor_mode 1
		.amdhsa_memory_ordered 1
		.amdhsa_forward_progress 1
		.amdhsa_shared_vgpr_count 0
		.amdhsa_exception_fp_ieee_invalid_op 0
		.amdhsa_exception_fp_denorm_src 0
		.amdhsa_exception_fp_ieee_div_zero 0
		.amdhsa_exception_fp_ieee_overflow 0
		.amdhsa_exception_fp_ieee_underflow 0
		.amdhsa_exception_fp_ieee_inexact 0
		.amdhsa_exception_int_div_zero 0
	.end_amdhsa_kernel
	.section	.text._ZN2at6native12_GLOBAL__N_125multi_tensor_apply_kernelINS1_28TensorListScalarListMetadataIfLi2EEENS1_25BinaryOpScalarListFunctorIfLi2ELi1ELi1EEEJNS1_13power_functorIfEEEEEvT_T0_DpT1_,"axG",@progbits,_ZN2at6native12_GLOBAL__N_125multi_tensor_apply_kernelINS1_28TensorListScalarListMetadataIfLi2EEENS1_25BinaryOpScalarListFunctorIfLi2ELi1ELi1EEEJNS1_13power_functorIfEEEEEvT_T0_DpT1_,comdat
.Lfunc_end91:
	.size	_ZN2at6native12_GLOBAL__N_125multi_tensor_apply_kernelINS1_28TensorListScalarListMetadataIfLi2EEENS1_25BinaryOpScalarListFunctorIfLi2ELi1ELi1EEEJNS1_13power_functorIfEEEEEvT_T0_DpT1_, .Lfunc_end91-_ZN2at6native12_GLOBAL__N_125multi_tensor_apply_kernelINS1_28TensorListScalarListMetadataIfLi2EEENS1_25BinaryOpScalarListFunctorIfLi2ELi1ELi1EEEJNS1_13power_functorIfEEEEEvT_T0_DpT1_
                                        ; -- End function
	.set _ZN2at6native12_GLOBAL__N_125multi_tensor_apply_kernelINS1_28TensorListScalarListMetadataIfLi2EEENS1_25BinaryOpScalarListFunctorIfLi2ELi1ELi1EEEJNS1_13power_functorIfEEEEEvT_T0_DpT1_.num_vgpr, 60
	.set _ZN2at6native12_GLOBAL__N_125multi_tensor_apply_kernelINS1_28TensorListScalarListMetadataIfLi2EEENS1_25BinaryOpScalarListFunctorIfLi2ELi1ELi1EEEJNS1_13power_functorIfEEEEEvT_T0_DpT1_.num_agpr, 0
	.set _ZN2at6native12_GLOBAL__N_125multi_tensor_apply_kernelINS1_28TensorListScalarListMetadataIfLi2EEENS1_25BinaryOpScalarListFunctorIfLi2ELi1ELi1EEEJNS1_13power_functorIfEEEEEvT_T0_DpT1_.numbered_sgpr, 39
	.set _ZN2at6native12_GLOBAL__N_125multi_tensor_apply_kernelINS1_28TensorListScalarListMetadataIfLi2EEENS1_25BinaryOpScalarListFunctorIfLi2ELi1ELi1EEEJNS1_13power_functorIfEEEEEvT_T0_DpT1_.num_named_barrier, 0
	.set _ZN2at6native12_GLOBAL__N_125multi_tensor_apply_kernelINS1_28TensorListScalarListMetadataIfLi2EEENS1_25BinaryOpScalarListFunctorIfLi2ELi1ELi1EEEJNS1_13power_functorIfEEEEEvT_T0_DpT1_.private_seg_size, 0
	.set _ZN2at6native12_GLOBAL__N_125multi_tensor_apply_kernelINS1_28TensorListScalarListMetadataIfLi2EEENS1_25BinaryOpScalarListFunctorIfLi2ELi1ELi1EEEJNS1_13power_functorIfEEEEEvT_T0_DpT1_.uses_vcc, 1
	.set _ZN2at6native12_GLOBAL__N_125multi_tensor_apply_kernelINS1_28TensorListScalarListMetadataIfLi2EEENS1_25BinaryOpScalarListFunctorIfLi2ELi1ELi1EEEJNS1_13power_functorIfEEEEEvT_T0_DpT1_.uses_flat_scratch, 0
	.set _ZN2at6native12_GLOBAL__N_125multi_tensor_apply_kernelINS1_28TensorListScalarListMetadataIfLi2EEENS1_25BinaryOpScalarListFunctorIfLi2ELi1ELi1EEEJNS1_13power_functorIfEEEEEvT_T0_DpT1_.has_dyn_sized_stack, 0
	.set _ZN2at6native12_GLOBAL__N_125multi_tensor_apply_kernelINS1_28TensorListScalarListMetadataIfLi2EEENS1_25BinaryOpScalarListFunctorIfLi2ELi1ELi1EEEJNS1_13power_functorIfEEEEEvT_T0_DpT1_.has_recursion, 0
	.set _ZN2at6native12_GLOBAL__N_125multi_tensor_apply_kernelINS1_28TensorListScalarListMetadataIfLi2EEENS1_25BinaryOpScalarListFunctorIfLi2ELi1ELi1EEEJNS1_13power_functorIfEEEEEvT_T0_DpT1_.has_indirect_call, 0
	.section	.AMDGPU.csdata,"",@progbits
; Kernel info:
; codeLenInByte = 9344
; TotalNumSgprs: 41
; NumVgprs: 60
; ScratchSize: 0
; MemoryBound: 0
; FloatMode: 240
; IeeeMode: 1
; LDSByteSize: 0 bytes/workgroup (compile time only)
; SGPRBlocks: 0
; VGPRBlocks: 7
; NumSGPRsForWavesPerEU: 41
; NumVGPRsForWavesPerEU: 60
; Occupancy: 16
; WaveLimiterHint : 0
; COMPUTE_PGM_RSRC2:SCRATCH_EN: 0
; COMPUTE_PGM_RSRC2:USER_SGPR: 6
; COMPUTE_PGM_RSRC2:TRAP_HANDLER: 0
; COMPUTE_PGM_RSRC2:TGID_X_EN: 1
; COMPUTE_PGM_RSRC2:TGID_Y_EN: 0
; COMPUTE_PGM_RSRC2:TGID_Z_EN: 0
; COMPUTE_PGM_RSRC2:TIDIG_COMP_CNT: 0
	.section	.text._ZN2at6native12_GLOBAL__N_125multi_tensor_apply_kernelINS1_28TensorListScalarListMetadataIN3c107complexIdEELi2EEENS1_25BinaryOpScalarListFunctorIS6_Li2ELi1ELi1EEEJNS1_13power_functorIS6_EEEEEvT_T0_DpT1_,"axG",@progbits,_ZN2at6native12_GLOBAL__N_125multi_tensor_apply_kernelINS1_28TensorListScalarListMetadataIN3c107complexIdEELi2EEENS1_25BinaryOpScalarListFunctorIS6_Li2ELi1ELi1EEEJNS1_13power_functorIS6_EEEEEvT_T0_DpT1_,comdat
	.globl	_ZN2at6native12_GLOBAL__N_125multi_tensor_apply_kernelINS1_28TensorListScalarListMetadataIN3c107complexIdEELi2EEENS1_25BinaryOpScalarListFunctorIS6_Li2ELi1ELi1EEEJNS1_13power_functorIS6_EEEEEvT_T0_DpT1_ ; -- Begin function _ZN2at6native12_GLOBAL__N_125multi_tensor_apply_kernelINS1_28TensorListScalarListMetadataIN3c107complexIdEELi2EEENS1_25BinaryOpScalarListFunctorIS6_Li2ELi1ELi1EEEJNS1_13power_functorIS6_EEEEEvT_T0_DpT1_
	.p2align	8
	.type	_ZN2at6native12_GLOBAL__N_125multi_tensor_apply_kernelINS1_28TensorListScalarListMetadataIN3c107complexIdEELi2EEENS1_25BinaryOpScalarListFunctorIS6_Li2ELi1ELi1EEEJNS1_13power_functorIS6_EEEEEvT_T0_DpT1_,@function
_ZN2at6native12_GLOBAL__N_125multi_tensor_apply_kernelINS1_28TensorListScalarListMetadataIN3c107complexIdEELi2EEENS1_25BinaryOpScalarListFunctorIS6_Li2ELi1ELi1EEEJNS1_13power_functorIS6_EEEEEvT_T0_DpT1_: ; @_ZN2at6native12_GLOBAL__N_125multi_tensor_apply_kernelINS1_28TensorListScalarListMetadataIN3c107complexIdEELi2EEENS1_25BinaryOpScalarListFunctorIS6_Li2ELi1ELi1EEEJNS1_13power_functorIS6_EEEEEvT_T0_DpT1_
; %bb.0:
	s_add_u32 s0, s0, s7
	s_mov_b64 s[22:23], s[4:5]
	v_mov_b32_e32 v60, v0
	v_mov_b32_e32 v0, 0x800
	s_addc_u32 s1, s1, 0
	s_add_u32 s4, s22, s6
	s_addc_u32 s5, s23, 0
	s_mov_b32 s7, 0
	global_load_ubyte v0, v0, s[4:5] offset:352
	s_lshl_b64 s[4:5], s[6:7], 2
	s_mov_b32 s17, s7
	s_add_u32 s4, s22, s4
	s_addc_u32 s5, s23, s5
	s_mov_b32 s32, 0
	s_waitcnt vmcnt(0)
	v_lshlrev_b32_e32 v0, 3, v0
	v_readfirstlane_b32 s6, v0
	s_clause 0x3
	s_load_dword s4, s[4:5], 0xaa0
	s_load_dwordx2 s[8:9], s[22:23], s6 offset:0x0
	s_load_dwordx2 s[10:11], s[22:23], s6 offset:0x1e0
	;; [unrolled: 1-line block ×3, first 2 shown]
	v_add_co_u32 v0, s5, s22, v0
	v_add_co_ci_u32_e64 v1, null, s23, 0, s5
	v_readfirstlane_b32 s14, v0
	v_readfirstlane_b32 s15, v1
	s_load_dwordx4 s[36:39], s[14:15], s6 offset:0x5a0
	s_waitcnt lgkmcnt(0)
	s_ashr_i32 s5, s4, 31
	s_lshl_b64 s[18:19], s[4:5], 20
	s_add_u32 s33, s8, s18
	s_addc_u32 s42, s9, s19
	s_and_b32 s6, s33, 63
	s_add_u32 s43, s10, s18
	s_addc_u32 s44, s11, s19
	s_lshl_b64 s[4:5], s[4:5], 16
	s_and_b32 s16, s43, 63
	s_sub_u32 s26, s12, s4
	s_subb_u32 s27, s13, s5
	s_and_b32 s4, s12, 3
	s_mov_b32 s5, s7
	s_or_b64 s[4:5], s[16:17], s[4:5]
	s_or_b64 s[4:5], s[4:5], s[6:7]
	s_cmp_eq_u64 s[4:5], 0
	s_mov_b32 s4, -1
	s_cbranch_scc1 .LBB92_21
; %bb.1:
	v_cmp_lt_i64_e64 s4, s[26:27], 1
	s_and_b32 vcc_lo, exec_lo, s4
	s_cbranch_vccnz .LBB92_20
; %bb.2:
	s_load_dword s4, s[22:23], 0xfb4
	v_cmp_gt_i64_e64 s5, 0x10000, s[26:27]
	v_cmp_gt_u64_e64 s6, 0x10000, s[26:27]
	s_mov_b64 s[40:41], 0
	s_and_b32 s5, s5, exec_lo
	s_cselect_b32 s29, s27, 0
	s_cselect_b32 s28, s26, 0x10000
	s_waitcnt lgkmcnt(0)
	s_and_b32 s45, s4, 0xffff
	s_and_b32 s4, s6, exec_lo
	s_cselect_b32 s35, s27, 0
	s_cselect_b32 s34, s26, 0x10000
	s_lshl_b32 s46, s45, 1
	s_mul_i32 s47, s45, 3
	s_lshl_b32 s48, s45, 2
	s_branch .LBB92_4
.LBB92_3:                               ;   in Loop: Header=BB92_4 Depth=1
	s_or_b32 exec_lo, exec_lo, s24
	s_add_u32 s40, s40, s48
	s_addc_u32 s41, s41, 0
	v_cmp_lt_i64_e64 s4, s[40:41], s[28:29]
	s_and_b32 vcc_lo, exec_lo, s4
	s_cbranch_vccz .LBB92_20
.LBB92_4:                               ; =>This Inner Loop Header: Depth=1
	v_add_co_u32 v72, s4, s40, v60
	v_add_co_ci_u32_e64 v73, null, s41, 0, s4
	s_waitcnt vmcnt(0)
	v_mov_b32_e32 v46, 0
	v_mov_b32_e32 v2, 0
	;; [unrolled: 1-line block ×3, first 2 shown]
	v_cmp_gt_u64_e32 vcc_lo, s[34:35], v[72:73]
	v_mov_b32_e32 v47, 0
	v_mov_b32_e32 v3, 0
	;; [unrolled: 1-line block ×3, first 2 shown]
	s_and_saveexec_b32 s5, vcc_lo
	s_cbranch_execz .LBB92_6
; %bb.5:                                ;   in Loop: Header=BB92_4 Depth=1
	v_lshlrev_b64 v[0:1], 4, v[72:73]
	v_add_co_u32 v0, s4, s33, v0
	v_add_co_ci_u32_e64 v1, null, s42, v1, s4
	global_load_dwordx4 v[0:3], v[0:1], off
.LBB92_6:                               ;   in Loop: Header=BB92_4 Depth=1
	s_or_b32 exec_lo, exec_lo, s5
	v_add_co_u32 v70, s4, v72, s45
	v_add_co_ci_u32_e64 v71, null, 0, v73, s4
	v_mov_b32_e32 v44, 0
	v_mov_b32_e32 v45, 0
	v_cmp_gt_u64_e64 s25, s[34:35], v[70:71]
	s_and_saveexec_b32 s5, s25
	s_cbranch_execz .LBB92_8
; %bb.7:                                ;   in Loop: Header=BB92_4 Depth=1
	v_lshlrev_b64 v[4:5], 4, v[70:71]
	v_add_co_u32 v4, s4, s33, v4
	v_add_co_ci_u32_e64 v5, null, s42, v5, s4
	global_load_dwordx4 v[44:47], v[4:5], off
.LBB92_8:                               ;   in Loop: Header=BB92_4 Depth=1
	s_or_b32 exec_lo, exec_lo, s5
	v_add_co_u32 v68, s4, v72, s46
	v_add_co_ci_u32_e64 v69, null, 0, v73, s4
	v_mov_b32_e32 v42, 0
	v_mov_b32_e32 v58, 0
	;; [unrolled: 1-line block ×3, first 2 shown]
	v_cmp_gt_u64_e64 s24, s[34:35], v[68:69]
	v_mov_b32_e32 v43, 0
	v_mov_b32_e32 v59, 0
	;; [unrolled: 1-line block ×3, first 2 shown]
	s_and_saveexec_b32 s5, s24
	s_cbranch_execz .LBB92_10
; %bb.9:                                ;   in Loop: Header=BB92_4 Depth=1
	v_lshlrev_b64 v[4:5], 4, v[68:69]
	v_add_co_u32 v4, s4, s33, v4
	v_add_co_ci_u32_e64 v5, null, s42, v5, s4
	global_load_dwordx4 v[56:59], v[4:5], off
.LBB92_10:                              ;   in Loop: Header=BB92_4 Depth=1
	s_or_b32 exec_lo, exec_lo, s5
	v_add_co_u32 v61, s4, v72, s47
	v_add_co_ci_u32_e64 v62, null, 0, v73, s4
	v_mov_b32_e32 v40, 0
	v_mov_b32_e32 v41, 0
	v_cmp_gt_u64_e64 s21, s[34:35], v[61:62]
	s_and_saveexec_b32 s5, s21
	s_cbranch_execnz .LBB92_15
; %bb.11:                               ;   in Loop: Header=BB92_4 Depth=1
	s_or_b32 exec_lo, exec_lo, s5
	s_and_saveexec_b32 s49, vcc_lo
	s_cbranch_execnz .LBB92_16
.LBB92_12:                              ;   in Loop: Header=BB92_4 Depth=1
	s_or_b32 exec_lo, exec_lo, s49
	s_and_saveexec_b32 s49, s25
	s_cbranch_execnz .LBB92_17
.LBB92_13:                              ;   in Loop: Header=BB92_4 Depth=1
	s_or_b32 exec_lo, exec_lo, s49
	s_and_saveexec_b32 s25, s24
	s_cbranch_execnz .LBB92_18
.LBB92_14:                              ;   in Loop: Header=BB92_4 Depth=1
	s_or_b32 exec_lo, exec_lo, s25
	s_and_saveexec_b32 s24, s21
	s_cbranch_execz .LBB92_3
	s_branch .LBB92_19
.LBB92_15:                              ;   in Loop: Header=BB92_4 Depth=1
	v_lshlrev_b64 v[4:5], 4, v[61:62]
	v_add_co_u32 v4, s4, s33, v4
	v_add_co_ci_u32_e64 v5, null, s42, v5, s4
	global_load_dwordx4 v[40:43], v[4:5], off
	s_or_b32 exec_lo, exec_lo, s5
	s_and_saveexec_b32 s49, vcc_lo
	s_cbranch_execz .LBB92_12
.LBB92_16:                              ;   in Loop: Header=BB92_4 Depth=1
	v_mov_b32_e32 v4, s36
	v_mov_b32_e32 v5, s37
	;; [unrolled: 1-line block ×4, first 2 shown]
	s_getpc_b64 s[4:5]
	s_add_u32 s4, s4, _ZNK2at6native12_GLOBAL__N_113power_functorIN3c107complexIdEEEclERKS5_S8_@rel32@lo+4
	s_addc_u32 s5, s5, _ZNK2at6native12_GLOBAL__N_113power_functorIN3c107complexIdEEEclERKS5_S8_@rel32@hi+12
	s_swappc_b64 s[30:31], s[4:5]
	v_lshlrev_b64 v[4:5], 4, v[72:73]
	v_add_co_u32 v4, vcc_lo, s43, v4
	v_add_co_ci_u32_e64 v5, null, s44, v5, vcc_lo
	global_store_dwordx4 v[4:5], v[0:3], off
	s_or_b32 exec_lo, exec_lo, s49
	s_and_saveexec_b32 s49, s25
	s_cbranch_execz .LBB92_13
.LBB92_17:                              ;   in Loop: Header=BB92_4 Depth=1
	s_waitcnt vmcnt(0)
	v_mov_b32_e32 v0, v44
	v_mov_b32_e32 v1, v45
	;; [unrolled: 1-line block ×8, first 2 shown]
	s_getpc_b64 s[4:5]
	s_add_u32 s4, s4, _ZNK2at6native12_GLOBAL__N_113power_functorIN3c107complexIdEEEclERKS5_S8_@rel32@lo+4
	s_addc_u32 s5, s5, _ZNK2at6native12_GLOBAL__N_113power_functorIN3c107complexIdEEEclERKS5_S8_@rel32@hi+12
	s_swappc_b64 s[30:31], s[4:5]
	v_lshlrev_b64 v[4:5], 4, v[70:71]
	v_add_co_u32 v4, vcc_lo, s43, v4
	v_add_co_ci_u32_e64 v5, null, s44, v5, vcc_lo
	global_store_dwordx4 v[4:5], v[0:3], off
	s_or_b32 exec_lo, exec_lo, s49
	s_and_saveexec_b32 s25, s24
	s_cbranch_execz .LBB92_14
.LBB92_18:                              ;   in Loop: Header=BB92_4 Depth=1
	s_waitcnt vmcnt(0)
	v_mov_b32_e32 v0, v56
	v_mov_b32_e32 v1, v57
	;; [unrolled: 1-line block ×8, first 2 shown]
	s_getpc_b64 s[4:5]
	s_add_u32 s4, s4, _ZNK2at6native12_GLOBAL__N_113power_functorIN3c107complexIdEEEclERKS5_S8_@rel32@lo+4
	s_addc_u32 s5, s5, _ZNK2at6native12_GLOBAL__N_113power_functorIN3c107complexIdEEEclERKS5_S8_@rel32@hi+12
	s_swappc_b64 s[30:31], s[4:5]
	v_lshlrev_b64 v[4:5], 4, v[68:69]
	v_add_co_u32 v4, vcc_lo, s43, v4
	v_add_co_ci_u32_e64 v5, null, s44, v5, vcc_lo
	global_store_dwordx4 v[4:5], v[0:3], off
	s_or_b32 exec_lo, exec_lo, s25
	s_and_saveexec_b32 s24, s21
	s_cbranch_execz .LBB92_3
.LBB92_19:                              ;   in Loop: Header=BB92_4 Depth=1
	s_waitcnt vmcnt(0)
	v_mov_b32_e32 v0, v40
	v_mov_b32_e32 v1, v41
	;; [unrolled: 1-line block ×8, first 2 shown]
	s_getpc_b64 s[4:5]
	s_add_u32 s4, s4, _ZNK2at6native12_GLOBAL__N_113power_functorIN3c107complexIdEEEclERKS5_S8_@rel32@lo+4
	s_addc_u32 s5, s5, _ZNK2at6native12_GLOBAL__N_113power_functorIN3c107complexIdEEEclERKS5_S8_@rel32@hi+12
	s_swappc_b64 s[30:31], s[4:5]
	v_lshlrev_b64 v[4:5], 4, v[61:62]
	v_add_co_u32 v4, vcc_lo, s43, v4
	v_add_co_ci_u32_e64 v5, null, s44, v5, vcc_lo
	global_store_dwordx4 v[4:5], v[0:3], off
	s_branch .LBB92_3
.LBB92_20:
	s_mov_b32 s4, 0
.LBB92_21:
	s_andn2_b32 vcc_lo, exec_lo, s4
	s_cbranch_vccnz .LBB92_25
; %bb.22:
	v_cmp_gt_i64_e64 s4, 0x10000, s[26:27]
	s_waitcnt vmcnt(0)
	v_mov_b32_e32 v1, 0
	v_lshlrev_b32_e32 v0, 2, v60
	s_mov_b32 s21, 0
	s_and_b32 s4, s4, exec_lo
	s_cselect_b32 s25, s27, 0
	s_cselect_b32 s24, s26, 0x10000
	s_mov_b32 s4, exec_lo
	v_cmpx_gt_i64_e64 s[24:25], v[0:1]
	s_cbranch_execz .LBB92_25
; %bb.23:
	s_load_dword s4, s[22:23], 0xfb4
	v_mov_b32_e32 v61, v1
	v_lshlrev_b32_e32 v62, 6, v60
	s_waitcnt lgkmcnt(0)
	s_and_b32 s22, s4, 0xffff
	s_lshl_b32 s23, s22, 6
.LBB92_24:                              ; =>This Inner Loop Header: Depth=1
	v_add_co_u32 v4, s4, s33, v62
	v_add_co_ci_u32_e64 v5, null, s42, 0, s4
	v_mov_b32_e32 v6, s38
	v_mov_b32_e32 v7, s39
	s_getpc_b64 s[26:27]
	s_add_u32 s26, s26, _ZNK2at6native12_GLOBAL__N_113power_functorIN3c107complexIdEEEclERKS5_S8_@rel32@lo+4
	s_addc_u32 s27, s27, _ZNK2at6native12_GLOBAL__N_113power_functorIN3c107complexIdEEEclERKS5_S8_@rel32@hi+12
	s_clause 0x3
	global_load_dwordx4 v[0:3], v[4:5], off
	global_load_dwordx4 v[40:43], v[4:5], off offset:16
	global_load_dwordx4 v[44:47], v[4:5], off offset:48
	;; [unrolled: 1-line block ×3, first 2 shown]
	v_mov_b32_e32 v4, s36
	v_mov_b32_e32 v5, s37
	s_swappc_b64 s[30:31], s[26:27]
	v_mov_b32_e32 v68, v0
	v_mov_b32_e32 v69, v1
	v_mov_b32_e32 v70, v2
	v_mov_b32_e32 v71, v3
	v_mov_b32_e32 v0, v40
	v_mov_b32_e32 v1, v41
	v_mov_b32_e32 v2, v42
	v_mov_b32_e32 v3, v43
	v_mov_b32_e32 v4, s36
	v_mov_b32_e32 v5, s37
	v_mov_b32_e32 v6, s38
	v_mov_b32_e32 v7, s39
	s_swappc_b64 s[30:31], s[26:27]
	v_mov_b32_e32 v40, v0
	v_mov_b32_e32 v41, v1
	v_mov_b32_e32 v42, v2
	v_mov_b32_e32 v43, v3
	v_mov_b32_e32 v0, v56
	v_mov_b32_e32 v1, v57
	v_mov_b32_e32 v2, v58
	v_mov_b32_e32 v3, v59
	v_mov_b32_e32 v4, s36
	v_mov_b32_e32 v5, s37
	v_mov_b32_e32 v6, s38
	v_mov_b32_e32 v7, s39
	s_swappc_b64 s[30:31], s[26:27]
	v_mov_b32_e32 v56, v0
	v_mov_b32_e32 v57, v1
	v_mov_b32_e32 v58, v2
	v_mov_b32_e32 v59, v3
	v_mov_b32_e32 v0, v44
	v_mov_b32_e32 v1, v45
	v_mov_b32_e32 v2, v46
	v_mov_b32_e32 v3, v47
	v_mov_b32_e32 v4, s36
	v_mov_b32_e32 v5, s37
	v_mov_b32_e32 v6, s38
	v_mov_b32_e32 v7, s39
	s_swappc_b64 s[30:31], s[26:27]
	v_add_co_u32 v60, vcc_lo, v60, s22
	v_add_co_ci_u32_e64 v61, null, 0, v61, vcc_lo
	v_add_co_u32 v6, s4, s43, v62
	s_add_u32 s43, s43, s23
	v_lshlrev_b64 v[4:5], 2, v[60:61]
	v_add_co_ci_u32_e64 v7, null, s44, 0, s4
	s_addc_u32 s44, s44, 0
	s_add_u32 s33, s33, s23
	s_addc_u32 s42, s42, 0
	v_cmp_le_i64_e32 vcc_lo, s[24:25], v[4:5]
	global_store_dwordx4 v[6:7], v[68:71], off
	global_store_dwordx4 v[6:7], v[40:43], off offset:16
	global_store_dwordx4 v[6:7], v[56:59], off offset:32
	global_store_dwordx4 v[6:7], v[0:3], off offset:48
	s_or_b32 s21, vcc_lo, s21
	s_andn2_b32 exec_lo, exec_lo, s21
	s_cbranch_execnz .LBB92_24
.LBB92_25:
	s_endpgm
	.section	.rodata,"a",@progbits
	.p2align	6, 0x0
	.amdhsa_kernel _ZN2at6native12_GLOBAL__N_125multi_tensor_apply_kernelINS1_28TensorListScalarListMetadataIN3c107complexIdEELi2EEENS1_25BinaryOpScalarListFunctorIS6_Li2ELi1ELi1EEEJNS1_13power_functorIS6_EEEEEvT_T0_DpT1_
		.amdhsa_group_segment_fixed_size 0
		.amdhsa_private_segment_fixed_size 0
		.amdhsa_kernarg_size 4264
		.amdhsa_user_sgpr_count 6
		.amdhsa_user_sgpr_private_segment_buffer 1
		.amdhsa_user_sgpr_dispatch_ptr 0
		.amdhsa_user_sgpr_queue_ptr 0
		.amdhsa_user_sgpr_kernarg_segment_ptr 1
		.amdhsa_user_sgpr_dispatch_id 0
		.amdhsa_user_sgpr_flat_scratch_init 0
		.amdhsa_user_sgpr_private_segment_size 0
		.amdhsa_wavefront_size32 1
		.amdhsa_uses_dynamic_stack 0
		.amdhsa_system_sgpr_private_segment_wavefront_offset 0
		.amdhsa_system_sgpr_workgroup_id_x 1
		.amdhsa_system_sgpr_workgroup_id_y 0
		.amdhsa_system_sgpr_workgroup_id_z 0
		.amdhsa_system_sgpr_workgroup_info 0
		.amdhsa_system_vgpr_workitem_id 0
		.amdhsa_next_free_vgpr 74
		.amdhsa_next_free_sgpr 50
		.amdhsa_reserve_vcc 1
		.amdhsa_reserve_flat_scratch 0
		.amdhsa_float_round_mode_32 0
		.amdhsa_float_round_mode_16_64 0
		.amdhsa_float_denorm_mode_32 3
		.amdhsa_float_denorm_mode_16_64 3
		.amdhsa_dx10_clamp 1
		.amdhsa_ieee_mode 1
		.amdhsa_fp16_overflow 0
		.amdhsa_workgroup_processor_mode 1
		.amdhsa_memory_ordered 1
		.amdhsa_forward_progress 1
		.amdhsa_shared_vgpr_count 0
		.amdhsa_exception_fp_ieee_invalid_op 0
		.amdhsa_exception_fp_denorm_src 0
		.amdhsa_exception_fp_ieee_div_zero 0
		.amdhsa_exception_fp_ieee_overflow 0
		.amdhsa_exception_fp_ieee_underflow 0
		.amdhsa_exception_fp_ieee_inexact 0
		.amdhsa_exception_int_div_zero 0
	.end_amdhsa_kernel
	.section	.text._ZN2at6native12_GLOBAL__N_125multi_tensor_apply_kernelINS1_28TensorListScalarListMetadataIN3c107complexIdEELi2EEENS1_25BinaryOpScalarListFunctorIS6_Li2ELi1ELi1EEEJNS1_13power_functorIS6_EEEEEvT_T0_DpT1_,"axG",@progbits,_ZN2at6native12_GLOBAL__N_125multi_tensor_apply_kernelINS1_28TensorListScalarListMetadataIN3c107complexIdEELi2EEENS1_25BinaryOpScalarListFunctorIS6_Li2ELi1ELi1EEEJNS1_13power_functorIS6_EEEEEvT_T0_DpT1_,comdat
.Lfunc_end92:
	.size	_ZN2at6native12_GLOBAL__N_125multi_tensor_apply_kernelINS1_28TensorListScalarListMetadataIN3c107complexIdEELi2EEENS1_25BinaryOpScalarListFunctorIS6_Li2ELi1ELi1EEEJNS1_13power_functorIS6_EEEEEvT_T0_DpT1_, .Lfunc_end92-_ZN2at6native12_GLOBAL__N_125multi_tensor_apply_kernelINS1_28TensorListScalarListMetadataIN3c107complexIdEELi2EEENS1_25BinaryOpScalarListFunctorIS6_Li2ELi1ELi1EEEJNS1_13power_functorIS6_EEEEEvT_T0_DpT1_
                                        ; -- End function
	.set _ZN2at6native12_GLOBAL__N_125multi_tensor_apply_kernelINS1_28TensorListScalarListMetadataIN3c107complexIdEELi2EEENS1_25BinaryOpScalarListFunctorIS6_Li2ELi1ELi1EEEJNS1_13power_functorIS6_EEEEEvT_T0_DpT1_.num_vgpr, max(74, .L_ZNK2at6native12_GLOBAL__N_113power_functorIN3c107complexIdEEEclERKS5_S8_.num_vgpr)
	.set _ZN2at6native12_GLOBAL__N_125multi_tensor_apply_kernelINS1_28TensorListScalarListMetadataIN3c107complexIdEELi2EEENS1_25BinaryOpScalarListFunctorIS6_Li2ELi1ELi1EEEJNS1_13power_functorIS6_EEEEEvT_T0_DpT1_.num_agpr, max(0, .L_ZNK2at6native12_GLOBAL__N_113power_functorIN3c107complexIdEEEclERKS5_S8_.num_agpr)
	.set _ZN2at6native12_GLOBAL__N_125multi_tensor_apply_kernelINS1_28TensorListScalarListMetadataIN3c107complexIdEELi2EEENS1_25BinaryOpScalarListFunctorIS6_Li2ELi1ELi1EEEJNS1_13power_functorIS6_EEEEEvT_T0_DpT1_.numbered_sgpr, max(50, .L_ZNK2at6native12_GLOBAL__N_113power_functorIN3c107complexIdEEEclERKS5_S8_.numbered_sgpr)
	.set _ZN2at6native12_GLOBAL__N_125multi_tensor_apply_kernelINS1_28TensorListScalarListMetadataIN3c107complexIdEELi2EEENS1_25BinaryOpScalarListFunctorIS6_Li2ELi1ELi1EEEJNS1_13power_functorIS6_EEEEEvT_T0_DpT1_.num_named_barrier, max(0, .L_ZNK2at6native12_GLOBAL__N_113power_functorIN3c107complexIdEEEclERKS5_S8_.num_named_barrier)
	.set _ZN2at6native12_GLOBAL__N_125multi_tensor_apply_kernelINS1_28TensorListScalarListMetadataIN3c107complexIdEELi2EEENS1_25BinaryOpScalarListFunctorIS6_Li2ELi1ELi1EEEJNS1_13power_functorIS6_EEEEEvT_T0_DpT1_.private_seg_size, 0+max(.L_ZNK2at6native12_GLOBAL__N_113power_functorIN3c107complexIdEEEclERKS5_S8_.private_seg_size)
	.set _ZN2at6native12_GLOBAL__N_125multi_tensor_apply_kernelINS1_28TensorListScalarListMetadataIN3c107complexIdEELi2EEENS1_25BinaryOpScalarListFunctorIS6_Li2ELi1ELi1EEEJNS1_13power_functorIS6_EEEEEvT_T0_DpT1_.uses_vcc, or(1, .L_ZNK2at6native12_GLOBAL__N_113power_functorIN3c107complexIdEEEclERKS5_S8_.uses_vcc)
	.set _ZN2at6native12_GLOBAL__N_125multi_tensor_apply_kernelINS1_28TensorListScalarListMetadataIN3c107complexIdEELi2EEENS1_25BinaryOpScalarListFunctorIS6_Li2ELi1ELi1EEEJNS1_13power_functorIS6_EEEEEvT_T0_DpT1_.uses_flat_scratch, or(0, .L_ZNK2at6native12_GLOBAL__N_113power_functorIN3c107complexIdEEEclERKS5_S8_.uses_flat_scratch)
	.set _ZN2at6native12_GLOBAL__N_125multi_tensor_apply_kernelINS1_28TensorListScalarListMetadataIN3c107complexIdEELi2EEENS1_25BinaryOpScalarListFunctorIS6_Li2ELi1ELi1EEEJNS1_13power_functorIS6_EEEEEvT_T0_DpT1_.has_dyn_sized_stack, or(0, .L_ZNK2at6native12_GLOBAL__N_113power_functorIN3c107complexIdEEEclERKS5_S8_.has_dyn_sized_stack)
	.set _ZN2at6native12_GLOBAL__N_125multi_tensor_apply_kernelINS1_28TensorListScalarListMetadataIN3c107complexIdEELi2EEENS1_25BinaryOpScalarListFunctorIS6_Li2ELi1ELi1EEEJNS1_13power_functorIS6_EEEEEvT_T0_DpT1_.has_recursion, or(0, .L_ZNK2at6native12_GLOBAL__N_113power_functorIN3c107complexIdEEEclERKS5_S8_.has_recursion)
	.set _ZN2at6native12_GLOBAL__N_125multi_tensor_apply_kernelINS1_28TensorListScalarListMetadataIN3c107complexIdEELi2EEENS1_25BinaryOpScalarListFunctorIS6_Li2ELi1ELi1EEEJNS1_13power_functorIS6_EEEEEvT_T0_DpT1_.has_indirect_call, or(0, .L_ZNK2at6native12_GLOBAL__N_113power_functorIN3c107complexIdEEEclERKS5_S8_.has_indirect_call)
	.section	.AMDGPU.csdata,"",@progbits
; Kernel info:
; codeLenInByte = 1604
; TotalNumSgprs: 52
; NumVgprs: 74
; ScratchSize: 0
; MemoryBound: 1
; FloatMode: 240
; IeeeMode: 1
; LDSByteSize: 0 bytes/workgroup (compile time only)
; SGPRBlocks: 0
; VGPRBlocks: 9
; NumSGPRsForWavesPerEU: 52
; NumVGPRsForWavesPerEU: 74
; Occupancy: 12
; WaveLimiterHint : 0
; COMPUTE_PGM_RSRC2:SCRATCH_EN: 0
; COMPUTE_PGM_RSRC2:USER_SGPR: 6
; COMPUTE_PGM_RSRC2:TRAP_HANDLER: 0
; COMPUTE_PGM_RSRC2:TGID_X_EN: 1
; COMPUTE_PGM_RSRC2:TGID_Y_EN: 0
; COMPUTE_PGM_RSRC2:TGID_Z_EN: 0
; COMPUTE_PGM_RSRC2:TIDIG_COMP_CNT: 0
	.section	.text._ZN2at6native12_GLOBAL__N_125multi_tensor_apply_kernelINS1_28TensorListScalarListMetadataIN3c107complexIfEELi2EEENS1_25BinaryOpScalarListFunctorIS6_Li2ELi1ELi1EEEJNS1_13power_functorIS6_EEEEEvT_T0_DpT1_,"axG",@progbits,_ZN2at6native12_GLOBAL__N_125multi_tensor_apply_kernelINS1_28TensorListScalarListMetadataIN3c107complexIfEELi2EEENS1_25BinaryOpScalarListFunctorIS6_Li2ELi1ELi1EEEJNS1_13power_functorIS6_EEEEEvT_T0_DpT1_,comdat
	.globl	_ZN2at6native12_GLOBAL__N_125multi_tensor_apply_kernelINS1_28TensorListScalarListMetadataIN3c107complexIfEELi2EEENS1_25BinaryOpScalarListFunctorIS6_Li2ELi1ELi1EEEJNS1_13power_functorIS6_EEEEEvT_T0_DpT1_ ; -- Begin function _ZN2at6native12_GLOBAL__N_125multi_tensor_apply_kernelINS1_28TensorListScalarListMetadataIN3c107complexIfEELi2EEENS1_25BinaryOpScalarListFunctorIS6_Li2ELi1ELi1EEEJNS1_13power_functorIS6_EEEEEvT_T0_DpT1_
	.p2align	8
	.type	_ZN2at6native12_GLOBAL__N_125multi_tensor_apply_kernelINS1_28TensorListScalarListMetadataIN3c107complexIfEELi2EEENS1_25BinaryOpScalarListFunctorIS6_Li2ELi1ELi1EEEJNS1_13power_functorIS6_EEEEEvT_T0_DpT1_,@function
_ZN2at6native12_GLOBAL__N_125multi_tensor_apply_kernelINS1_28TensorListScalarListMetadataIN3c107complexIfEELi2EEENS1_25BinaryOpScalarListFunctorIS6_Li2ELi1ELi1EEEJNS1_13power_functorIS6_EEEEEvT_T0_DpT1_: ; @_ZN2at6native12_GLOBAL__N_125multi_tensor_apply_kernelINS1_28TensorListScalarListMetadataIN3c107complexIfEELi2EEENS1_25BinaryOpScalarListFunctorIS6_Li2ELi1ELi1EEEJNS1_13power_functorIS6_EEEEEvT_T0_DpT1_
; %bb.0:
	s_add_u32 s6, s6, s9
	s_movk_i32 s32, 0x200
	s_addc_u32 s7, s7, 0
	s_setreg_b32 hwreg(HW_REG_FLAT_SCR_LO), s6
	s_setreg_b32 hwreg(HW_REG_FLAT_SCR_HI), s7
	s_add_u32 s0, s0, s9
	s_mov_b64 s[20:21], s[4:5]
	v_mov_b32_e32 v23, v0
	v_mov_b32_e32 v0, 0x800
	s_addc_u32 s1, s1, 0
	s_add_u32 s4, s20, s8
	s_addc_u32 s5, s21, 0
	s_mov_b32 s9, 0
	global_load_ubyte v0, v0, s[4:5]
	s_lshl_b64 s[4:5], s[8:9], 2
	s_mov_b32 s17, s9
	s_add_u32 s4, s20, s4
	s_addc_u32 s5, s21, s5
	s_load_dword s4, s[4:5], 0x940
	s_waitcnt vmcnt(0)
	v_lshlrev_b32_e32 v0, 3, v0
	v_readfirstlane_b32 s5, v0
	s_clause 0x3
	s_load_dwordx2 s[6:7], s[20:21], s5 offset:0x0
	s_load_dwordx2 s[26:27], s[20:21], s5 offset:0x600
	s_load_dwordx2 s[10:11], s[20:21], s5 offset:0x200
	s_load_dwordx2 s[12:13], s[20:21], s5 offset:0x400
	s_waitcnt lgkmcnt(0)
	s_ashr_i32 s5, s4, 31
	s_lshl_b64 s[14:15], s[4:5], 19
	s_add_u32 s33, s6, s14
	s_addc_u32 s44, s7, s15
	s_and_b32 s8, s33, 31
	s_add_u32 s45, s10, s14
	s_addc_u32 s46, s11, s15
	s_lshl_b64 s[4:5], s[4:5], 16
	s_and_b32 s16, s45, 31
	s_sub_u32 s28, s12, s4
	s_subb_u32 s29, s13, s5
	s_and_b32 s4, s12, 3
	s_mov_b32 s5, s9
	s_or_b64 s[4:5], s[16:17], s[4:5]
	s_or_b64 s[4:5], s[4:5], s[8:9]
	s_cmp_eq_u64 s[4:5], 0
	s_mov_b32 s4, -1
	s_cbranch_scc1 .LBB93_19
; %bb.1:
	v_cmp_lt_i64_e64 s4, s[28:29], 1
	s_and_b32 vcc_lo, exec_lo, s4
	s_cbranch_vccnz .LBB93_18
; %bb.2:
	s_load_dword s4, s[20:21], 0xe54
	v_cmp_gt_i64_e64 s5, 0x10000, s[28:29]
	v_cmp_gt_u64_e64 s6, 0x10000, s[28:29]
	s_mov_b64 s[34:35], src_private_base
	v_mov_b32_e32 v38, 0
	s_mov_b64 s[40:41], 0
	s_and_b32 s5, s5, exec_lo
	s_cselect_b32 s37, s29, 0
	s_cselect_b32 s36, s28, 0x10000
	s_waitcnt lgkmcnt(0)
	s_and_b32 s34, s4, 0xffff
	s_and_b32 s4, s6, exec_lo
	s_cselect_b32 s39, s29, 0
	s_cselect_b32 s38, s28, 0x10000
	s_lshl_b32 s47, s34, 1
	s_mul_i32 s48, s34, 3
	s_lshl_b32 s49, s34, 2
	s_branch .LBB93_4
.LBB93_3:                               ;   in Loop: Header=BB93_4 Depth=1
	s_or_b32 exec_lo, exec_lo, s4
	s_add_u32 s40, s40, s49
	s_addc_u32 s41, s41, 0
	v_cmp_lt_i64_e64 s4, s[40:41], s[36:37]
	s_and_b32 vcc_lo, exec_lo, s4
	s_cbranch_vccz .LBB93_18
.LBB93_4:                               ; =>This Inner Loop Header: Depth=1
	v_add_co_u32 v34, s4, s40, v23
	v_add_co_ci_u32_e64 v35, null, s41, 0, s4
	v_mov_b32_e32 v29, 0
	v_mov_b32_e32 v28, 0
	v_cmp_gt_u64_e64 s25, s[38:39], v[34:35]
	s_and_saveexec_b32 s4, s25
	s_cbranch_execz .LBB93_6
; %bb.5:                                ;   in Loop: Header=BB93_4 Depth=1
	v_lshlrev_b64 v[0:1], 3, v[34:35]
	v_add_co_u32 v0, vcc_lo, s33, v0
	v_add_co_ci_u32_e64 v1, null, s44, v1, vcc_lo
	global_load_dwordx2 v[28:29], v[0:1], off
.LBB93_6:                               ;   in Loop: Header=BB93_4 Depth=1
	s_or_b32 exec_lo, exec_lo, s4
	v_add_co_u32 v32, vcc_lo, v34, s34
	v_add_co_ci_u32_e64 v33, null, 0, v35, vcc_lo
	v_mov_b32_e32 v27, 0
	v_mov_b32_e32 v26, 0
	v_cmp_gt_u64_e64 s24, s[38:39], v[32:33]
	s_and_saveexec_b32 s4, s24
	s_cbranch_execz .LBB93_8
; %bb.7:                                ;   in Loop: Header=BB93_4 Depth=1
	v_lshlrev_b64 v[0:1], 3, v[32:33]
	v_add_co_u32 v0, vcc_lo, s33, v0
	v_add_co_ci_u32_e64 v1, null, s44, v1, vcc_lo
	global_load_dwordx2 v[26:27], v[0:1], off
.LBB93_8:                               ;   in Loop: Header=BB93_4 Depth=1
	s_or_b32 exec_lo, exec_lo, s4
	v_add_co_u32 v30, vcc_lo, v34, s47
	v_add_co_ci_u32_e64 v31, null, 0, v35, vcc_lo
	v_mov_b32_e32 v24, 0
	v_mov_b32_e32 v25, 0
	v_cmp_gt_u64_e64 s23, s[38:39], v[30:31]
	s_and_saveexec_b32 s4, s23
	s_cbranch_execz .LBB93_10
; %bb.9:                                ;   in Loop: Header=BB93_4 Depth=1
	v_lshlrev_b64 v[0:1], 3, v[30:31]
	v_add_co_u32 v0, vcc_lo, s33, v0
	v_add_co_ci_u32_e64 v1, null, s44, v1, vcc_lo
	global_load_dwordx2 v[24:25], v[0:1], off
.LBB93_10:                              ;   in Loop: Header=BB93_4 Depth=1
	s_or_b32 exec_lo, exec_lo, s4
	v_add_co_u32 v0, vcc_lo, v34, s48
	v_add_co_ci_u32_e64 v1, null, 0, v35, vcc_lo
	buffer_store_dword v38, off, s[0:3], 0
	buffer_store_dword v38, off, s[0:3], 0 offset:4
	s_getpc_b64 s[42:43]
	s_add_u32 s42, s42, _ZNK2at6native12_GLOBAL__N_113power_functorIN3c107complexIfEEEclERKS5_S8_@rel32@lo+4
	s_addc_u32 s43, s43, _ZNK2at6native12_GLOBAL__N_113power_functorIN3c107complexIfEEEclERKS5_S8_@rel32@hi+12
	v_lshlrev_b64 v[36:37], 3, v[0:1]
	v_cmp_gt_u64_e64 s22, s[38:39], v[0:1]
	v_add_co_u32 v2, vcc_lo, s33, v36
	v_add_co_ci_u32_e64 v3, null, s44, v37, vcc_lo
	v_cndmask_b32_e64 v0, 0, v2, s22
	v_mov_b32_e32 v2, s26
	v_cndmask_b32_e64 v1, s35, v3, s22
	v_mov_b32_e32 v3, s27
	flat_load_dwordx2 v[0:1], v[0:1]
	s_swappc_b64 s[30:31], s[42:43]
	buffer_store_dword v0, off, s[0:3], 0
	buffer_store_dword v1, off, s[0:3], 0 offset:4
	s_and_saveexec_b32 s50, s25
	s_cbranch_execnz .LBB93_14
; %bb.11:                               ;   in Loop: Header=BB93_4 Depth=1
	s_or_b32 exec_lo, exec_lo, s50
	s_and_saveexec_b32 s25, s24
	s_cbranch_execnz .LBB93_15
.LBB93_12:                              ;   in Loop: Header=BB93_4 Depth=1
	s_or_b32 exec_lo, exec_lo, s25
	s_and_saveexec_b32 s24, s23
	s_cbranch_execnz .LBB93_16
.LBB93_13:                              ;   in Loop: Header=BB93_4 Depth=1
	s_or_b32 exec_lo, exec_lo, s24
	s_and_saveexec_b32 s4, s22
	s_cbranch_execz .LBB93_3
	s_branch .LBB93_17
.LBB93_14:                              ;   in Loop: Header=BB93_4 Depth=1
	v_mov_b32_e32 v0, v28
	v_mov_b32_e32 v1, v29
	;; [unrolled: 1-line block ×4, first 2 shown]
	s_swappc_b64 s[30:31], s[42:43]
	v_lshlrev_b64 v[2:3], 3, v[34:35]
	v_add_co_u32 v2, vcc_lo, s45, v2
	v_add_co_ci_u32_e64 v3, null, s46, v3, vcc_lo
	global_store_dwordx2 v[2:3], v[0:1], off
	s_or_b32 exec_lo, exec_lo, s50
	s_and_saveexec_b32 s25, s24
	s_cbranch_execz .LBB93_12
.LBB93_15:                              ;   in Loop: Header=BB93_4 Depth=1
	v_mov_b32_e32 v0, v26
	v_mov_b32_e32 v1, v27
	;; [unrolled: 1-line block ×4, first 2 shown]
	s_getpc_b64 s[4:5]
	s_add_u32 s4, s4, _ZNK2at6native12_GLOBAL__N_113power_functorIN3c107complexIfEEEclERKS5_S8_@rel32@lo+4
	s_addc_u32 s5, s5, _ZNK2at6native12_GLOBAL__N_113power_functorIN3c107complexIfEEEclERKS5_S8_@rel32@hi+12
	s_swappc_b64 s[30:31], s[4:5]
	v_lshlrev_b64 v[2:3], 3, v[32:33]
	v_add_co_u32 v2, vcc_lo, s45, v2
	v_add_co_ci_u32_e64 v3, null, s46, v3, vcc_lo
	global_store_dwordx2 v[2:3], v[0:1], off
	s_or_b32 exec_lo, exec_lo, s25
	s_and_saveexec_b32 s24, s23
	s_cbranch_execz .LBB93_13
.LBB93_16:                              ;   in Loop: Header=BB93_4 Depth=1
	v_mov_b32_e32 v0, v24
	v_mov_b32_e32 v1, v25
	;; [unrolled: 1-line block ×4, first 2 shown]
	s_getpc_b64 s[4:5]
	s_add_u32 s4, s4, _ZNK2at6native12_GLOBAL__N_113power_functorIN3c107complexIfEEEclERKS5_S8_@rel32@lo+4
	s_addc_u32 s5, s5, _ZNK2at6native12_GLOBAL__N_113power_functorIN3c107complexIfEEEclERKS5_S8_@rel32@hi+12
	s_swappc_b64 s[30:31], s[4:5]
	v_lshlrev_b64 v[2:3], 3, v[30:31]
	v_add_co_u32 v2, vcc_lo, s45, v2
	v_add_co_ci_u32_e64 v3, null, s46, v3, vcc_lo
	global_store_dwordx2 v[2:3], v[0:1], off
	s_or_b32 exec_lo, exec_lo, s24
	s_and_saveexec_b32 s4, s22
	s_cbranch_execz .LBB93_3
.LBB93_17:                              ;   in Loop: Header=BB93_4 Depth=1
	s_clause 0x1
	buffer_load_dword v0, off, s[0:3], 0
	buffer_load_dword v1, off, s[0:3], 0 offset:4
	v_add_co_u32 v2, vcc_lo, s45, v36
	v_add_co_ci_u32_e64 v3, null, s46, v37, vcc_lo
	s_waitcnt vmcnt(0)
	global_store_dwordx2 v[2:3], v[0:1], off
	s_branch .LBB93_3
.LBB93_18:
	s_mov_b32 s4, 0
.LBB93_19:
	s_andn2_b32 vcc_lo, exec_lo, s4
	s_cbranch_vccnz .LBB93_23
; %bb.20:
	v_cmp_gt_i64_e64 s4, 0x10000, s[28:29]
	v_mov_b32_e32 v1, 0
	v_lshlrev_b32_e32 v0, 2, v23
	s_mov_b32 s24, 0
	s_and_b32 s4, s4, exec_lo
	s_cselect_b32 s23, s29, 0
	s_cselect_b32 s22, s28, 0x10000
	s_mov_b32 s4, exec_lo
	v_cmpx_gt_i64_e64 s[22:23], v[0:1]
	s_cbranch_execz .LBB93_23
; %bb.21:
	s_load_dword s4, s[20:21], 0xe54
	v_mov_b32_e32 v24, v1
	v_lshlrev_b32_e32 v33, 5, v23
	s_waitcnt lgkmcnt(0)
	s_and_b32 s20, s4, 0xffff
	s_lshl_b32 s21, s20, 5
.LBB93_22:                              ; =>This Inner Loop Header: Depth=1
	v_add_co_u32 v0, s4, s33, v33
	v_add_co_ci_u32_e64 v1, null, s44, 0, s4
	v_mov_b32_e32 v2, s26
	v_mov_b32_e32 v3, s27
	s_getpc_b64 s[28:29]
	s_add_u32 s28, s28, _ZNK2at6native12_GLOBAL__N_113power_functorIN3c107complexIfEEEclERKS5_S8_@rel32@lo+4
	s_addc_u32 s29, s29, _ZNK2at6native12_GLOBAL__N_113power_functorIN3c107complexIfEEEclERKS5_S8_@rel32@hi+12
	s_clause 0x1
	global_load_dwordx4 v[25:28], v[0:1], off
	global_load_dwordx4 v[29:32], v[0:1], off offset:16
	s_waitcnt vmcnt(1)
	v_mov_b32_e32 v0, v25
	v_mov_b32_e32 v1, v26
	s_swappc_b64 s[30:31], s[28:29]
	v_mov_b32_e32 v25, v0
	v_mov_b32_e32 v26, v1
	v_mov_b32_e32 v0, v27
	v_mov_b32_e32 v1, v28
	v_mov_b32_e32 v2, s26
	v_mov_b32_e32 v3, s27
	s_swappc_b64 s[30:31], s[28:29]
	v_mov_b32_e32 v27, v0
	v_mov_b32_e32 v28, v1
	v_mov_b32_e32 v0, v29
	v_mov_b32_e32 v1, v30
	;; [unrolled: 7-line block ×3, first 2 shown]
	v_mov_b32_e32 v2, s26
	v_mov_b32_e32 v3, s27
	s_swappc_b64 s[30:31], s[28:29]
	v_add_co_u32 v23, vcc_lo, v23, s20
	v_add_co_ci_u32_e64 v24, null, 0, v24, vcc_lo
	v_mov_b32_e32 v31, v0
	v_mov_b32_e32 v32, v1
	v_add_co_u32 v2, s4, s45, v33
	v_lshlrev_b64 v[0:1], 2, v[23:24]
	s_add_u32 s45, s45, s21
	v_add_co_ci_u32_e64 v3, null, s46, 0, s4
	s_addc_u32 s46, s46, 0
	s_add_u32 s33, s33, s21
	v_cmp_le_i64_e32 vcc_lo, s[22:23], v[0:1]
	s_addc_u32 s44, s44, 0
	buffer_store_dword v31, off, s[0:3], 0
	buffer_store_dword v32, off, s[0:3], 0 offset:4
	global_store_dwordx4 v[2:3], v[25:28], off
	global_store_dwordx4 v[2:3], v[29:32], off offset:16
	s_or_b32 s24, vcc_lo, s24
	s_andn2_b32 exec_lo, exec_lo, s24
	s_cbranch_execnz .LBB93_22
.LBB93_23:
	s_endpgm
	.section	.rodata,"a",@progbits
	.p2align	6, 0x0
	.amdhsa_kernel _ZN2at6native12_GLOBAL__N_125multi_tensor_apply_kernelINS1_28TensorListScalarListMetadataIN3c107complexIfEELi2EEENS1_25BinaryOpScalarListFunctorIS6_Li2ELi1ELi1EEEJNS1_13power_functorIS6_EEEEEvT_T0_DpT1_
		.amdhsa_group_segment_fixed_size 0
		.amdhsa_private_segment_fixed_size 16
		.amdhsa_kernarg_size 3912
		.amdhsa_user_sgpr_count 8
		.amdhsa_user_sgpr_private_segment_buffer 1
		.amdhsa_user_sgpr_dispatch_ptr 0
		.amdhsa_user_sgpr_queue_ptr 0
		.amdhsa_user_sgpr_kernarg_segment_ptr 1
		.amdhsa_user_sgpr_dispatch_id 0
		.amdhsa_user_sgpr_flat_scratch_init 1
		.amdhsa_user_sgpr_private_segment_size 0
		.amdhsa_wavefront_size32 1
		.amdhsa_uses_dynamic_stack 0
		.amdhsa_system_sgpr_private_segment_wavefront_offset 1
		.amdhsa_system_sgpr_workgroup_id_x 1
		.amdhsa_system_sgpr_workgroup_id_y 0
		.amdhsa_system_sgpr_workgroup_id_z 0
		.amdhsa_system_sgpr_workgroup_info 0
		.amdhsa_system_vgpr_workitem_id 0
		.amdhsa_next_free_vgpr 39
		.amdhsa_next_free_sgpr 51
		.amdhsa_reserve_vcc 1
		.amdhsa_reserve_flat_scratch 1
		.amdhsa_float_round_mode_32 0
		.amdhsa_float_round_mode_16_64 0
		.amdhsa_float_denorm_mode_32 3
		.amdhsa_float_denorm_mode_16_64 3
		.amdhsa_dx10_clamp 1
		.amdhsa_ieee_mode 1
		.amdhsa_fp16_overflow 0
		.amdhsa_workgroup_processor_mode 1
		.amdhsa_memory_ordered 1
		.amdhsa_forward_progress 1
		.amdhsa_shared_vgpr_count 0
		.amdhsa_exception_fp_ieee_invalid_op 0
		.amdhsa_exception_fp_denorm_src 0
		.amdhsa_exception_fp_ieee_div_zero 0
		.amdhsa_exception_fp_ieee_overflow 0
		.amdhsa_exception_fp_ieee_underflow 0
		.amdhsa_exception_fp_ieee_inexact 0
		.amdhsa_exception_int_div_zero 0
	.end_amdhsa_kernel
	.section	.text._ZN2at6native12_GLOBAL__N_125multi_tensor_apply_kernelINS1_28TensorListScalarListMetadataIN3c107complexIfEELi2EEENS1_25BinaryOpScalarListFunctorIS6_Li2ELi1ELi1EEEJNS1_13power_functorIS6_EEEEEvT_T0_DpT1_,"axG",@progbits,_ZN2at6native12_GLOBAL__N_125multi_tensor_apply_kernelINS1_28TensorListScalarListMetadataIN3c107complexIfEELi2EEENS1_25BinaryOpScalarListFunctorIS6_Li2ELi1ELi1EEEJNS1_13power_functorIS6_EEEEEvT_T0_DpT1_,comdat
.Lfunc_end93:
	.size	_ZN2at6native12_GLOBAL__N_125multi_tensor_apply_kernelINS1_28TensorListScalarListMetadataIN3c107complexIfEELi2EEENS1_25BinaryOpScalarListFunctorIS6_Li2ELi1ELi1EEEJNS1_13power_functorIS6_EEEEEvT_T0_DpT1_, .Lfunc_end93-_ZN2at6native12_GLOBAL__N_125multi_tensor_apply_kernelINS1_28TensorListScalarListMetadataIN3c107complexIfEELi2EEENS1_25BinaryOpScalarListFunctorIS6_Li2ELi1ELi1EEEJNS1_13power_functorIS6_EEEEEvT_T0_DpT1_
                                        ; -- End function
	.set _ZN2at6native12_GLOBAL__N_125multi_tensor_apply_kernelINS1_28TensorListScalarListMetadataIN3c107complexIfEELi2EEENS1_25BinaryOpScalarListFunctorIS6_Li2ELi1ELi1EEEJNS1_13power_functorIS6_EEEEEvT_T0_DpT1_.num_vgpr, max(39, .L_ZNK2at6native12_GLOBAL__N_113power_functorIN3c107complexIfEEEclERKS5_S8_.num_vgpr)
	.set _ZN2at6native12_GLOBAL__N_125multi_tensor_apply_kernelINS1_28TensorListScalarListMetadataIN3c107complexIfEELi2EEENS1_25BinaryOpScalarListFunctorIS6_Li2ELi1ELi1EEEJNS1_13power_functorIS6_EEEEEvT_T0_DpT1_.num_agpr, max(0, .L_ZNK2at6native12_GLOBAL__N_113power_functorIN3c107complexIfEEEclERKS5_S8_.num_agpr)
	.set _ZN2at6native12_GLOBAL__N_125multi_tensor_apply_kernelINS1_28TensorListScalarListMetadataIN3c107complexIfEELi2EEENS1_25BinaryOpScalarListFunctorIS6_Li2ELi1ELi1EEEJNS1_13power_functorIS6_EEEEEvT_T0_DpT1_.numbered_sgpr, max(51, .L_ZNK2at6native12_GLOBAL__N_113power_functorIN3c107complexIfEEEclERKS5_S8_.numbered_sgpr)
	.set _ZN2at6native12_GLOBAL__N_125multi_tensor_apply_kernelINS1_28TensorListScalarListMetadataIN3c107complexIfEELi2EEENS1_25BinaryOpScalarListFunctorIS6_Li2ELi1ELi1EEEJNS1_13power_functorIS6_EEEEEvT_T0_DpT1_.num_named_barrier, max(0, .L_ZNK2at6native12_GLOBAL__N_113power_functorIN3c107complexIfEEEclERKS5_S8_.num_named_barrier)
	.set _ZN2at6native12_GLOBAL__N_125multi_tensor_apply_kernelINS1_28TensorListScalarListMetadataIN3c107complexIfEELi2EEENS1_25BinaryOpScalarListFunctorIS6_Li2ELi1ELi1EEEJNS1_13power_functorIS6_EEEEEvT_T0_DpT1_.private_seg_size, 16+max(.L_ZNK2at6native12_GLOBAL__N_113power_functorIN3c107complexIfEEEclERKS5_S8_.private_seg_size)
	.set _ZN2at6native12_GLOBAL__N_125multi_tensor_apply_kernelINS1_28TensorListScalarListMetadataIN3c107complexIfEELi2EEENS1_25BinaryOpScalarListFunctorIS6_Li2ELi1ELi1EEEJNS1_13power_functorIS6_EEEEEvT_T0_DpT1_.uses_vcc, or(1, .L_ZNK2at6native12_GLOBAL__N_113power_functorIN3c107complexIfEEEclERKS5_S8_.uses_vcc)
	.set _ZN2at6native12_GLOBAL__N_125multi_tensor_apply_kernelINS1_28TensorListScalarListMetadataIN3c107complexIfEELi2EEENS1_25BinaryOpScalarListFunctorIS6_Li2ELi1ELi1EEEJNS1_13power_functorIS6_EEEEEvT_T0_DpT1_.uses_flat_scratch, or(1, .L_ZNK2at6native12_GLOBAL__N_113power_functorIN3c107complexIfEEEclERKS5_S8_.uses_flat_scratch)
	.set _ZN2at6native12_GLOBAL__N_125multi_tensor_apply_kernelINS1_28TensorListScalarListMetadataIN3c107complexIfEELi2EEENS1_25BinaryOpScalarListFunctorIS6_Li2ELi1ELi1EEEJNS1_13power_functorIS6_EEEEEvT_T0_DpT1_.has_dyn_sized_stack, or(0, .L_ZNK2at6native12_GLOBAL__N_113power_functorIN3c107complexIfEEEclERKS5_S8_.has_dyn_sized_stack)
	.set _ZN2at6native12_GLOBAL__N_125multi_tensor_apply_kernelINS1_28TensorListScalarListMetadataIN3c107complexIfEELi2EEENS1_25BinaryOpScalarListFunctorIS6_Li2ELi1ELi1EEEJNS1_13power_functorIS6_EEEEEvT_T0_DpT1_.has_recursion, or(0, .L_ZNK2at6native12_GLOBAL__N_113power_functorIN3c107complexIfEEEclERKS5_S8_.has_recursion)
	.set _ZN2at6native12_GLOBAL__N_125multi_tensor_apply_kernelINS1_28TensorListScalarListMetadataIN3c107complexIfEELi2EEENS1_25BinaryOpScalarListFunctorIS6_Li2ELi1ELi1EEEJNS1_13power_functorIS6_EEEEEvT_T0_DpT1_.has_indirect_call, or(0, .L_ZNK2at6native12_GLOBAL__N_113power_functorIN3c107complexIfEEEclERKS5_S8_.has_indirect_call)
	.section	.AMDGPU.csdata,"",@progbits
; Kernel info:
; codeLenInByte = 1436
; TotalNumSgprs: 53
; NumVgprs: 39
; ScratchSize: 16
; MemoryBound: 0
; FloatMode: 240
; IeeeMode: 1
; LDSByteSize: 0 bytes/workgroup (compile time only)
; SGPRBlocks: 0
; VGPRBlocks: 4
; NumSGPRsForWavesPerEU: 53
; NumVGPRsForWavesPerEU: 39
; Occupancy: 16
; WaveLimiterHint : 0
; COMPUTE_PGM_RSRC2:SCRATCH_EN: 1
; COMPUTE_PGM_RSRC2:USER_SGPR: 8
; COMPUTE_PGM_RSRC2:TRAP_HANDLER: 0
; COMPUTE_PGM_RSRC2:TGID_X_EN: 1
; COMPUTE_PGM_RSRC2:TGID_Y_EN: 0
; COMPUTE_PGM_RSRC2:TGID_Z_EN: 0
; COMPUTE_PGM_RSRC2:TIDIG_COMP_CNT: 0
	.section	.text._ZN2at6native12_GLOBAL__N_125multi_tensor_apply_kernelINS1_28TensorListScalarListMetadataIfLi2EEENS1_25BinaryOpScalarListFunctorIN3c104HalfELi2ELi1ELi1EEEJNS1_13power_functorIfEEEEEvT_T0_DpT1_,"axG",@progbits,_ZN2at6native12_GLOBAL__N_125multi_tensor_apply_kernelINS1_28TensorListScalarListMetadataIfLi2EEENS1_25BinaryOpScalarListFunctorIN3c104HalfELi2ELi1ELi1EEEJNS1_13power_functorIfEEEEEvT_T0_DpT1_,comdat
	.globl	_ZN2at6native12_GLOBAL__N_125multi_tensor_apply_kernelINS1_28TensorListScalarListMetadataIfLi2EEENS1_25BinaryOpScalarListFunctorIN3c104HalfELi2ELi1ELi1EEEJNS1_13power_functorIfEEEEEvT_T0_DpT1_ ; -- Begin function _ZN2at6native12_GLOBAL__N_125multi_tensor_apply_kernelINS1_28TensorListScalarListMetadataIfLi2EEENS1_25BinaryOpScalarListFunctorIN3c104HalfELi2ELi1ELi1EEEJNS1_13power_functorIfEEEEEvT_T0_DpT1_
	.p2align	8
	.type	_ZN2at6native12_GLOBAL__N_125multi_tensor_apply_kernelINS1_28TensorListScalarListMetadataIfLi2EEENS1_25BinaryOpScalarListFunctorIN3c104HalfELi2ELi1ELi1EEEJNS1_13power_functorIfEEEEEvT_T0_DpT1_,@function
_ZN2at6native12_GLOBAL__N_125multi_tensor_apply_kernelINS1_28TensorListScalarListMetadataIfLi2EEENS1_25BinaryOpScalarListFunctorIN3c104HalfELi2ELi1ELi1EEEJNS1_13power_functorIfEEEEEvT_T0_DpT1_: ; @_ZN2at6native12_GLOBAL__N_125multi_tensor_apply_kernelINS1_28TensorListScalarListMetadataIfLi2EEENS1_25BinaryOpScalarListFunctorIN3c104HalfELi2ELi1ELi1EEEJNS1_13power_functorIfEEEEEvT_T0_DpT1_
; %bb.0:
	v_mov_b32_e32 v1, s6
	s_add_u32 s0, s4, s6
	s_mul_hi_u32 s1, s6, 3
	s_mul_i32 s6, s6, 3
	s_addc_u32 s2, s5, 0
	global_load_ubyte v1, v1, s[4:5] offset:1792
	s_add_u32 s0, s0, s6
	s_addc_u32 s1, s2, s1
	s_mov_b32 s15, 0
	s_load_dword s6, s[0:1], 0x840
	s_mov_b32 s17, s15
	s_waitcnt lgkmcnt(0)
	s_ashr_i32 s7, s6, 31
	s_waitcnt vmcnt(0)
	v_readfirstlane_b32 s0, v1
	v_lshlrev_b32_e32 v1, 2, v1
	s_lshl_b32 s8, s0, 3
	v_sub_co_u32 v1, s0, 0, v1
	v_sub_co_ci_u32_e64 v2, null, 0, 0, s0
	s_clause 0x2
	s_load_dwordx2 s[2:3], s[4:5], s8 offset:0x0
	s_load_dwordx2 s[12:13], s[4:5], s8 offset:0x400
	;; [unrolled: 1-line block ×3, first 2 shown]
	s_add_u32 s8, s4, s8
	s_addc_u32 s9, s5, 0
	v_add_co_u32 v1, vcc_lo, s8, v1
	v_add_co_ci_u32_e64 v2, null, s9, v2, vcc_lo
	s_lshl_b64 s[10:11], s[6:7], 17
	v_readfirstlane_b32 s8, v1
	v_readfirstlane_b32 s9, v2
	s_load_dword s18, s[8:9], 0x600
	s_waitcnt lgkmcnt(0)
	s_add_u32 s19, s2, s10
	s_addc_u32 s20, s3, s11
	s_and_b32 s14, s19, 7
	s_add_u32 s21, s0, s10
	s_addc_u32 s22, s1, s11
	s_lshl_b64 s[6:7], s[6:7], 16
	s_and_b32 s16, s21, 7
	s_sub_u32 s8, s12, s6
	s_subb_u32 s9, s13, s7
	s_and_b32 s6, s12, 3
	s_mov_b32 s7, s15
	s_or_b64 s[6:7], s[16:17], s[6:7]
	s_or_b64 s[6:7], s[6:7], s[14:15]
	s_cmp_eq_u64 s[6:7], 0
	s_mov_b32 s6, -1
	s_cbranch_scc1 .LBB94_21
; %bb.1:
	v_cmp_lt_i64_e64 s6, s[8:9], 1
	s_and_b32 vcc_lo, exec_lo, s6
	s_cbranch_vccnz .LBB94_20
; %bb.2:
	s_load_dword s6, s[4:5], 0xd54
	v_lshlrev_b32_e32 v9, 1, v0
	v_cmp_gt_i64_e64 s7, 0x10000, s[8:9]
	v_cmp_gt_u64_e64 s14, 0x10000, s[8:9]
	v_mov_b32_e32 v10, 0
	s_mov_b32 s24, 0x3e76c4e1
	v_add_co_u32 v1, s12, s2, v9
	v_add_co_ci_u32_e64 v2, null, s3, 0, s12
	v_add_co_u32 v3, s12, s0, v9
	s_and_b32 s7, s7, exec_lo
	v_add_co_ci_u32_e64 v4, null, s1, 0, s12
	s_cselect_b32 s13, s9, 0
	s_cselect_b32 s12, s8, 0x10000
	s_waitcnt lgkmcnt(0)
	s_and_b32 s6, s6, 0xffff
	s_and_b32 s7, s14, exec_lo
	v_mad_u64_u32 v[7:8], null, s6, 6, v[9:10]
	s_cselect_b32 s15, s9, 0
	s_cselect_b32 s14, s8, 0x10000
	s_mul_i32 s17, s6, 3
	s_lshl_b32 s7, s6, 2
	s_lshl_b32 s16, s6, 1
	v_add_co_u32 v14, s23, s7, v9
	v_add_co_u32 v9, s17, s17, v0
	v_add_co_ci_u32_e64 v10, null, 0, 0, s17
	v_add_co_u32 v13, s17, v0, s6
	v_add_co_u32 v5, vcc_lo, s2, v7
	v_add_co_ci_u32_e64 v15, null, 0, 0, s23
	v_lshlrev_b32_e32 v21, 1, v13
	v_add_co_ci_u32_e64 v6, null, s3, v8, vcc_lo
	v_add_co_u32 v7, vcc_lo, s0, v7
	v_add_co_ci_u32_e64 v8, null, s1, v8, vcc_lo
	v_add_co_u32 v11, vcc_lo, s2, v14
	;; [unrolled: 2-line block ×3, first 2 shown]
	v_add_co_u32 v17, s16, s16, v0
	v_add_co_u32 v19, s2, s2, v21
	;; [unrolled: 1-line block ×3, first 2 shown]
	v_add_co_ci_u32_e64 v15, null, s1, v15, vcc_lo
	v_add_co_ci_u32_e64 v16, null, 0, 0, s17
	v_add_co_ci_u32_e64 v18, null, 0, 0, s16
	v_add_co_ci_u32_e64 v20, null, s3, 0, s2
	v_add_co_ci_u32_e64 v22, null, s1, 0, s0
	s_lshl_b32 s23, s6, 3
	s_mov_b64 s[16:17], 0
	s_branch .LBB94_4
.LBB94_3:                               ;   in Loop: Header=BB94_4 Depth=1
	s_or_b32 exec_lo, exec_lo, s3
	v_add_co_u32 v1, vcc_lo, v1, s23
	v_add_co_ci_u32_e64 v2, null, 0, v2, vcc_lo
	v_add_co_u32 v3, vcc_lo, v3, s23
	v_add_co_ci_u32_e64 v4, null, 0, v4, vcc_lo
	;; [unrolled: 2-line block ×4, first 2 shown]
	v_add_co_u32 v11, vcc_lo, v11, s23
	s_add_u32 s16, s16, s7
	v_add_co_ci_u32_e64 v12, null, 0, v12, vcc_lo
	v_add_co_u32 v14, vcc_lo, v14, s23
	s_addc_u32 s17, s17, 0
	v_add_co_ci_u32_e64 v15, null, 0, v15, vcc_lo
	v_add_co_u32 v19, vcc_lo, v19, s23
	v_cmp_lt_i64_e64 s0, s[16:17], s[12:13]
	v_add_co_ci_u32_e64 v20, null, 0, v20, vcc_lo
	v_add_co_u32 v21, vcc_lo, v21, s23
	v_add_co_ci_u32_e64 v22, null, 0, v22, vcc_lo
	s_and_b32 vcc_lo, exec_lo, s0
	s_cbranch_vccz .LBB94_20
.LBB94_4:                               ; =>This Inner Loop Header: Depth=1
	s_waitcnt vmcnt(0)
	v_add_co_u32 v23, s0, v0, s16
	v_add_co_ci_u32_e64 v24, null, 0, s17, s0
	v_mov_b32_e32 v26, 0
	v_cmp_gt_u64_e64 s2, s[14:15], v[23:24]
	s_and_saveexec_b32 s0, s2
	s_cbranch_execz .LBB94_6
; %bb.5:                                ;   in Loop: Header=BB94_4 Depth=1
	v_add_co_u32 v23, vcc_lo, v1, s10
	v_add_co_ci_u32_e64 v24, null, s11, v2, vcc_lo
	global_load_ushort v26, v[23:24], off
.LBB94_6:                               ;   in Loop: Header=BB94_4 Depth=1
	s_or_b32 exec_lo, exec_lo, s0
	v_add_co_u32 v23, vcc_lo, v13, s16
	v_add_co_ci_u32_e64 v24, null, s17, v16, vcc_lo
	v_mov_b32_e32 v25, 0
	v_cmp_gt_u64_e64 s1, s[14:15], v[23:24]
	v_mov_b32_e32 v24, 0
	s_and_saveexec_b32 s0, s1
	s_cbranch_execz .LBB94_8
; %bb.7:                                ;   in Loop: Header=BB94_4 Depth=1
	v_add_co_u32 v27, vcc_lo, v19, s10
	v_add_co_ci_u32_e64 v28, null, s11, v20, vcc_lo
	global_load_ushort v25, v[27:28], off
.LBB94_8:                               ;   in Loop: Header=BB94_4 Depth=1
	s_or_b32 exec_lo, exec_lo, s0
	v_add_co_u32 v27, vcc_lo, v17, s16
	v_add_co_ci_u32_e64 v28, null, s17, v18, vcc_lo
	v_cmp_gt_u64_e64 s0, s[14:15], v[27:28]
	s_and_saveexec_b32 s3, s0
	s_cbranch_execz .LBB94_10
; %bb.9:                                ;   in Loop: Header=BB94_4 Depth=1
	v_add_co_u32 v23, vcc_lo, v11, s10
	v_add_co_ci_u32_e64 v24, null, s11, v12, vcc_lo
	global_load_ushort v24, v[23:24], off
.LBB94_10:                              ;   in Loop: Header=BB94_4 Depth=1
	s_or_b32 exec_lo, exec_lo, s3
	v_add_co_u32 v27, vcc_lo, v9, s16
	v_add_co_ci_u32_e64 v28, null, s17, v10, vcc_lo
	v_mov_b32_e32 v23, 0
	v_cmp_gt_u64_e32 vcc_lo, s[14:15], v[27:28]
	s_and_saveexec_b32 s6, vcc_lo
	s_cbranch_execnz .LBB94_15
; %bb.11:                               ;   in Loop: Header=BB94_4 Depth=1
	s_or_b32 exec_lo, exec_lo, s6
	s_and_saveexec_b32 s25, s2
	s_cbranch_execnz .LBB94_16
.LBB94_12:                              ;   in Loop: Header=BB94_4 Depth=1
	s_or_b32 exec_lo, exec_lo, s25
	s_and_saveexec_b32 s25, s1
	s_cbranch_execnz .LBB94_17
.LBB94_13:                              ;   in Loop: Header=BB94_4 Depth=1
	s_or_b32 exec_lo, exec_lo, s25
	s_and_saveexec_b32 s6, s0
	s_cbranch_execnz .LBB94_18
.LBB94_14:                              ;   in Loop: Header=BB94_4 Depth=1
	s_or_b32 exec_lo, exec_lo, s6
	s_and_saveexec_b32 s3, vcc_lo
	s_cbranch_execz .LBB94_3
	s_branch .LBB94_19
.LBB94_15:                              ;   in Loop: Header=BB94_4 Depth=1
	v_add_co_u32 v27, s3, v5, s10
	v_add_co_ci_u32_e64 v28, null, s11, v6, s3
	global_load_ushort v23, v[27:28], off
	s_or_b32 exec_lo, exec_lo, s6
	s_and_saveexec_b32 s25, s2
	s_cbranch_execz .LBB94_12
.LBB94_16:                              ;   in Loop: Header=BB94_4 Depth=1
	s_waitcnt vmcnt(0)
	v_cmp_neq_f16_e64 s2, 1.0, v26
	v_cvt_f32_f16_e32 v26, v26
	v_cndmask_b32_e64 v28, 1.0, s18, s2
	v_cmp_neq_f32_e64 s2, 0, v28
	v_cmp_neq_f32_e64 s26, v28, |v28|
	v_cndmask_b32_e64 v29, 1.0, v26, s2
	v_cvt_f64_f32_e64 v[26:27], |v29|
	v_cmp_lt_f32_e64 s27, |v29|, 1.0
	v_cmp_eq_f32_e64 s6, 0, v29
	s_xor_b32 s26, s26, s27
	v_frexp_exp_i32_f64_e32 v26, v[26:27]
	v_frexp_mant_f32_e64 v27, |v29|
	v_cmp_gt_f32_e64 s2, 0x3f2aaaab, v27
	v_cndmask_b32_e64 v30, 1.0, 2.0, s2
	v_mul_f32_e32 v27, v27, v30
	v_add_f32_e32 v30, 1.0, v27
	v_add_f32_e32 v32, -1.0, v27
	v_subrev_co_ci_u32_e64 v26, null, 0, v26, s2
	v_rcp_f32_e32 v31, v30
	v_add_f32_e32 v34, -1.0, v30
	v_cvt_f32_i32_e32 v26, v26
	v_sub_f32_e32 v27, v27, v34
	v_mul_f32_e32 v33, v32, v31
	v_mul_f32_e32 v35, v30, v33
	v_fma_f32 v30, v33, v30, -v35
	v_fmac_f32_e32 v30, v33, v27
	v_add_f32_e32 v27, v35, v30
	v_sub_f32_e32 v34, v32, v27
	v_sub_f32_e32 v35, v27, v35
	;; [unrolled: 1-line block ×5, first 2 shown]
	v_add_f32_e32 v27, v30, v27
	v_add_f32_e32 v27, v34, v27
	v_mul_f32_e32 v27, v31, v27
	v_add_f32_e32 v30, v33, v27
	v_sub_f32_e32 v31, v30, v33
	v_mul_f32_e32 v32, v30, v30
	v_sub_f32_e32 v27, v27, v31
	v_fma_f32 v31, v30, v30, -v32
	v_add_f32_e32 v33, v27, v27
	v_fmac_f32_e32 v31, v30, v33
	v_add_f32_e32 v33, v32, v31
	v_fmaak_f32 v34, s24, v33, 0x3e91f4c4
	v_sub_f32_e32 v32, v33, v32
	v_mul_f32_e32 v37, v30, v33
	v_fmaak_f32 v34, v33, v34, 0x3ecccdef
	v_sub_f32_e32 v31, v31, v32
	v_fma_f32 v38, v33, v30, -v37
	v_mul_f32_e32 v35, v33, v34
	v_fmac_f32_e32 v38, v33, v27
	v_ldexp_f32 v27, v27, 1
	v_fma_f32 v32, v33, v34, -v35
	v_fmac_f32_e32 v38, v31, v30
	v_ldexp_f32 v30, v30, 1
	v_fmac_f32_e32 v32, v31, v34
	v_add_f32_e32 v33, v37, v38
	v_add_f32_e32 v34, v35, v32
	v_sub_f32_e32 v35, v34, v35
	v_add_f32_e32 v36, 0x3f2aaaaa, v34
	v_sub_f32_e32 v32, v32, v35
	v_add_f32_e32 v35, 0xbf2aaaaa, v36
	v_add_f32_e32 v32, 0x31739010, v32
	v_sub_f32_e32 v34, v34, v35
	v_add_f32_e32 v32, v32, v34
	v_add_f32_e32 v31, v36, v32
	v_sub_f32_e32 v34, v36, v31
	v_mul_f32_e32 v35, v33, v31
	v_sub_f32_e32 v36, v33, v37
	v_add_f32_e32 v32, v32, v34
	v_fma_f32 v34, v33, v31, -v35
	v_sub_f32_e32 v36, v38, v36
	v_fmac_f32_e32 v34, v33, v32
	v_fmac_f32_e32 v34, v36, v31
	v_add_f32_e32 v31, v35, v34
	v_sub_f32_e32 v32, v31, v35
	v_add_f32_e32 v33, v30, v31
	v_mul_f32_e32 v35, 0x3f317218, v26
	v_sub_f32_e32 v32, v34, v32
	v_sub_f32_e32 v30, v33, v30
	v_fma_f32 v34, 0x3f317218, v26, -v35
	v_add_f32_e32 v27, v27, v32
	v_sub_f32_e32 v30, v31, v30
	v_fmac_f32_e32 v34, 0xb102e308, v26
	v_add_f32_e32 v26, v27, v30
	v_add_f32_e32 v27, v35, v34
	;; [unrolled: 1-line block ×3, first 2 shown]
	v_sub_f32_e32 v35, v27, v35
	v_add_f32_e32 v31, v27, v30
	v_sub_f32_e32 v33, v30, v33
	v_sub_f32_e32 v34, v34, v35
	;; [unrolled: 1-line block ×6, first 2 shown]
	v_add_f32_e32 v32, v34, v26
	v_sub_f32_e32 v27, v27, v36
	v_add_f32_e32 v27, v30, v27
	v_sub_f32_e32 v30, v32, v34
	;; [unrolled: 2-line block ×3, first 2 shown]
	v_sub_f32_e32 v26, v26, v30
	v_add_f32_e32 v33, v31, v27
	v_sub_f32_e32 v30, v34, v32
	v_sub_f32_e32 v31, v33, v31
	v_add_f32_e32 v26, v26, v30
	v_sub_f32_e32 v27, v27, v31
	v_add_f32_e32 v26, v26, v27
	v_add_f32_e32 v27, v33, v26
	v_sub_f32_e32 v30, v27, v33
	v_mul_f32_e32 v31, v28, v27
	v_sub_f32_e32 v26, v26, v30
	v_fma_f32 v27, v28, v27, -v31
	v_cmp_class_f32_e64 s2, v31, 0x204
	v_fmac_f32_e32 v27, v28, v26
	v_add_f32_e32 v26, v31, v27
	v_cndmask_b32_e64 v30, v26, v31, s2
	v_sub_f32_e32 v26, v26, v31
	v_cmp_eq_f32_e64 s2, 0x42b17218, v30
	v_sub_f32_e32 v26, v27, v26
	v_trunc_f32_e32 v27, v28
	v_cndmask_b32_e64 v32, 0, 0x37000000, s2
	v_cmp_neq_f32_e64 s2, 0x7f800000, |v30|
	v_sub_f32_e32 v33, v30, v32
	v_cndmask_b32_e64 v26, 0, v26, s2
	v_mul_f32_e32 v34, 0x3fb8aa3b, v33
	v_cmp_ngt_f32_e64 s2, 0xc2ce8ed0, v33
	v_cmp_nlt_f32_e64 s3, 0x42b17218, v33
	v_add_f32_e32 v26, v32, v26
	v_fma_f32 v35, 0x3fb8aa3b, v33, -v34
	v_rndne_f32_e32 v36, v34
	v_fmac_f32_e32 v35, 0x32a5705f, v33
	v_sub_f32_e32 v34, v34, v36
	v_cvt_i32_f32_e32 v31, v36
	v_add_f32_e32 v34, v34, v35
	v_exp_f32_e32 v34, v34
	v_ldexp_f32 v31, v34, v31
	v_mul_f32_e32 v34, 0.5, v28
	v_cndmask_b32_e64 v30, 0, v31, s2
	v_trunc_f32_e32 v31, v34
	v_cmp_eq_f32_e64 s2, v27, v28
	v_cndmask_b32_e64 v27, 0x7f800000, v30, s3
	v_cmp_neq_f32_e64 s3, v31, v34
	v_fma_f32 v26, v27, v26, v27
	s_and_b32 s3, s2, s3
	v_cndmask_b32_e64 v30, 0, v29, s3
	v_cndmask_b32_e64 v31, 1.0, v29, s3
	v_cmp_class_f32_e64 s3, v27, 0x204
	v_cndmask_b32_e64 v26, v26, v27, s3
	v_cmp_gt_f32_e64 s3, 0, v28
	v_cndmask_b32_e64 v27, 0x7f800000, 0, s26
	v_bfi_b32 v26, 0x7fffffff, v26, v31
	v_cndmask_b32_e64 v31, 0x7fc00000, v26, s2
	s_xor_b32 s2, s3, s6
	v_cmp_class_f32_e64 s3, v29, 0x204
	v_cndmask_b32_e64 v32, 0x7f800000, 0, s2
	v_cmp_neq_f32_e64 s2, |v29|, 1.0
	v_bfi_b32 v30, 0x7fffffff, v32, v30
	v_cndmask_b32_e64 v27, 1.0, v27, s2
	v_cmp_gt_f32_e64 s2, 0, v29
	v_cndmask_b32_e64 v26, v26, v31, s2
	v_cmp_class_f32_e64 s2, v28, 0x204
	v_cndmask_b32_e64 v26, v26, v27, s2
	s_or_b32 s2, s6, s3
	v_cndmask_b32_e64 v26, v26, v30, s2
	v_cmp_o_f32_e64 s2, v29, v28
	v_cndmask_b32_e64 v28, 0x7fc00000, v26, s2
	v_add_co_u32 v26, s2, v3, s10
	v_add_co_ci_u32_e64 v27, null, s11, v4, s2
	v_cvt_f16_f32_e32 v28, v28
	global_store_short v[26:27], v28, off
	s_or_b32 exec_lo, exec_lo, s25
	s_and_saveexec_b32 s25, s1
	s_cbranch_execz .LBB94_13
.LBB94_17:                              ;   in Loop: Header=BB94_4 Depth=1
	s_waitcnt vmcnt(0)
	v_cmp_neq_f16_e64 s1, 1.0, v25
	v_cvt_f32_f16_e32 v25, v25
	v_cndmask_b32_e64 v27, 1.0, s18, s1
	v_cmp_neq_f32_e64 s1, 0, v27
	v_cmp_neq_f32_e64 s26, v27, |v27|
	v_cndmask_b32_e64 v28, 1.0, v25, s1
	v_frexp_mant_f32_e64 v25, |v28|
	v_cmp_lt_f32_e64 s27, |v28|, 1.0
	v_cmp_eq_f32_e64 s6, 0, v28
	v_cmp_gt_f32_e64 s1, 0x3f2aaaab, v25
	s_xor_b32 s26, s26, s27
	v_cndmask_b32_e64 v26, 1.0, 2.0, s1
	v_mul_f32_e32 v25, v25, v26
	v_add_f32_e32 v26, 1.0, v25
	v_add_f32_e32 v30, -1.0, v25
	v_rcp_f32_e32 v29, v26
	v_add_f32_e32 v32, -1.0, v26
	v_sub_f32_e32 v25, v25, v32
	v_mul_f32_e32 v31, v30, v29
	v_mul_f32_e32 v33, v26, v31
	v_fma_f32 v26, v31, v26, -v33
	v_fmac_f32_e32 v26, v31, v25
	v_add_f32_e32 v25, v33, v26
	v_sub_f32_e32 v32, v30, v25
	v_sub_f32_e32 v33, v25, v33
	;; [unrolled: 1-line block ×5, first 2 shown]
	v_add_f32_e32 v25, v26, v25
	v_add_f32_e32 v25, v32, v25
	v_mul_f32_e32 v25, v29, v25
	v_add_f32_e32 v29, v31, v25
	v_sub_f32_e32 v26, v29, v31
	v_mul_f32_e32 v30, v29, v29
	v_sub_f32_e32 v31, v25, v26
	v_fma_f32 v25, v29, v29, -v30
	v_add_f32_e32 v26, v31, v31
	v_fmac_f32_e32 v25, v29, v26
	v_add_f32_e32 v32, v30, v25
	v_fmaak_f32 v26, s24, v32, 0x3e91f4c4
	v_sub_f32_e32 v30, v32, v30
	v_mul_f32_e32 v37, v29, v32
	v_fmaak_f32 v26, v32, v26, 0x3ecccdef
	v_sub_f32_e32 v30, v25, v30
	v_fma_f32 v38, v32, v29, -v37
	v_mul_f32_e32 v33, v32, v26
	v_fmac_f32_e32 v38, v32, v31
	v_ldexp_f32 v31, v31, 1
	v_fma_f32 v34, v32, v26, -v33
	v_fmac_f32_e32 v38, v30, v29
	v_fmac_f32_e32 v34, v30, v26
	v_cvt_f64_f32_e64 v[25:26], |v28|
	v_add_f32_e32 v35, v33, v34
	v_sub_f32_e32 v33, v35, v33
	v_add_f32_e32 v36, 0x3f2aaaaa, v35
	v_sub_f32_e32 v33, v34, v33
	v_add_f32_e32 v34, 0xbf2aaaaa, v36
	v_add_f32_e32 v33, 0x31739010, v33
	v_sub_f32_e32 v34, v35, v34
	v_frexp_exp_i32_f64_e32 v25, v[25:26]
	v_add_f32_e32 v32, v33, v34
	v_add_f32_e32 v33, v37, v38
	;; [unrolled: 1-line block ×3, first 2 shown]
	v_sub_f32_e32 v35, v33, v37
	v_sub_f32_e32 v26, v36, v30
	v_mul_f32_e32 v34, v33, v30
	v_sub_f32_e32 v35, v38, v35
	v_add_f32_e32 v26, v32, v26
	v_fma_f32 v32, v33, v30, -v34
	v_subrev_co_ci_u32_e64 v25, null, 0, v25, s1
	v_fmac_f32_e32 v32, v33, v26
	v_ldexp_f32 v26, v29, 1
	v_cvt_f32_i32_e32 v25, v25
	v_fmac_f32_e32 v32, v35, v30
	v_add_f32_e32 v29, v34, v32
	v_add_f32_e32 v30, v26, v29
	v_sub_f32_e32 v33, v29, v34
	v_mul_f32_e32 v34, 0x3f317218, v25
	v_sub_f32_e32 v26, v30, v26
	v_sub_f32_e32 v32, v32, v33
	v_fma_f32 v33, 0x3f317218, v25, -v34
	v_sub_f32_e32 v26, v29, v26
	v_add_f32_e32 v29, v31, v32
	v_fmac_f32_e32 v33, 0xb102e308, v25
	v_add_f32_e32 v25, v29, v26
	v_add_f32_e32 v26, v34, v33
	;; [unrolled: 1-line block ×3, first 2 shown]
	v_sub_f32_e32 v34, v26, v34
	v_add_f32_e32 v31, v26, v29
	v_sub_f32_e32 v30, v29, v30
	v_sub_f32_e32 v33, v33, v34
	;; [unrolled: 1-line block ×6, first 2 shown]
	v_add_f32_e32 v30, v33, v25
	v_sub_f32_e32 v26, v26, v35
	v_add_f32_e32 v26, v29, v26
	v_sub_f32_e32 v29, v30, v33
	v_add_f32_e32 v26, v30, v26
	v_sub_f32_e32 v30, v30, v29
	v_sub_f32_e32 v25, v25, v29
	v_add_f32_e32 v32, v31, v26
	v_sub_f32_e32 v29, v33, v30
	v_sub_f32_e32 v30, v32, v31
	v_add_f32_e32 v25, v25, v29
	v_sub_f32_e32 v26, v26, v30
	v_add_f32_e32 v25, v25, v26
	v_add_f32_e32 v26, v32, v25
	v_sub_f32_e32 v29, v26, v32
	v_mul_f32_e32 v30, v27, v26
	v_sub_f32_e32 v25, v25, v29
	v_fma_f32 v26, v27, v26, -v30
	v_cmp_class_f32_e64 s1, v30, 0x204
	v_fmac_f32_e32 v26, v27, v25
	v_add_f32_e32 v25, v30, v26
	v_cndmask_b32_e64 v29, v25, v30, s1
	v_sub_f32_e32 v25, v25, v30
	v_cmp_eq_f32_e64 s1, 0x42b17218, v29
	v_sub_f32_e32 v25, v26, v25
	v_cndmask_b32_e64 v31, 0, 0x37000000, s1
	v_cmp_neq_f32_e64 s1, 0x7f800000, |v29|
	v_sub_f32_e32 v32, v29, v31
	v_cndmask_b32_e64 v25, 0, v25, s1
	v_trunc_f32_e32 v29, v27
	v_mul_f32_e32 v33, 0x3fb8aa3b, v32
	v_cmp_ngt_f32_e64 s1, 0xc2ce8ed0, v32
	v_add_f32_e32 v25, v31, v25
	v_fma_f32 v34, 0x3fb8aa3b, v32, -v33
	v_rndne_f32_e32 v35, v33
	v_fmac_f32_e32 v34, 0x32a5705f, v32
	v_sub_f32_e32 v33, v33, v35
	v_cvt_i32_f32_e32 v30, v35
	v_add_f32_e32 v33, v33, v34
	v_exp_f32_e32 v33, v33
	v_ldexp_f32 v26, v33, v30
	v_mul_f32_e32 v30, 0.5, v27
	v_cndmask_b32_e64 v26, 0, v26, s1
	v_cmp_nlt_f32_e64 s1, 0x42b17218, v32
	v_trunc_f32_e32 v33, v30
	v_cndmask_b32_e64 v26, 0x7f800000, v26, s1
	v_cmp_eq_f32_e64 s1, v29, v27
	v_cmp_neq_f32_e64 s2, v33, v30
	v_fma_f32 v25, v26, v25, v26
	v_cmp_class_f32_e64 s3, v26, 0x204
	s_and_b32 s2, s1, s2
	v_cndmask_b32_e64 v29, 1.0, v28, s2
	v_cndmask_b32_e64 v31, 0, v28, s2
	v_cndmask_b32_e64 v25, v25, v26, s3
	;; [unrolled: 1-line block ×3, first 2 shown]
	v_cmp_gt_f32_e64 s3, 0, v27
	v_cmp_class_f32_e64 s2, v28, 0x204
	v_bfi_b32 v25, 0x7fffffff, v25, v29
	s_xor_b32 s3, s3, s6
	v_cndmask_b32_e64 v29, 0x7f800000, 0, s3
	v_cndmask_b32_e64 v30, 0x7fc00000, v25, s1
	v_cmp_neq_f32_e64 s1, |v28|, 1.0
	v_bfi_b32 v29, 0x7fffffff, v29, v31
	v_cndmask_b32_e64 v26, 1.0, v26, s1
	v_cmp_gt_f32_e64 s1, 0, v28
	v_cndmask_b32_e64 v25, v25, v30, s1
	v_cmp_class_f32_e64 s1, v27, 0x204
	v_cndmask_b32_e64 v25, v25, v26, s1
	s_or_b32 s1, s6, s2
	v_cndmask_b32_e64 v25, v25, v29, s1
	v_cmp_o_f32_e64 s1, v28, v27
	v_cndmask_b32_e64 v25, 0x7fc00000, v25, s1
	v_cvt_f16_f32_e32 v27, v25
	v_add_co_u32 v25, s1, v21, s10
	v_add_co_ci_u32_e64 v26, null, s11, v22, s1
	global_store_short v[25:26], v27, off
	s_or_b32 exec_lo, exec_lo, s25
	s_and_saveexec_b32 s6, s0
	s_cbranch_execz .LBB94_14
.LBB94_18:                              ;   in Loop: Header=BB94_4 Depth=1
	s_waitcnt vmcnt(0)
	v_cmp_neq_f16_e64 s0, 1.0, v24
	v_cvt_f32_f16_e32 v24, v24
	v_cndmask_b32_e64 v26, 1.0, s18, s0
	v_cmp_neq_f32_e64 s0, 0, v26
	v_cmp_neq_f32_e64 s25, v26, |v26|
	v_cndmask_b32_e64 v27, 1.0, v24, s0
	v_frexp_mant_f32_e64 v24, |v27|
	v_cmp_lt_f32_e64 s26, |v27|, 1.0
	v_cmp_eq_f32_e64 s3, 0, v27
	v_cmp_gt_f32_e64 s0, 0x3f2aaaab, v24
	s_xor_b32 s25, s25, s26
	v_cndmask_b32_e64 v25, 1.0, 2.0, s0
	v_mul_f32_e32 v24, v24, v25
	v_add_f32_e32 v25, 1.0, v24
	v_add_f32_e32 v29, -1.0, v24
	v_rcp_f32_e32 v28, v25
	v_add_f32_e32 v31, -1.0, v25
	v_sub_f32_e32 v24, v24, v31
	v_mul_f32_e32 v30, v29, v28
	v_mul_f32_e32 v32, v25, v30
	v_fma_f32 v25, v30, v25, -v32
	v_fmac_f32_e32 v25, v30, v24
	v_add_f32_e32 v24, v32, v25
	v_sub_f32_e32 v31, v29, v24
	v_sub_f32_e32 v32, v24, v32
	;; [unrolled: 1-line block ×5, first 2 shown]
	v_add_f32_e32 v24, v25, v24
	v_add_f32_e32 v24, v31, v24
	v_mul_f32_e32 v24, v28, v24
	v_add_f32_e32 v28, v30, v24
	v_sub_f32_e32 v25, v28, v30
	v_mul_f32_e32 v29, v28, v28
	v_sub_f32_e32 v30, v24, v25
	v_fma_f32 v24, v28, v28, -v29
	v_add_f32_e32 v25, v30, v30
	v_fmac_f32_e32 v24, v28, v25
	v_add_f32_e32 v31, v29, v24
	v_fmaak_f32 v25, s24, v31, 0x3e91f4c4
	v_sub_f32_e32 v29, v31, v29
	v_mul_f32_e32 v36, v28, v31
	v_fmaak_f32 v25, v31, v25, 0x3ecccdef
	v_sub_f32_e32 v29, v24, v29
	v_fma_f32 v37, v31, v28, -v36
	v_mul_f32_e32 v32, v31, v25
	v_fmac_f32_e32 v37, v31, v30
	v_ldexp_f32 v30, v30, 1
	v_fma_f32 v33, v31, v25, -v32
	v_fmac_f32_e32 v37, v29, v28
	v_fmac_f32_e32 v33, v29, v25
	v_cvt_f64_f32_e64 v[24:25], |v27|
	v_add_f32_e32 v34, v32, v33
	v_sub_f32_e32 v32, v34, v32
	v_add_f32_e32 v35, 0x3f2aaaaa, v34
	v_sub_f32_e32 v32, v33, v32
	v_add_f32_e32 v33, 0xbf2aaaaa, v35
	v_add_f32_e32 v32, 0x31739010, v32
	v_sub_f32_e32 v33, v34, v33
	v_frexp_exp_i32_f64_e32 v24, v[24:25]
	v_add_f32_e32 v31, v32, v33
	v_add_f32_e32 v32, v36, v37
	;; [unrolled: 1-line block ×3, first 2 shown]
	v_sub_f32_e32 v34, v32, v36
	v_sub_f32_e32 v25, v35, v29
	v_mul_f32_e32 v33, v32, v29
	v_sub_f32_e32 v34, v37, v34
	v_add_f32_e32 v25, v31, v25
	v_fma_f32 v31, v32, v29, -v33
	v_subrev_co_ci_u32_e64 v24, null, 0, v24, s0
	v_fmac_f32_e32 v31, v32, v25
	v_ldexp_f32 v25, v28, 1
	v_cvt_f32_i32_e32 v24, v24
	v_fmac_f32_e32 v31, v34, v29
	v_add_f32_e32 v28, v33, v31
	v_add_f32_e32 v29, v25, v28
	v_sub_f32_e32 v32, v28, v33
	v_mul_f32_e32 v33, 0x3f317218, v24
	v_sub_f32_e32 v25, v29, v25
	v_sub_f32_e32 v31, v31, v32
	v_fma_f32 v32, 0x3f317218, v24, -v33
	v_sub_f32_e32 v25, v28, v25
	v_add_f32_e32 v28, v30, v31
	v_fmac_f32_e32 v32, 0xb102e308, v24
	v_add_f32_e32 v24, v28, v25
	v_add_f32_e32 v25, v33, v32
	v_add_f32_e32 v28, v29, v24
	v_sub_f32_e32 v33, v25, v33
	v_add_f32_e32 v30, v25, v28
	v_sub_f32_e32 v29, v28, v29
	v_sub_f32_e32 v32, v32, v33
	;; [unrolled: 1-line block ×6, first 2 shown]
	v_add_f32_e32 v29, v32, v24
	v_sub_f32_e32 v25, v25, v34
	v_add_f32_e32 v25, v28, v25
	v_sub_f32_e32 v28, v29, v32
	;; [unrolled: 2-line block ×3, first 2 shown]
	v_sub_f32_e32 v24, v24, v28
	v_add_f32_e32 v31, v30, v25
	v_sub_f32_e32 v28, v32, v29
	v_sub_f32_e32 v29, v31, v30
	v_add_f32_e32 v24, v24, v28
	v_sub_f32_e32 v25, v25, v29
	v_add_f32_e32 v24, v24, v25
	v_add_f32_e32 v25, v31, v24
	v_sub_f32_e32 v28, v25, v31
	v_mul_f32_e32 v29, v26, v25
	v_sub_f32_e32 v24, v24, v28
	v_fma_f32 v25, v26, v25, -v29
	v_cmp_class_f32_e64 s0, v29, 0x204
	v_fmac_f32_e32 v25, v26, v24
	v_add_f32_e32 v24, v29, v25
	v_cndmask_b32_e64 v28, v24, v29, s0
	v_sub_f32_e32 v24, v24, v29
	v_cmp_eq_f32_e64 s0, 0x42b17218, v28
	v_sub_f32_e32 v24, v25, v24
	v_cndmask_b32_e64 v30, 0, 0x37000000, s0
	v_cmp_neq_f32_e64 s0, 0x7f800000, |v28|
	v_sub_f32_e32 v31, v28, v30
	v_cndmask_b32_e64 v24, 0, v24, s0
	v_trunc_f32_e32 v28, v26
	v_mul_f32_e32 v32, 0x3fb8aa3b, v31
	v_cmp_ngt_f32_e64 s0, 0xc2ce8ed0, v31
	v_add_f32_e32 v24, v30, v24
	v_fma_f32 v33, 0x3fb8aa3b, v31, -v32
	v_rndne_f32_e32 v34, v32
	v_fmac_f32_e32 v33, 0x32a5705f, v31
	v_sub_f32_e32 v32, v32, v34
	v_cvt_i32_f32_e32 v29, v34
	v_add_f32_e32 v32, v32, v33
	v_exp_f32_e32 v32, v32
	v_ldexp_f32 v25, v32, v29
	v_mul_f32_e32 v29, 0.5, v26
	v_cndmask_b32_e64 v25, 0, v25, s0
	v_cmp_nlt_f32_e64 s0, 0x42b17218, v31
	v_trunc_f32_e32 v32, v29
	v_cndmask_b32_e64 v25, 0x7f800000, v25, s0
	v_cmp_eq_f32_e64 s0, v28, v26
	v_cmp_neq_f32_e64 s1, v32, v29
	v_fma_f32 v24, v25, v24, v25
	v_cmp_class_f32_e64 s2, v25, 0x204
	s_and_b32 s1, s0, s1
	v_cndmask_b32_e64 v28, 1.0, v27, s1
	v_cndmask_b32_e64 v30, 0, v27, s1
	v_cndmask_b32_e64 v24, v24, v25, s2
	;; [unrolled: 1-line block ×3, first 2 shown]
	v_cmp_gt_f32_e64 s2, 0, v26
	v_cmp_class_f32_e64 s1, v27, 0x204
	v_bfi_b32 v24, 0x7fffffff, v24, v28
	s_xor_b32 s2, s2, s3
	v_cndmask_b32_e64 v28, 0x7f800000, 0, s2
	v_cndmask_b32_e64 v29, 0x7fc00000, v24, s0
	v_cmp_neq_f32_e64 s0, |v27|, 1.0
	v_bfi_b32 v28, 0x7fffffff, v28, v30
	v_cndmask_b32_e64 v25, 1.0, v25, s0
	v_cmp_gt_f32_e64 s0, 0, v27
	v_cndmask_b32_e64 v24, v24, v29, s0
	v_cmp_class_f32_e64 s0, v26, 0x204
	v_cndmask_b32_e64 v24, v24, v25, s0
	s_or_b32 s0, s3, s1
	v_cndmask_b32_e64 v24, v24, v28, s0
	v_cmp_o_f32_e64 s0, v27, v26
	v_cndmask_b32_e64 v24, 0x7fc00000, v24, s0
	v_cvt_f16_f32_e32 v26, v24
	v_add_co_u32 v24, s0, v14, s10
	v_add_co_ci_u32_e64 v25, null, s11, v15, s0
	global_store_short v[24:25], v26, off
	s_or_b32 exec_lo, exec_lo, s6
	s_and_saveexec_b32 s3, vcc_lo
	s_cbranch_execz .LBB94_3
.LBB94_19:                              ;   in Loop: Header=BB94_4 Depth=1
	s_waitcnt vmcnt(0)
	v_cmp_neq_f16_e32 vcc_lo, 1.0, v23
	v_cvt_f32_f16_e32 v23, v23
	v_cndmask_b32_e64 v25, 1.0, s18, vcc_lo
	v_cmp_neq_f32_e32 vcc_lo, 0, v25
	v_cmp_neq_f32_e64 s6, v25, |v25|
	v_cndmask_b32_e32 v26, 1.0, v23, vcc_lo
	v_frexp_mant_f32_e64 v23, |v26|
	v_cmp_lt_f32_e64 s25, |v26|, 1.0
	v_cmp_eq_f32_e64 s2, 0, v26
	v_cmp_gt_f32_e32 vcc_lo, 0x3f2aaaab, v23
	s_xor_b32 s6, s6, s25
	v_cndmask_b32_e64 v24, 1.0, 2.0, vcc_lo
	v_mul_f32_e32 v23, v23, v24
	v_add_f32_e32 v24, 1.0, v23
	v_add_f32_e32 v28, -1.0, v23
	v_rcp_f32_e32 v27, v24
	v_add_f32_e32 v30, -1.0, v24
	v_sub_f32_e32 v23, v23, v30
	v_mul_f32_e32 v29, v28, v27
	v_mul_f32_e32 v31, v24, v29
	v_fma_f32 v24, v29, v24, -v31
	v_fmac_f32_e32 v24, v29, v23
	v_add_f32_e32 v23, v31, v24
	v_sub_f32_e32 v30, v28, v23
	v_sub_f32_e32 v31, v23, v31
	;; [unrolled: 1-line block ×5, first 2 shown]
	v_add_f32_e32 v23, v24, v23
	v_add_f32_e32 v23, v30, v23
	v_mul_f32_e32 v23, v27, v23
	v_add_f32_e32 v27, v29, v23
	v_sub_f32_e32 v24, v27, v29
	v_mul_f32_e32 v28, v27, v27
	v_sub_f32_e32 v29, v23, v24
	v_fma_f32 v23, v27, v27, -v28
	v_add_f32_e32 v24, v29, v29
	v_fmac_f32_e32 v23, v27, v24
	v_add_f32_e32 v30, v28, v23
	v_fmaak_f32 v24, s24, v30, 0x3e91f4c4
	v_sub_f32_e32 v28, v30, v28
	v_mul_f32_e32 v35, v27, v30
	v_fmaak_f32 v24, v30, v24, 0x3ecccdef
	v_sub_f32_e32 v28, v23, v28
	v_fma_f32 v36, v30, v27, -v35
	v_mul_f32_e32 v31, v30, v24
	v_fmac_f32_e32 v36, v30, v29
	v_ldexp_f32 v29, v29, 1
	v_fma_f32 v32, v30, v24, -v31
	v_fmac_f32_e32 v36, v28, v27
	v_fmac_f32_e32 v32, v28, v24
	v_cvt_f64_f32_e64 v[23:24], |v26|
	v_add_f32_e32 v33, v31, v32
	v_sub_f32_e32 v31, v33, v31
	v_add_f32_e32 v34, 0x3f2aaaaa, v33
	v_sub_f32_e32 v31, v32, v31
	v_add_f32_e32 v32, 0xbf2aaaaa, v34
	v_add_f32_e32 v31, 0x31739010, v31
	v_sub_f32_e32 v32, v33, v32
	v_frexp_exp_i32_f64_e32 v23, v[23:24]
	v_add_f32_e32 v30, v31, v32
	v_add_f32_e32 v31, v35, v36
	v_add_f32_e32 v28, v34, v30
	v_sub_f32_e32 v33, v31, v35
	v_sub_f32_e32 v24, v34, v28
	v_mul_f32_e32 v32, v31, v28
	v_sub_f32_e32 v33, v36, v33
	v_add_f32_e32 v24, v30, v24
	v_fma_f32 v30, v31, v28, -v32
	v_subrev_co_ci_u32_e64 v23, null, 0, v23, vcc_lo
	v_fmac_f32_e32 v30, v31, v24
	v_ldexp_f32 v24, v27, 1
	v_cvt_f32_i32_e32 v23, v23
	v_fmac_f32_e32 v30, v33, v28
	v_add_f32_e32 v27, v32, v30
	v_add_f32_e32 v28, v24, v27
	v_sub_f32_e32 v31, v27, v32
	v_mul_f32_e32 v32, 0x3f317218, v23
	v_sub_f32_e32 v24, v28, v24
	v_sub_f32_e32 v30, v30, v31
	v_fma_f32 v31, 0x3f317218, v23, -v32
	v_sub_f32_e32 v24, v27, v24
	v_add_f32_e32 v27, v29, v30
	v_fmac_f32_e32 v31, 0xb102e308, v23
	v_add_f32_e32 v23, v27, v24
	v_add_f32_e32 v24, v32, v31
	;; [unrolled: 1-line block ×3, first 2 shown]
	v_sub_f32_e32 v32, v24, v32
	v_add_f32_e32 v29, v24, v27
	v_sub_f32_e32 v28, v27, v28
	v_sub_f32_e32 v31, v31, v32
	;; [unrolled: 1-line block ×6, first 2 shown]
	v_add_f32_e32 v28, v31, v23
	v_sub_f32_e32 v24, v24, v33
	v_add_f32_e32 v24, v27, v24
	v_sub_f32_e32 v27, v28, v31
	;; [unrolled: 2-line block ×3, first 2 shown]
	v_sub_f32_e32 v23, v23, v27
	v_add_f32_e32 v30, v29, v24
	v_sub_f32_e32 v27, v31, v28
	v_sub_f32_e32 v28, v30, v29
	v_add_f32_e32 v23, v23, v27
	v_sub_f32_e32 v24, v24, v28
	v_add_f32_e32 v23, v23, v24
	v_add_f32_e32 v24, v30, v23
	v_sub_f32_e32 v27, v24, v30
	v_mul_f32_e32 v28, v25, v24
	v_sub_f32_e32 v23, v23, v27
	v_fma_f32 v24, v25, v24, -v28
	v_cmp_class_f32_e64 vcc_lo, v28, 0x204
	v_fmac_f32_e32 v24, v25, v23
	v_add_f32_e32 v23, v28, v24
	v_cndmask_b32_e32 v27, v23, v28, vcc_lo
	v_sub_f32_e32 v23, v23, v28
	v_cmp_eq_f32_e32 vcc_lo, 0x42b17218, v27
	v_sub_f32_e32 v23, v24, v23
	v_cndmask_b32_e64 v29, 0, 0x37000000, vcc_lo
	v_cmp_neq_f32_e64 vcc_lo, 0x7f800000, |v27|
	v_sub_f32_e32 v30, v27, v29
	v_cndmask_b32_e32 v23, 0, v23, vcc_lo
	v_trunc_f32_e32 v27, v25
	v_mul_f32_e32 v31, 0x3fb8aa3b, v30
	v_cmp_ngt_f32_e32 vcc_lo, 0xc2ce8ed0, v30
	v_add_f32_e32 v23, v29, v23
	v_fma_f32 v32, 0x3fb8aa3b, v30, -v31
	v_rndne_f32_e32 v33, v31
	v_fmac_f32_e32 v32, 0x32a5705f, v30
	v_sub_f32_e32 v31, v31, v33
	v_cvt_i32_f32_e32 v28, v33
	v_add_f32_e32 v31, v31, v32
	v_exp_f32_e32 v31, v31
	v_ldexp_f32 v24, v31, v28
	v_mul_f32_e32 v28, 0.5, v25
	v_cndmask_b32_e32 v24, 0, v24, vcc_lo
	v_cmp_nlt_f32_e32 vcc_lo, 0x42b17218, v30
	v_trunc_f32_e32 v31, v28
	v_cndmask_b32_e32 v24, 0x7f800000, v24, vcc_lo
	v_cmp_eq_f32_e32 vcc_lo, v27, v25
	v_cmp_neq_f32_e64 s0, v31, v28
	v_fma_f32 v23, v24, v23, v24
	v_cmp_class_f32_e64 s1, v24, 0x204
	s_and_b32 s0, vcc_lo, s0
	v_cndmask_b32_e64 v27, 1.0, v26, s0
	v_cndmask_b32_e64 v29, 0, v26, s0
	v_cndmask_b32_e64 v23, v23, v24, s1
	;; [unrolled: 1-line block ×3, first 2 shown]
	v_cmp_gt_f32_e64 s1, 0, v25
	v_cmp_class_f32_e64 s0, v26, 0x204
	v_bfi_b32 v23, 0x7fffffff, v23, v27
	s_xor_b32 s1, s1, s2
	v_cndmask_b32_e64 v27, 0x7f800000, 0, s1
	v_cndmask_b32_e32 v28, 0x7fc00000, v23, vcc_lo
	v_cmp_neq_f32_e64 vcc_lo, |v26|, 1.0
	v_bfi_b32 v27, 0x7fffffff, v27, v29
	v_cndmask_b32_e32 v24, 1.0, v24, vcc_lo
	v_cmp_gt_f32_e32 vcc_lo, 0, v26
	v_cndmask_b32_e32 v23, v23, v28, vcc_lo
	v_cmp_class_f32_e64 vcc_lo, v25, 0x204
	v_cndmask_b32_e32 v23, v23, v24, vcc_lo
	s_or_b32 vcc_lo, s2, s0
	v_cndmask_b32_e32 v23, v23, v27, vcc_lo
	v_cmp_o_f32_e32 vcc_lo, v26, v25
	v_cndmask_b32_e32 v23, 0x7fc00000, v23, vcc_lo
	v_cvt_f16_f32_e32 v25, v23
	v_add_co_u32 v23, vcc_lo, v7, s10
	v_add_co_ci_u32_e64 v24, null, s11, v8, vcc_lo
	global_store_short v[23:24], v25, off
	s_branch .LBB94_3
.LBB94_20:
	s_mov_b32 s6, 0
.LBB94_21:
	s_andn2_b32 vcc_lo, exec_lo, s6
	s_cbranch_vccnz .LBB94_25
; %bb.22:
	v_cmp_gt_i64_e64 s0, 0x10000, s[8:9]
	v_mov_b32_e32 v2, 0
	v_lshlrev_b32_e32 v1, 2, v0
	s_mov_b32 s23, 0
	s_and_b32 s0, s0, exec_lo
	s_cselect_b32 s17, s9, 0
	s_cselect_b32 s16, s8, 0x10000
	s_mov_b32 s0, exec_lo
	v_cmpx_gt_i64_e64 s[16:17], v[1:2]
	s_cbranch_execz .LBB94_25
; %bb.23:
	s_load_dword s0, s[4:5], 0xd54
	v_mov_b32_e32 v1, v2
	v_lshlrev_b32_e32 v6, 3, v0
	v_mov_b32_e32 v7, 0x3c00
	s_mov_b32 s26, 0x3e76c4e1
	s_waitcnt lgkmcnt(0)
	s_and_b32 s24, s0, 0xffff
	s_lshl_b32 s25, s24, 3
.LBB94_24:                              ; =>This Inner Loop Header: Depth=1
	v_add_co_u32 v2, s0, s19, v6
	v_add_co_ci_u32_e64 v3, null, s20, 0, s0
	v_add_co_u32 v0, vcc_lo, v0, s24
	v_add_co_ci_u32_e64 v1, null, 0, v1, vcc_lo
	s_clause 0x2
	global_load_dwordx2 v[8:9], v[2:3], off
	global_load_dword v9, v[2:3], off offset:2
	global_load_ushort v10, v[2:3], off offset:6
	v_add_co_u32 v4, s0, s21, v6
	v_add_co_ci_u32_e64 v5, null, s22, 0, s0
	s_waitcnt vmcnt(2)
	v_cmp_neq_f16_e32 vcc_lo, 1.0, v8
	v_cvt_f32_f16_e32 v11, v8
	s_waitcnt vmcnt(1)
	v_cvt_f32_f16_e32 v12, v9
	v_cvt_f32_f16_sdwa v13, v9 dst_sel:DWORD dst_unused:UNUSED_PAD src0_sel:WORD_1
	v_cmp_neq_f16_sdwa s0, v9, v7 src0_sel:WORD_1 src1_sel:DWORD
	v_cndmask_b32_e64 v2, 1.0, s18, vcc_lo
	v_cmp_neq_f16_e32 vcc_lo, 1.0, v9
	s_waitcnt vmcnt(0)
	v_cvt_f32_f16_e32 v14, v10
	v_cndmask_b32_e64 v8, 1.0, s18, s0
	v_trunc_f32_e32 v15, v2
	v_cndmask_b32_e64 v3, 1.0, s18, vcc_lo
	v_cmp_neq_f16_e32 vcc_lo, 1.0, v10
	v_mul_f32_e32 v16, 0.5, v2
	v_cmp_neq_f32_e64 s13, v2, |v2|
	v_cmp_gt_f32_e64 s7, 0, v2
	v_trunc_f32_e32 v17, v3
	v_cndmask_b32_e64 v9, 1.0, s18, vcc_lo
	v_cmp_neq_f32_e32 vcc_lo, 0, v2
	v_mul_f32_e32 v18, 0.5, v3
	v_cmp_gt_f32_e64 s8, 0, v3
	v_trunc_f32_e32 v19, v8
	v_mul_f32_e32 v20, 0.5, v8
	v_cndmask_b32_e32 v10, 1.0, v11, vcc_lo
	v_cmp_neq_f32_e32 vcc_lo, 0, v3
	v_cmp_eq_f32_e64 s2, v15, v2
	v_trunc_f32_e32 v15, v16
	v_cmp_eq_f32_e64 s4, v17, v3
	v_frexp_mant_f32_e64 v30, |v10|
	v_cndmask_b32_e32 v11, 1.0, v12, vcc_lo
	v_cmp_neq_f32_e32 vcc_lo, 0, v8
	v_cmp_lt_f32_e64 s15, |v10|, 1.0
	v_trunc_f32_e32 v17, v18
	v_cmp_gt_f32_e64 s11, 0x3f2aaaab, v30
	v_cmp_eq_f32_e64 s0, 0, v11
	v_cndmask_b32_e32 v12, 1.0, v13, vcc_lo
	v_cmp_neq_f32_e32 vcc_lo, 0, v9
	v_frexp_mant_f32_e64 v31, |v11|
	v_cvt_f64_f32_e64 v[22:23], |v10|
	v_cmp_neq_f32_e64 s14, v3, |v3|
	v_frexp_mant_f32_e64 v32, |v12|
	v_cndmask_b32_e32 v13, 1.0, v14, vcc_lo
	v_cmp_eq_f32_e32 vcc_lo, 0, v10
	v_trunc_f32_e32 v14, v9
	v_mul_f32_e32 v21, 0.5, v9
	v_cmp_lt_f32_e64 s36, |v11|, 1.0
	v_cmp_eq_f32_e64 s5, v19, v8
	v_trunc_f32_e32 v19, v20
	s_xor_b32 s13, s13, s15
	s_xor_b32 s7, s7, vcc_lo
	s_xor_b32 s8, s8, s0
	v_cndmask_b32_e64 v34, 1.0, 2.0, s11
	v_cmp_neq_f32_e64 s12, v15, v16
	v_cndmask_b32_e64 v35, 0x7f800000, 0, s13
	v_cndmask_b32_e64 v15, 0x7f800000, 0, s7
	v_cmp_gt_f32_e64 s7, 0x3f2aaaab, v31
	v_cmp_neq_f32_e64 s13, v17, v18
	v_cndmask_b32_e64 v17, 0x7f800000, 0, s8
	v_cmp_gt_f32_e64 s8, 0x3f2aaaab, v32
	v_cmp_gt_f32_e64 s10, 0, v9
	v_cmp_eq_f32_e64 s3, 0, v13
	v_cmp_gt_f32_e64 s9, 0, v8
	v_cvt_f64_f32_e64 v[24:25], |v11|
	v_cvt_f64_f32_e64 v[26:27], |v12|
	v_cmp_eq_f32_e64 s1, 0, v12
	v_cmp_eq_f32_e64 s6, v14, v9
	v_trunc_f32_e32 v14, v21
	s_xor_b32 s36, s14, s36
	v_cmp_neq_f32_e64 s14, v19, v20
	v_frexp_mant_f32_e64 v33, |v13|
	v_cndmask_b32_e64 v16, 1.0, 2.0, s7
	v_cndmask_b32_e64 v36, 1.0, 2.0, s8
	v_mul_f32_e32 v30, v30, v34
	s_xor_b32 s10, s10, s3
	s_xor_b32 s9, s9, s1
	v_cmp_neq_f32_e64 s15, v14, v21
	v_cndmask_b32_e64 v14, 0x7f800000, 0, s10
	s_and_b32 s10, s2, s12
	s_and_b32 s12, s4, s13
	;; [unrolled: 1-line block ×3, first 2 shown]
	v_cndmask_b32_e64 v37, 0x7f800000, 0, s9
	v_cmp_gt_f32_e64 s9, 0x3f2aaaab, v33
	v_mul_f32_e32 v31, v31, v16
	v_mul_f32_e32 v32, v32, v36
	v_cndmask_b32_e64 v16, 0, v10, s10
	v_cndmask_b32_e64 v36, 0, v12, s13
	v_add_f32_e32 v40, 1.0, v30
	v_cndmask_b32_e64 v38, 1.0, 2.0, s9
	v_cndmask_b32_e64 v34, 0, v11, s12
	v_bfi_b32 v16, 0x7fffffff, v15, v16
	v_bfi_b32 v15, 0x7fffffff, v37, v36
	v_rcp_f32_e32 v36, v40
	v_cvt_f64_f32_e64 v[28:29], |v13|
	s_and_b32 s14, s6, s15
	v_frexp_exp_i32_f64_e32 v22, v[22:23]
	v_mul_f32_e32 v33, v33, v38
	v_cndmask_b32_e64 v38, 0, v13, s14
	v_add_f32_e32 v39, -1.0, v30
	v_add_f32_e32 v42, 1.0, v31
	v_bfi_b32 v17, 0x7fffffff, v17, v34
	v_add_f32_e32 v34, -1.0, v40
	v_add_f32_e32 v44, 1.0, v32
	v_bfi_b32 v14, 0x7fffffff, v14, v38
	v_rcp_f32_e32 v38, v42
	v_frexp_exp_i32_f64_e32 v23, v[24:25]
	v_frexp_exp_i32_f64_e32 v24, v[26:27]
	v_sub_f32_e32 v26, v30, v34
	v_mul_f32_e32 v30, v39, v36
	v_add_f32_e32 v41, -1.0, v31
	v_add_f32_e32 v46, 1.0, v33
	v_add_f32_e32 v37, -1.0, v42
	v_rcp_f32_e32 v48, v44
	v_mul_f32_e32 v34, v40, v30
	v_add_f32_e32 v43, -1.0, v32
	v_add_f32_e32 v47, -1.0, v44
	v_rcp_f32_e32 v50, v46
	v_sub_f32_e32 v27, v31, v37
	v_mul_f32_e32 v31, v41, v38
	v_fma_f32 v40, v30, v40, -v34
	v_frexp_exp_i32_f64_e32 v25, v[28:29]
	v_add_f32_e32 v45, -1.0, v33
	v_add_f32_e32 v49, -1.0, v46
	v_sub_f32_e32 v28, v32, v47
	v_mul_f32_e32 v32, v43, v48
	v_mul_f32_e32 v37, v42, v31
	v_subrev_co_ci_u32_e64 v22, null, 0, v22, s11
	v_fmac_f32_e32 v40, v30, v26
	v_sub_f32_e32 v29, v33, v49
	v_mul_f32_e32 v33, v45, v50
	v_mul_f32_e32 v47, v44, v32
	v_fma_f32 v42, v31, v42, -v37
	v_cvt_f32_i32_e32 v22, v22
	v_add_f32_e32 v26, v34, v40
	v_mul_f32_e32 v49, v46, v33
	v_fma_f32 v44, v32, v44, -v47
	v_subrev_co_ci_u32_e64 v23, null, 0, v23, s7
	v_fmac_f32_e32 v42, v31, v27
	v_mul_f32_e32 v51, 0x3f317218, v22
	v_sub_f32_e32 v55, v39, v26
	v_fma_f32 v46, v33, v46, -v49
	v_subrev_co_ci_u32_e64 v24, null, 0, v24, s8
	v_fmac_f32_e32 v44, v32, v28
	v_cvt_f32_i32_e32 v23, v23
	v_add_f32_e32 v27, v37, v42
	v_sub_f32_e32 v34, v26, v34
	v_fma_f32 v59, 0x3f317218, v22, -v51
	v_sub_f32_e32 v39, v39, v55
	v_subrev_co_ci_u32_e64 v25, null, 0, v25, s9
	v_fmac_f32_e32 v46, v33, v29
	v_cvt_f32_i32_e32 v24, v24
	v_add_f32_e32 v28, v47, v44
	v_mul_f32_e32 v52, 0x3f317218, v23
	v_sub_f32_e32 v56, v41, v27
	v_sub_f32_e32 v34, v34, v40
	v_fmac_f32_e32 v59, 0xb102e308, v22
	v_sub_f32_e32 v22, v39, v26
	v_cvt_f32_i32_e32 v25, v25
	v_add_f32_e32 v29, v49, v46
	v_mul_f32_e32 v53, 0x3f317218, v24
	v_sub_f32_e32 v37, v27, v37
	v_sub_f32_e32 v57, v43, v28
	v_fma_f32 v40, 0x3f317218, v23, -v52
	v_sub_f32_e32 v41, v41, v56
	v_add_f32_e32 v22, v34, v22
	v_mul_f32_e32 v54, 0x3f317218, v25
	v_sub_f32_e32 v47, v28, v47
	v_sub_f32_e32 v58, v45, v29
	v_sub_f32_e32 v37, v37, v42
	v_fma_f32 v42, 0x3f317218, v24, -v53
	v_sub_f32_e32 v43, v43, v57
	v_fmac_f32_e32 v40, 0xb102e308, v23
	v_sub_f32_e32 v23, v41, v27
	v_add_f32_e32 v22, v55, v22
	v_sub_f32_e32 v49, v29, v49
	v_sub_f32_e32 v44, v47, v44
	v_fma_f32 v47, 0x3f317218, v25, -v54
	v_sub_f32_e32 v45, v45, v58
	v_fmac_f32_e32 v42, 0xb102e308, v24
	v_sub_f32_e32 v24, v43, v28
	v_add_f32_e32 v23, v37, v23
	v_mul_f32_e32 v22, v36, v22
	v_sub_f32_e32 v46, v49, v46
	v_fmac_f32_e32 v47, 0xb102e308, v25
	v_sub_f32_e32 v25, v45, v29
	v_add_f32_e32 v24, v44, v24
	v_add_f32_e32 v23, v56, v23
	;; [unrolled: 1-line block ×7, first 2 shown]
	v_mul_f32_e32 v23, v38, v23
	v_sub_f32_e32 v30, v36, v30
	v_add_f32_e32 v28, v53, v42
	v_sub_f32_e32 v37, v27, v52
	v_sub_f32_e32 v41, v29, v54
	v_add_f32_e32 v25, v58, v25
	v_mul_f32_e32 v24, v48, v24
	v_add_f32_e32 v38, v31, v23
	v_mul_f32_e32 v43, v36, v36
	v_sub_f32_e32 v22, v22, v30
	v_sub_f32_e32 v39, v28, v53
	v_sub_f32_e32 v37, v40, v37
	v_sub_f32_e32 v40, v47, v41
	v_mul_f32_e32 v25, v50, v25
	v_add_f32_e32 v41, v32, v24
	v_sub_f32_e32 v31, v38, v31
	v_fma_f32 v30, v36, v36, -v43
	v_add_f32_e32 v47, v22, v22
	v_sub_f32_e32 v39, v42, v39
	v_add_f32_e32 v42, v33, v25
	v_mul_f32_e32 v44, v38, v38
	v_sub_f32_e32 v32, v41, v32
	v_sub_f32_e32 v23, v23, v31
	v_fmac_f32_e32 v30, v36, v47
	v_add_f32_e32 v26, v51, v59
	v_mul_f32_e32 v45, v41, v41
	v_sub_f32_e32 v33, v42, v33
	v_fma_f32 v31, v38, v38, -v44
	v_sub_f32_e32 v24, v24, v32
	v_add_f32_e32 v48, v23, v23
	v_add_f32_e32 v47, v43, v30
	v_sub_f32_e32 v34, v26, v51
	v_mul_f32_e32 v46, v42, v42
	v_fma_f32 v32, v41, v41, -v45
	v_sub_f32_e32 v25, v25, v33
	v_add_f32_e32 v49, v24, v24
	v_fmac_f32_e32 v31, v38, v48
	v_fmaak_f32 v51, s26, v47, 0x3e91f4c4
	v_fma_f32 v33, v42, v42, -v46
	v_add_f32_e32 v50, v25, v25
	v_fmac_f32_e32 v32, v41, v49
	v_add_f32_e32 v48, v44, v31
	v_sub_f32_e32 v43, v47, v43
	v_mul_f32_e32 v52, v36, v47
	v_fmaak_f32 v51, v47, v51, 0x3ecccdef
	v_sub_f32_e32 v34, v59, v34
	v_fmac_f32_e32 v33, v42, v50
	v_add_f32_e32 v49, v45, v32
	v_fmaak_f32 v53, s26, v48, 0x3e91f4c4
	v_sub_f32_e32 v30, v30, v43
	v_fma_f32 v43, v47, v36, -v52
	v_mul_f32_e32 v59, v47, v51
	v_add_f32_e32 v50, v46, v33
	v_sub_f32_e32 v44, v48, v44
	v_mul_f32_e32 v54, v38, v48
	v_fmaak_f32 v55, s26, v49, 0x3e91f4c4
	v_sub_f32_e32 v45, v49, v45
	v_mul_f32_e32 v56, v41, v49
	v_fmaak_f32 v53, v48, v53, 0x3ecccdef
	v_fmac_f32_e32 v43, v47, v22
	v_fma_f32 v47, v47, v51, -v59
	v_fmaak_f32 v57, s26, v50, 0x3e91f4c4
	v_sub_f32_e32 v46, v50, v46
	v_mul_f32_e32 v58, v42, v50
	v_sub_f32_e32 v31, v31, v44
	v_fma_f32 v44, v48, v38, -v54
	v_fmaak_f32 v55, v49, v55, 0x3ecccdef
	v_sub_f32_e32 v32, v32, v45
	v_fma_f32 v45, v49, v41, -v56
	v_fmac_f32_e32 v47, v30, v51
	v_mul_f32_e32 v51, v48, v53
	v_fmaak_f32 v57, v50, v57, 0x3ecccdef
	v_sub_f32_e32 v33, v33, v46
	v_fma_f32 v46, v50, v42, -v58
	v_fmac_f32_e32 v44, v48, v23
	v_fmac_f32_e32 v45, v49, v24
	;; [unrolled: 1-line block ×3, first 2 shown]
	v_mul_f32_e32 v30, v49, v55
	v_fma_f32 v48, v48, v53, -v51
	v_fmac_f32_e32 v46, v50, v25
	v_fmac_f32_e32 v44, v31, v38
	;; [unrolled: 1-line block ×3, first 2 shown]
	v_ldexp_f32 v36, v36, 1
	v_fmac_f32_e32 v48, v31, v53
	v_mul_f32_e32 v53, v50, v57
	v_fma_f32 v31, v49, v55, -v30
	v_fmac_f32_e32 v46, v33, v42
	v_ldexp_f32 v38, v38, 1
	v_ldexp_f32 v41, v41, 1
	v_fma_f32 v49, v50, v57, -v53
	v_fmac_f32_e32 v31, v32, v55
	v_add_f32_e32 v55, v56, v45
	v_add_f32_e32 v50, v52, v43
	;; [unrolled: 1-line block ×3, first 2 shown]
	v_fmac_f32_e32 v49, v33, v57
	v_add_f32_e32 v33, v58, v46
	v_sub_f32_e32 v56, v55, v56
	v_sub_f32_e32 v52, v50, v52
	v_add_f32_e32 v57, v59, v47
	v_sub_f32_e32 v54, v32, v54
	v_sub_f32_e32 v58, v33, v58
	;; [unrolled: 1-line block ×3, first 2 shown]
	v_add_f32_e32 v56, v53, v49
	v_sub_f32_e32 v43, v43, v52
	v_add_f32_e32 v52, v51, v48
	v_sub_f32_e32 v59, v57, v59
	v_sub_f32_e32 v46, v46, v58
	v_add_f32_e32 v58, 0x3f2aaaaa, v57
	v_sub_f32_e32 v53, v56, v53
	;; [unrolled: 3-line block ×4, first 2 shown]
	v_add_f32_e32 v53, 0xbf2aaaaa, v58
	v_sub_f32_e32 v30, v54, v30
	v_sub_f32_e32 v48, v48, v51
	v_add_f32_e32 v51, 0x3f2aaaaa, v54
	v_add_f32_e32 v47, 0x31739010, v47
	v_sub_f32_e32 v53, v57, v53
	v_add_f32_e32 v57, 0xbf2aaaaa, v59
	v_sub_f32_e32 v30, v31, v30
	v_add_f32_e32 v31, 0x3f2aaaaa, v56
	v_add_f32_e32 v49, 0x31739010, v49
	;; [unrolled: 1-line block ×3, first 2 shown]
	v_sub_f32_e32 v52, v52, v57
	v_add_f32_e32 v57, 0xbf2aaaaa, v51
	v_add_f32_e32 v30, 0x31739010, v30
	;; [unrolled: 1-line block ×3, first 2 shown]
	v_ldexp_f32 v42, v42, 1
	v_ldexp_f32 v22, v22, 1
	v_sub_f32_e32 v54, v54, v57
	v_add_f32_e32 v57, 0xbf2aaaaa, v31
	v_add_f32_e32 v48, v48, v52
	v_ldexp_f32 v23, v23, 1
	v_ldexp_f32 v24, v24, 1
	v_add_f32_e32 v30, v30, v54
	v_sub_f32_e32 v56, v56, v57
	v_add_f32_e32 v54, v58, v47
	v_ldexp_f32 v25, v25, 1
	v_cmp_neq_f32_e64 s31, v8, |v8|
	v_cmp_neq_f32_e64 s33, v9, |v9|
	v_add_f32_e32 v49, v49, v56
	v_sub_f32_e32 v56, v58, v54
	v_mul_f32_e32 v58, v50, v54
	v_cmp_lt_f32_e64 s34, |v12|, 1.0
	v_cmp_lt_f32_e64 s35, |v13|, 1.0
	v_cndmask_b32_e64 v18, 1.0, v10, s10
	v_add_f32_e32 v47, v47, v56
	v_fma_f32 v56, v50, v54, -v58
	s_xor_b32 s8, s31, s34
	s_xor_b32 s9, s33, s35
	v_cndmask_b32_e64 v57, 0x7f800000, 0, s36
	v_cmp_neq_f32_e64 s7, |v11|, 1.0
	v_fmac_f32_e32 v56, v50, v47
	v_add_f32_e32 v47, v59, v48
	v_cndmask_b32_e64 v53, 0x7f800000, 0, s8
	v_cmp_neq_f32_e64 s8, |v12|, 1.0
	v_cndmask_b32_e64 v52, 0x7f800000, 0, s9
	v_fmac_f32_e32 v56, v43, v54
	v_sub_f32_e32 v50, v59, v47
	v_mul_f32_e32 v59, v32, v47
	v_cmp_neq_f32_e64 s9, |v13|, 1.0
	v_cmp_neq_f32_e64 s10, |v10|, 1.0
	v_cndmask_b32_e64 v57, 1.0, v57, s7
	v_add_f32_e32 v48, v48, v50
	v_fma_f32 v50, v32, v47, -v59
	v_cndmask_b32_e64 v53, 1.0, v53, s8
	v_cndmask_b32_e64 v35, 1.0, v35, s10
	;; [unrolled: 1-line block ×4, first 2 shown]
	v_fmac_f32_e32 v50, v32, v48
	v_add_f32_e32 v32, v51, v30
	v_cndmask_b32_e64 v20, 1.0, v12, s13
	v_cndmask_b32_e64 v21, 1.0, v13, s14
	v_cmp_class_f32_e64 s27, v10, 0x204
	v_fmac_f32_e32 v50, v44, v47
	v_sub_f32_e32 v48, v51, v32
	v_mul_f32_e32 v51, v55, v32
	v_cmp_class_f32_e64 s28, v11, 0x204
	v_cmp_class_f32_e64 s29, v12, 0x204
	;; [unrolled: 1-line block ×3, first 2 shown]
	v_add_f32_e32 v30, v30, v48
	v_fma_f32 v48, v55, v32, -v51
	s_or_b32 s0, s0, s28
	s_or_b32 s1, s1, s29
	s_or_b32 vcc_lo, vcc_lo, s27
	v_fmac_f32_e32 v48, v55, v30
	v_add_f32_e32 v30, v31, v49
	v_fmac_f32_e32 v48, v45, v32
	v_sub_f32_e32 v31, v31, v30
	v_mul_f32_e32 v55, v33, v30
	v_add_f32_e32 v32, v51, v48
	v_add_f32_e32 v31, v49, v31
	v_fma_f32 v49, v33, v30, -v55
	v_sub_f32_e32 v47, v32, v51
	v_add_f32_e32 v51, v41, v32
	v_fmac_f32_e32 v49, v33, v31
	v_add_f32_e32 v31, v59, v50
	v_sub_f32_e32 v47, v48, v47
	v_sub_f32_e32 v41, v51, v41
	v_fmac_f32_e32 v49, v46, v30
	v_add_f32_e32 v30, v58, v56
	v_sub_f32_e32 v45, v31, v59
	v_add_f32_e32 v46, v38, v31
	v_sub_f32_e32 v32, v32, v41
	;; [unrolled: 2-line block ×4, first 2 shown]
	v_sub_f32_e32 v38, v46, v38
	v_sub_f32_e32 v54, v33, v55
	v_add_f32_e32 v55, v42, v33
	v_sub_f32_e32 v43, v56, v43
	v_sub_f32_e32 v36, v44, v36
	;; [unrolled: 1-line block ×5, first 2 shown]
	v_add_f32_e32 v22, v22, v43
	v_sub_f32_e32 v30, v30, v36
	v_add_f32_e32 v23, v23, v45
	v_add_f32_e32 v24, v24, v47
	v_sub_f32_e32 v33, v33, v42
	v_add_f32_e32 v25, v25, v48
	v_add_f32_e32 v22, v22, v30
	;; [unrolled: 1-line block ×9, first 2 shown]
	v_sub_f32_e32 v36, v30, v44
	v_add_f32_e32 v38, v26, v30
	v_sub_f32_e32 v41, v31, v46
	v_add_f32_e32 v42, v27, v31
	;; [unrolled: 2-line block ×4, first 2 shown]
	v_sub_f32_e32 v22, v22, v36
	v_sub_f32_e32 v36, v38, v26
	;; [unrolled: 1-line block ×10, first 2 shown]
	v_add_f32_e32 v36, v34, v22
	v_sub_f32_e32 v48, v42, v41
	v_sub_f32_e32 v31, v31, v41
	v_add_f32_e32 v41, v37, v23
	v_sub_f32_e32 v49, v44, v43
	v_sub_f32_e32 v32, v32, v43
	;; [unrolled: 3-line block ×4, first 2 shown]
	v_sub_f32_e32 v27, v27, v48
	v_sub_f32_e32 v48, v41, v37
	;; [unrolled: 1-line block ×6, first 2 shown]
	v_add_f32_e32 v26, v30, v26
	v_sub_f32_e32 v30, v36, v47
	v_add_f32_e32 v27, v31, v27
	v_sub_f32_e32 v31, v41, v48
	;; [unrolled: 2-line block ×4, first 2 shown]
	v_sub_f32_e32 v22, v22, v47
	v_sub_f32_e32 v23, v23, v48
	v_sub_f32_e32 v24, v24, v49
	v_sub_f32_e32 v25, v25, v50
	v_sub_f32_e32 v30, v34, v30
	v_add_f32_e32 v26, v36, v26
	v_sub_f32_e32 v31, v37, v31
	v_add_f32_e32 v27, v41, v27
	v_sub_f32_e32 v32, v39, v32
	;; [unrolled: 2-line block ×3, first 2 shown]
	v_add_f32_e32 v29, v45, v29
	v_add_f32_e32 v22, v22, v30
	;; [unrolled: 1-line block ×9, first 2 shown]
	v_sub_f32_e32 v34, v30, v38
	v_sub_f32_e32 v36, v31, v42
	;; [unrolled: 1-line block ×8, first 2 shown]
	v_add_f32_e32 v22, v22, v26
	v_add_f32_e32 v23, v23, v27
	;; [unrolled: 1-line block ×8, first 2 shown]
	v_sub_f32_e32 v30, v26, v30
	v_mul_f32_e32 v34, v2, v26
	v_sub_f32_e32 v31, v27, v31
	v_mul_f32_e32 v36, v3, v27
	v_sub_f32_e32 v32, v28, v32
	v_mul_f32_e32 v37, v8, v28
	v_sub_f32_e32 v33, v29, v33
	v_mul_f32_e32 v38, v9, v29
	v_sub_f32_e32 v22, v22, v30
	v_fma_f32 v26, v2, v26, -v34
	v_sub_f32_e32 v23, v23, v31
	v_fma_f32 v27, v3, v27, -v36
	;; [unrolled: 2-line block ×4, first 2 shown]
	v_fmac_f32_e32 v26, v2, v22
	v_fmac_f32_e32 v27, v3, v23
	v_fmac_f32_e32 v28, v8, v24
	v_cmp_class_f32_e64 s7, v34, 0x204
	v_fmac_f32_e32 v29, v9, v25
	v_add_f32_e32 v22, v34, v26
	v_add_f32_e32 v23, v36, v27
	v_cmp_class_f32_e64 s8, v36, 0x204
	v_add_f32_e32 v24, v37, v28
	v_cmp_class_f32_e64 s9, v37, 0x204
	;; [unrolled: 2-line block ×3, first 2 shown]
	v_sub_f32_e32 v30, v22, v34
	v_cndmask_b32_e64 v22, v22, v34, s7
	v_sub_f32_e32 v31, v23, v36
	v_cndmask_b32_e64 v23, v23, v36, s8
	;; [unrolled: 2-line block ×4, first 2 shown]
	v_cmp_eq_f32_e64 s7, 0x42b17218, v22
	v_cmp_eq_f32_e64 s8, 0x42b17218, v23
	;; [unrolled: 1-line block ×3, first 2 shown]
	v_sub_f32_e32 v26, v26, v30
	v_cmp_eq_f32_e64 s10, 0x42b17218, v25
	v_cndmask_b32_e64 v30, 0, 0x37000000, s7
	v_sub_f32_e32 v27, v27, v31
	v_cmp_neq_f32_e64 s7, 0x7f800000, |v23|
	v_cndmask_b32_e64 v31, 0, 0x37000000, s8
	v_sub_f32_e32 v28, v28, v32
	v_cmp_neq_f32_e64 s8, 0x7f800000, |v24|
	;; [unrolled: 3-line block ×3, first 2 shown]
	v_cndmask_b32_e64 v33, 0, 0x37000000, s10
	v_cmp_neq_f32_e64 s10, 0x7f800000, |v22|
	v_sub_f32_e32 v22, v22, v30
	v_cndmask_b32_e64 v27, 0, v27, s7
	v_sub_f32_e32 v23, v23, v31
	v_cndmask_b32_e64 v28, 0, v28, s8
	v_cndmask_b32_e64 v26, 0, v26, s10
	v_sub_f32_e32 v24, v24, v32
	v_cndmask_b32_e64 v29, 0, v29, s9
	v_sub_f32_e32 v25, v25, v33
	v_add_f32_e32 v27, v31, v27
	v_add_f32_e32 v26, v30, v26
	v_mul_f32_e32 v30, 0x3fb8aa3b, v22
	v_mul_f32_e32 v31, 0x3fb8aa3b, v23
	v_add_f32_e32 v28, v32, v28
	v_mul_f32_e32 v32, 0x3fb8aa3b, v24
	v_add_f32_e32 v29, v33, v29
	v_mul_f32_e32 v33, 0x3fb8aa3b, v25
	v_fma_f32 v34, 0x3fb8aa3b, v22, -v30
	v_rndne_f32_e32 v36, v30
	v_fma_f32 v37, 0x3fb8aa3b, v23, -v31
	v_rndne_f32_e32 v38, v31
	;; [unrolled: 2-line block ×4, first 2 shown]
	v_fmac_f32_e32 v34, 0x32a5705f, v22
	v_sub_f32_e32 v30, v30, v36
	v_fmac_f32_e32 v37, 0x32a5705f, v23
	v_sub_f32_e32 v31, v31, v38
	;; [unrolled: 2-line block ×4, first 2 shown]
	v_add_f32_e32 v30, v30, v34
	v_add_f32_e32 v31, v31, v37
	v_add_f32_e32 v32, v32, v39
	v_cvt_i32_f32_e32 v36, v36
	v_add_f32_e32 v33, v33, v41
	v_exp_f32_e32 v30, v30
	v_exp_f32_e32 v31, v31
	v_exp_f32_e32 v32, v32
	v_cvt_i32_f32_e32 v38, v38
	v_exp_f32_e32 v33, v33
	v_cvt_i32_f32_e32 v40, v40
	v_cvt_i32_f32_e32 v42, v42
	v_cmp_ngt_f32_e64 s7, 0xc2ce8ed0, v23
	v_cmp_ngt_f32_e64 s8, 0xc2ce8ed0, v24
	;; [unrolled: 1-line block ×3, first 2 shown]
	v_ldexp_f32 v30, v30, v36
	v_ldexp_f32 v31, v31, v38
	;; [unrolled: 1-line block ×3, first 2 shown]
	v_cmp_ngt_f32_e64 s10, 0xc2ce8ed0, v22
	v_ldexp_f32 v33, v33, v42
	v_cndmask_b32_e64 v31, 0, v31, s7
	v_cmp_nlt_f32_e64 s7, 0x42b17218, v23
	v_cndmask_b32_e64 v30, 0, v30, s10
	v_cndmask_b32_e64 v23, 0, v32, s8
	v_cmp_nlt_f32_e64 s8, 0x42b17218, v24
	v_cndmask_b32_e64 v24, 0, v33, s9
	v_cmp_nlt_f32_e64 s9, 0x42b17218, v25
	v_cmp_nlt_f32_e64 s10, 0x42b17218, v22
	v_cndmask_b32_e64 v25, 0x7f800000, v31, s7
	v_cndmask_b32_e64 v23, 0x7f800000, v23, s8
	;; [unrolled: 1-line block ×4, first 2 shown]
	v_fma_f32 v27, v25, v27, v25
	v_cmp_class_f32_e64 s7, v25, 0x204
	v_fma_f32 v28, v23, v28, v23
	v_cmp_class_f32_e64 s8, v23, 0x204
	v_fma_f32 v26, v22, v26, v22
	v_fma_f32 v29, v24, v29, v24
	v_cmp_class_f32_e64 s9, v24, 0x204
	v_cmp_class_f32_e64 s10, v22, 0x204
	v_cndmask_b32_e64 v25, v27, v25, s7
	v_cndmask_b32_e64 v23, v28, v23, s8
	v_cndmask_b32_e64 v24, v29, v24, s9
	v_cndmask_b32_e64 v22, v26, v22, s10
	v_bfi_b32 v19, 0x7fffffff, v25, v19
	v_bfi_b32 v20, 0x7fffffff, v23, v20
	v_bfi_b32 v21, 0x7fffffff, v24, v21
	v_bfi_b32 v18, 0x7fffffff, v22, v18
	v_cndmask_b32_e64 v23, 0x7fc00000, v19, s4
	v_cndmask_b32_e64 v24, 0x7fc00000, v20, s5
	v_cmp_gt_f32_e64 s4, 0, v12
	v_cndmask_b32_e64 v25, 0x7fc00000, v21, s6
	v_cndmask_b32_e64 v22, 0x7fc00000, v18, s2
	v_cmp_gt_f32_e64 s2, 0, v11
	v_cmp_gt_f32_e64 s5, 0, v13
	;; [unrolled: 1-line block ×3, first 2 shown]
	v_cndmask_b32_e64 v20, v20, v24, s4
	v_cmp_class_f32_e64 s4, v8, 0x204
	v_cndmask_b32_e64 v19, v19, v23, s2
	v_cmp_class_f32_e64 s2, v3, 0x204
	v_cndmask_b32_e64 v18, v18, v22, s6
	v_cndmask_b32_e64 v21, v21, v25, s5
	v_cmp_class_f32_e64 s5, v9, 0x204
	v_cmp_class_f32_e64 s6, v2, 0x204
	v_cndmask_b32_e64 v19, v19, v57, s2
	v_cndmask_b32_e64 v20, v20, v53, s4
	s_or_b32 s2, s3, s30
	v_cndmask_b32_e64 v21, v21, v52, s5
	v_cndmask_b32_e64 v18, v18, v35, s6
	v_cndmask_b32_e64 v17, v19, v17, s0
	v_cmp_o_f32_e64 s0, v12, v8
	s_add_u32 s19, s19, s25
	v_cndmask_b32_e64 v8, v21, v14, s2
	v_cndmask_b32_e32 v16, v18, v16, vcc_lo
	v_cmp_o_f32_e32 vcc_lo, v11, v3
	v_cndmask_b32_e64 v3, v20, v15, s1
	v_cmp_o_f32_e64 s1, v13, v9
	v_cmp_o_f32_e64 s2, v10, v2
	s_addc_u32 s20, s20, 0
	v_cndmask_b32_e32 v10, 0x7fc00000, v17, vcc_lo
	v_cndmask_b32_e64 v11, 0x7fc00000, v3, s0
	v_cndmask_b32_e64 v8, 0x7fc00000, v8, s1
	;; [unrolled: 1-line block ×3, first 2 shown]
	v_lshlrev_b64 v[2:3], 2, v[0:1]
	v_cvt_f16_f32_e32 v10, v10
	v_cvt_f16_f32_e32 v11, v11
	v_cvt_f16_f32_e32 v8, v8
	v_cvt_f16_f32_e32 v9, v9
	s_add_u32 s21, s21, s25
	v_cmp_le_i64_e32 vcc_lo, s[16:17], v[2:3]
	s_addc_u32 s22, s22, 0
	v_pack_b32_f16 v3, v11, v8
	v_pack_b32_f16 v2, v9, v10
	s_or_b32 s23, vcc_lo, s23
	global_store_dwordx2 v[4:5], v[2:3], off
	s_andn2_b32 exec_lo, exec_lo, s23
	s_cbranch_execnz .LBB94_24
.LBB94_25:
	s_endpgm
	.section	.rodata,"a",@progbits
	.p2align	6, 0x0
	.amdhsa_kernel _ZN2at6native12_GLOBAL__N_125multi_tensor_apply_kernelINS1_28TensorListScalarListMetadataIfLi2EEENS1_25BinaryOpScalarListFunctorIN3c104HalfELi2ELi1ELi1EEEJNS1_13power_functorIfEEEEEvT_T0_DpT1_
		.amdhsa_group_segment_fixed_size 0
		.amdhsa_private_segment_fixed_size 0
		.amdhsa_kernarg_size 3656
		.amdhsa_user_sgpr_count 6
		.amdhsa_user_sgpr_private_segment_buffer 1
		.amdhsa_user_sgpr_dispatch_ptr 0
		.amdhsa_user_sgpr_queue_ptr 0
		.amdhsa_user_sgpr_kernarg_segment_ptr 1
		.amdhsa_user_sgpr_dispatch_id 0
		.amdhsa_user_sgpr_flat_scratch_init 0
		.amdhsa_user_sgpr_private_segment_size 0
		.amdhsa_wavefront_size32 1
		.amdhsa_uses_dynamic_stack 0
		.amdhsa_system_sgpr_private_segment_wavefront_offset 0
		.amdhsa_system_sgpr_workgroup_id_x 1
		.amdhsa_system_sgpr_workgroup_id_y 0
		.amdhsa_system_sgpr_workgroup_id_z 0
		.amdhsa_system_sgpr_workgroup_info 0
		.amdhsa_system_vgpr_workitem_id 0
		.amdhsa_next_free_vgpr 60
		.amdhsa_next_free_sgpr 37
		.amdhsa_reserve_vcc 1
		.amdhsa_reserve_flat_scratch 0
		.amdhsa_float_round_mode_32 0
		.amdhsa_float_round_mode_16_64 0
		.amdhsa_float_denorm_mode_32 3
		.amdhsa_float_denorm_mode_16_64 3
		.amdhsa_dx10_clamp 1
		.amdhsa_ieee_mode 1
		.amdhsa_fp16_overflow 0
		.amdhsa_workgroup_processor_mode 1
		.amdhsa_memory_ordered 1
		.amdhsa_forward_progress 1
		.amdhsa_shared_vgpr_count 0
		.amdhsa_exception_fp_ieee_invalid_op 0
		.amdhsa_exception_fp_denorm_src 0
		.amdhsa_exception_fp_ieee_div_zero 0
		.amdhsa_exception_fp_ieee_overflow 0
		.amdhsa_exception_fp_ieee_underflow 0
		.amdhsa_exception_fp_ieee_inexact 0
		.amdhsa_exception_int_div_zero 0
	.end_amdhsa_kernel
	.section	.text._ZN2at6native12_GLOBAL__N_125multi_tensor_apply_kernelINS1_28TensorListScalarListMetadataIfLi2EEENS1_25BinaryOpScalarListFunctorIN3c104HalfELi2ELi1ELi1EEEJNS1_13power_functorIfEEEEEvT_T0_DpT1_,"axG",@progbits,_ZN2at6native12_GLOBAL__N_125multi_tensor_apply_kernelINS1_28TensorListScalarListMetadataIfLi2EEENS1_25BinaryOpScalarListFunctorIN3c104HalfELi2ELi1ELi1EEEJNS1_13power_functorIfEEEEEvT_T0_DpT1_,comdat
.Lfunc_end94:
	.size	_ZN2at6native12_GLOBAL__N_125multi_tensor_apply_kernelINS1_28TensorListScalarListMetadataIfLi2EEENS1_25BinaryOpScalarListFunctorIN3c104HalfELi2ELi1ELi1EEEJNS1_13power_functorIfEEEEEvT_T0_DpT1_, .Lfunc_end94-_ZN2at6native12_GLOBAL__N_125multi_tensor_apply_kernelINS1_28TensorListScalarListMetadataIfLi2EEENS1_25BinaryOpScalarListFunctorIN3c104HalfELi2ELi1ELi1EEEJNS1_13power_functorIfEEEEEvT_T0_DpT1_
                                        ; -- End function
	.set _ZN2at6native12_GLOBAL__N_125multi_tensor_apply_kernelINS1_28TensorListScalarListMetadataIfLi2EEENS1_25BinaryOpScalarListFunctorIN3c104HalfELi2ELi1ELi1EEEJNS1_13power_functorIfEEEEEvT_T0_DpT1_.num_vgpr, 60
	.set _ZN2at6native12_GLOBAL__N_125multi_tensor_apply_kernelINS1_28TensorListScalarListMetadataIfLi2EEENS1_25BinaryOpScalarListFunctorIN3c104HalfELi2ELi1ELi1EEEJNS1_13power_functorIfEEEEEvT_T0_DpT1_.num_agpr, 0
	.set _ZN2at6native12_GLOBAL__N_125multi_tensor_apply_kernelINS1_28TensorListScalarListMetadataIfLi2EEENS1_25BinaryOpScalarListFunctorIN3c104HalfELi2ELi1ELi1EEEJNS1_13power_functorIfEEEEEvT_T0_DpT1_.numbered_sgpr, 37
	.set _ZN2at6native12_GLOBAL__N_125multi_tensor_apply_kernelINS1_28TensorListScalarListMetadataIfLi2EEENS1_25BinaryOpScalarListFunctorIN3c104HalfELi2ELi1ELi1EEEJNS1_13power_functorIfEEEEEvT_T0_DpT1_.num_named_barrier, 0
	.set _ZN2at6native12_GLOBAL__N_125multi_tensor_apply_kernelINS1_28TensorListScalarListMetadataIfLi2EEENS1_25BinaryOpScalarListFunctorIN3c104HalfELi2ELi1ELi1EEEJNS1_13power_functorIfEEEEEvT_T0_DpT1_.private_seg_size, 0
	.set _ZN2at6native12_GLOBAL__N_125multi_tensor_apply_kernelINS1_28TensorListScalarListMetadataIfLi2EEENS1_25BinaryOpScalarListFunctorIN3c104HalfELi2ELi1ELi1EEEJNS1_13power_functorIfEEEEEvT_T0_DpT1_.uses_vcc, 1
	.set _ZN2at6native12_GLOBAL__N_125multi_tensor_apply_kernelINS1_28TensorListScalarListMetadataIfLi2EEENS1_25BinaryOpScalarListFunctorIN3c104HalfELi2ELi1ELi1EEEJNS1_13power_functorIfEEEEEvT_T0_DpT1_.uses_flat_scratch, 0
	.set _ZN2at6native12_GLOBAL__N_125multi_tensor_apply_kernelINS1_28TensorListScalarListMetadataIfLi2EEENS1_25BinaryOpScalarListFunctorIN3c104HalfELi2ELi1ELi1EEEJNS1_13power_functorIfEEEEEvT_T0_DpT1_.has_dyn_sized_stack, 0
	.set _ZN2at6native12_GLOBAL__N_125multi_tensor_apply_kernelINS1_28TensorListScalarListMetadataIfLi2EEENS1_25BinaryOpScalarListFunctorIN3c104HalfELi2ELi1ELi1EEEJNS1_13power_functorIfEEEEEvT_T0_DpT1_.has_recursion, 0
	.set _ZN2at6native12_GLOBAL__N_125multi_tensor_apply_kernelINS1_28TensorListScalarListMetadataIfLi2EEENS1_25BinaryOpScalarListFunctorIN3c104HalfELi2ELi1ELi1EEEJNS1_13power_functorIfEEEEEvT_T0_DpT1_.has_indirect_call, 0
	.section	.AMDGPU.csdata,"",@progbits
; Kernel info:
; codeLenInByte = 9392
; TotalNumSgprs: 39
; NumVgprs: 60
; ScratchSize: 0
; MemoryBound: 0
; FloatMode: 240
; IeeeMode: 1
; LDSByteSize: 0 bytes/workgroup (compile time only)
; SGPRBlocks: 0
; VGPRBlocks: 7
; NumSGPRsForWavesPerEU: 39
; NumVGPRsForWavesPerEU: 60
; Occupancy: 16
; WaveLimiterHint : 0
; COMPUTE_PGM_RSRC2:SCRATCH_EN: 0
; COMPUTE_PGM_RSRC2:USER_SGPR: 6
; COMPUTE_PGM_RSRC2:TRAP_HANDLER: 0
; COMPUTE_PGM_RSRC2:TGID_X_EN: 1
; COMPUTE_PGM_RSRC2:TGID_Y_EN: 0
; COMPUTE_PGM_RSRC2:TGID_Z_EN: 0
; COMPUTE_PGM_RSRC2:TIDIG_COMP_CNT: 0
	.section	.text._ZN2at6native12_GLOBAL__N_125multi_tensor_apply_kernelINS1_28TensorListScalarListMetadataIfLi2EEENS1_25BinaryOpScalarListFunctorIN3c108BFloat16ELi2ELi1ELi1EEEJNS1_13power_functorIfEEEEEvT_T0_DpT1_,"axG",@progbits,_ZN2at6native12_GLOBAL__N_125multi_tensor_apply_kernelINS1_28TensorListScalarListMetadataIfLi2EEENS1_25BinaryOpScalarListFunctorIN3c108BFloat16ELi2ELi1ELi1EEEJNS1_13power_functorIfEEEEEvT_T0_DpT1_,comdat
	.globl	_ZN2at6native12_GLOBAL__N_125multi_tensor_apply_kernelINS1_28TensorListScalarListMetadataIfLi2EEENS1_25BinaryOpScalarListFunctorIN3c108BFloat16ELi2ELi1ELi1EEEJNS1_13power_functorIfEEEEEvT_T0_DpT1_ ; -- Begin function _ZN2at6native12_GLOBAL__N_125multi_tensor_apply_kernelINS1_28TensorListScalarListMetadataIfLi2EEENS1_25BinaryOpScalarListFunctorIN3c108BFloat16ELi2ELi1ELi1EEEJNS1_13power_functorIfEEEEEvT_T0_DpT1_
	.p2align	8
	.type	_ZN2at6native12_GLOBAL__N_125multi_tensor_apply_kernelINS1_28TensorListScalarListMetadataIfLi2EEENS1_25BinaryOpScalarListFunctorIN3c108BFloat16ELi2ELi1ELi1EEEJNS1_13power_functorIfEEEEEvT_T0_DpT1_,@function
_ZN2at6native12_GLOBAL__N_125multi_tensor_apply_kernelINS1_28TensorListScalarListMetadataIfLi2EEENS1_25BinaryOpScalarListFunctorIN3c108BFloat16ELi2ELi1ELi1EEEJNS1_13power_functorIfEEEEEvT_T0_DpT1_: ; @_ZN2at6native12_GLOBAL__N_125multi_tensor_apply_kernelINS1_28TensorListScalarListMetadataIfLi2EEENS1_25BinaryOpScalarListFunctorIN3c108BFloat16ELi2ELi1ELi1EEEJNS1_13power_functorIfEEEEEvT_T0_DpT1_
; %bb.0:
	v_mov_b32_e32 v1, s6
	s_add_u32 s0, s4, s6
	s_mul_hi_u32 s1, s6, 3
	s_mul_i32 s6, s6, 3
	s_addc_u32 s2, s5, 0
	global_load_ubyte v1, v1, s[4:5] offset:1792
	s_add_u32 s0, s0, s6
	s_addc_u32 s1, s2, s1
	s_load_dword s0, s[0:1], 0x840
	s_waitcnt vmcnt(0)
	v_readfirstlane_b32 s1, v1
	v_lshlrev_b32_e32 v1, 2, v1
	s_lshl_b32 s6, s1, 3
	v_sub_co_u32 v1, s1, 0, v1
	v_sub_co_ci_u32_e64 v2, null, 0, 0, s1
	s_waitcnt lgkmcnt(0)
	s_ashr_i32 s1, s0, 31
	s_clause 0x2
	s_load_dwordx2 s[2:3], s[4:5], s6 offset:0x400
	s_load_dwordx2 s[16:17], s[4:5], s6 offset:0x0
	;; [unrolled: 1-line block ×3, first 2 shown]
	s_add_u32 s6, s4, s6
	s_addc_u32 s7, s5, 0
	v_add_co_u32 v1, vcc_lo, s6, v1
	v_add_co_ci_u32_e64 v2, null, s7, v2, vcc_lo
	s_lshl_b64 s[8:9], s[0:1], 17
	v_readfirstlane_b32 s6, v1
	s_lshl_b64 s[0:1], s[0:1], 16
	v_readfirstlane_b32 s7, v2
	s_load_dword s22, s[6:7], 0x600
	s_mov_b32 s7, 0
	s_mov_b32 s13, s7
	s_waitcnt lgkmcnt(0)
	s_add_u32 s6, s16, s8
	s_and_b32 s12, s18, 7
	s_and_b32 s6, s6, 7
	s_sub_u32 s10, s2, s0
	s_subb_u32 s11, s3, s1
	s_and_b32 s0, s2, 3
	s_mov_b32 s1, s7
	s_or_b64 s[0:1], s[12:13], s[0:1]
	s_or_b64 s[0:1], s[0:1], s[6:7]
	s_cmp_eq_u64 s[0:1], 0
	s_mov_b32 s0, -1
	s_cbranch_scc1 .LBB95_21
; %bb.1:
	v_cmp_lt_i64_e64 s0, s[10:11], 1
	s_and_b32 vcc_lo, exec_lo, s0
	s_cbranch_vccnz .LBB95_20
; %bb.2:
	s_load_dword s0, s[4:5], 0xd54
	v_cmp_gt_i64_e64 s1, 0x10000, s[10:11]
	v_lshlrev_b32_e32 v9, 1, v0
	v_cmp_gt_u64_e64 s2, 0x10000, s[10:11]
	v_mov_b32_e32 v10, 0
	v_mov_b32_e32 v23, 0x7fc0
	s_mov_b64 s[20:21], 0
	s_and_b32 s1, s1, exec_lo
	v_add_co_u32 v1, s3, s16, v9
	s_cselect_b32 s13, s11, 0
	s_cselect_b32 s12, s10, 0x10000
	v_add_co_ci_u32_e64 v2, null, s17, 0, s3
	v_add_co_u32 v3, s3, s18, v9
	v_add_co_ci_u32_e64 v4, null, s19, 0, s3
	s_mov_b32 s24, 0x3e76c4e1
	s_waitcnt lgkmcnt(0)
	s_and_b32 s0, s0, 0xffff
	s_and_b32 s1, s2, exec_lo
	s_cselect_b32 s15, s11, 0
	s_cselect_b32 s14, s10, 0x10000
	s_mul_i32 s2, s0, 3
	s_lshl_b32 s7, s0, 2
	v_mad_u64_u32 v[7:8], null, s0, 6, v[9:10]
	v_add_co_u32 v14, s3, s7, v9
	v_add_co_u32 v9, s2, s2, v0
	v_add_co_ci_u32_e64 v10, null, 0, 0, s2
	v_add_co_u32 v13, s2, v0, s0
	s_lshl_b32 s1, s0, 1
	v_add_co_u32 v5, vcc_lo, s16, v7
	v_lshlrev_b32_e32 v21, 1, v13
	v_add_co_ci_u32_e64 v15, null, 0, 0, s3
	v_add_co_ci_u32_e64 v6, null, s17, v8, vcc_lo
	v_add_co_u32 v7, vcc_lo, s18, v7
	v_add_co_u32 v17, s1, s1, v0
	v_add_co_ci_u32_e64 v8, null, s19, v8, vcc_lo
	v_add_co_u32 v11, vcc_lo, s16, v14
	v_add_co_ci_u32_e64 v18, null, 0, 0, s1
	v_add_co_u32 v19, s1, s16, v21
	v_add_co_ci_u32_e64 v12, null, s17, v15, vcc_lo
	v_add_co_u32 v14, vcc_lo, s18, v14
	v_add_co_ci_u32_e64 v20, null, s17, 0, s1
	v_add_co_u32 v21, s1, s18, v21
	v_add_co_ci_u32_e64 v15, null, s19, v15, vcc_lo
	v_add_co_ci_u32_e64 v16, null, 0, 0, s2
	v_add_co_ci_u32_e64 v22, null, s19, 0, s1
	s_lshl_b32 s23, s0, 3
	s_branch .LBB95_4
.LBB95_3:                               ;   in Loop: Header=BB95_4 Depth=1
	s_or_b32 exec_lo, exec_lo, s3
	v_add_co_u32 v1, vcc_lo, v1, s23
	v_add_co_ci_u32_e64 v2, null, 0, v2, vcc_lo
	v_add_co_u32 v3, vcc_lo, v3, s23
	v_add_co_ci_u32_e64 v4, null, 0, v4, vcc_lo
	;; [unrolled: 2-line block ×4, first 2 shown]
	v_add_co_u32 v11, vcc_lo, v11, s23
	s_add_u32 s20, s20, s7
	v_add_co_ci_u32_e64 v12, null, 0, v12, vcc_lo
	v_add_co_u32 v14, vcc_lo, v14, s23
	s_addc_u32 s21, s21, 0
	v_add_co_ci_u32_e64 v15, null, 0, v15, vcc_lo
	v_add_co_u32 v19, vcc_lo, v19, s23
	v_cmp_lt_i64_e64 s0, s[20:21], s[12:13]
	v_add_co_ci_u32_e64 v20, null, 0, v20, vcc_lo
	v_add_co_u32 v21, vcc_lo, v21, s23
	v_add_co_ci_u32_e64 v22, null, 0, v22, vcc_lo
	s_and_b32 vcc_lo, exec_lo, s0
	s_cbranch_vccz .LBB95_20
.LBB95_4:                               ; =>This Inner Loop Header: Depth=1
	v_add_co_u32 v24, s0, v0, s20
	v_add_co_ci_u32_e64 v25, null, 0, s21, s0
	v_mov_b32_e32 v27, 0
	v_cmp_gt_u64_e32 vcc_lo, s[14:15], v[24:25]
	s_and_saveexec_b32 s1, vcc_lo
	s_cbranch_execz .LBB95_6
; %bb.5:                                ;   in Loop: Header=BB95_4 Depth=1
	v_add_co_u32 v24, s0, v1, s8
	v_add_co_ci_u32_e64 v25, null, s9, v2, s0
	global_load_ushort v24, v[24:25], off
	s_waitcnt vmcnt(0)
	v_lshlrev_b32_e32 v27, 16, v24
.LBB95_6:                               ;   in Loop: Header=BB95_4 Depth=1
	s_or_b32 exec_lo, exec_lo, s1
	v_add_co_u32 v24, s0, v13, s20
	v_add_co_ci_u32_e64 v25, null, s21, v16, s0
	v_mov_b32_e32 v26, 0
	v_cmp_gt_u64_e64 s2, s[14:15], v[24:25]
	v_mov_b32_e32 v25, 0
	s_and_saveexec_b32 s1, s2
	s_cbranch_execz .LBB95_8
; %bb.7:                                ;   in Loop: Header=BB95_4 Depth=1
	v_add_co_u32 v28, s0, v19, s8
	v_add_co_ci_u32_e64 v29, null, s9, v20, s0
	global_load_ushort v24, v[28:29], off
	s_waitcnt vmcnt(0)
	v_lshlrev_b32_e32 v26, 16, v24
.LBB95_8:                               ;   in Loop: Header=BB95_4 Depth=1
	s_or_b32 exec_lo, exec_lo, s1
	v_add_co_u32 v28, s0, v17, s20
	v_add_co_ci_u32_e64 v29, null, s21, v18, s0
	v_cmp_gt_u64_e64 s1, s[14:15], v[28:29]
	s_and_saveexec_b32 s3, s1
	s_cbranch_execz .LBB95_10
; %bb.9:                                ;   in Loop: Header=BB95_4 Depth=1
	v_add_co_u32 v24, s0, v11, s8
	v_add_co_ci_u32_e64 v25, null, s9, v12, s0
	global_load_ushort v24, v[24:25], off
	s_waitcnt vmcnt(0)
	v_lshlrev_b32_e32 v25, 16, v24
.LBB95_10:                              ;   in Loop: Header=BB95_4 Depth=1
	s_or_b32 exec_lo, exec_lo, s3
	v_add_co_u32 v28, s0, v9, s20
	v_add_co_ci_u32_e64 v29, null, s21, v10, s0
	v_mov_b32_e32 v24, 0
	v_cmp_gt_u64_e64 s0, s[14:15], v[28:29]
	s_and_saveexec_b32 s6, s0
	s_cbranch_execnz .LBB95_15
; %bb.11:                               ;   in Loop: Header=BB95_4 Depth=1
	s_or_b32 exec_lo, exec_lo, s6
	s_and_saveexec_b32 s25, vcc_lo
	s_cbranch_execnz .LBB95_16
.LBB95_12:                              ;   in Loop: Header=BB95_4 Depth=1
	s_or_b32 exec_lo, exec_lo, s25
	s_and_saveexec_b32 s25, s2
	s_cbranch_execnz .LBB95_17
.LBB95_13:                              ;   in Loop: Header=BB95_4 Depth=1
	s_or_b32 exec_lo, exec_lo, s25
	s_and_saveexec_b32 s6, s1
	s_cbranch_execnz .LBB95_18
.LBB95_14:                              ;   in Loop: Header=BB95_4 Depth=1
	s_or_b32 exec_lo, exec_lo, s6
	s_and_saveexec_b32 s3, s0
	s_cbranch_execz .LBB95_3
	s_branch .LBB95_19
.LBB95_15:                              ;   in Loop: Header=BB95_4 Depth=1
	v_add_co_u32 v28, s3, v5, s8
	v_add_co_ci_u32_e64 v29, null, s9, v6, s3
	global_load_ushort v24, v[28:29], off
	s_waitcnt vmcnt(0)
	v_lshlrev_b32_e32 v24, 16, v24
	s_or_b32 exec_lo, exec_lo, s6
	s_and_saveexec_b32 s25, vcc_lo
	s_cbranch_execz .LBB95_12
.LBB95_16:                              ;   in Loop: Header=BB95_4 Depth=1
	v_cmp_neq_f32_e32 vcc_lo, 1.0, v27
	v_cndmask_b32_e64 v29, 1.0, s22, vcc_lo
	v_cmp_neq_f32_e32 vcc_lo, 0, v29
	v_cmp_neq_f32_e64 s26, v29, |v29|
	v_cndmask_b32_e32 v30, 1.0, v27, vcc_lo
	v_cvt_f64_f32_e64 v[27:28], |v30|
	v_cmp_lt_f32_e64 s27, |v30|, 1.0
	v_cmp_eq_f32_e64 s6, 0, v30
	s_xor_b32 s26, s26, s27
	v_frexp_exp_i32_f64_e32 v27, v[27:28]
	v_frexp_mant_f32_e64 v28, |v30|
	v_cmp_gt_f32_e32 vcc_lo, 0x3f2aaaab, v28
	v_cndmask_b32_e64 v31, 1.0, 2.0, vcc_lo
	v_mul_f32_e32 v28, v28, v31
	v_add_f32_e32 v31, 1.0, v28
	v_add_f32_e32 v33, -1.0, v28
	v_subrev_co_ci_u32_e64 v27, null, 0, v27, vcc_lo
	v_rcp_f32_e32 v32, v31
	v_add_f32_e32 v35, -1.0, v31
	v_cvt_f32_i32_e32 v27, v27
	v_sub_f32_e32 v28, v28, v35
	v_mul_f32_e32 v34, v33, v32
	v_mul_f32_e32 v36, v31, v34
	v_fma_f32 v31, v34, v31, -v36
	v_fmac_f32_e32 v31, v34, v28
	v_add_f32_e32 v28, v36, v31
	v_sub_f32_e32 v35, v33, v28
	v_sub_f32_e32 v36, v28, v36
	;; [unrolled: 1-line block ×5, first 2 shown]
	v_add_f32_e32 v28, v31, v28
	v_add_f32_e32 v28, v35, v28
	v_mul_f32_e32 v28, v32, v28
	v_add_f32_e32 v31, v34, v28
	v_sub_f32_e32 v32, v31, v34
	v_mul_f32_e32 v33, v31, v31
	v_sub_f32_e32 v28, v28, v32
	v_fma_f32 v32, v31, v31, -v33
	v_add_f32_e32 v34, v28, v28
	v_fmac_f32_e32 v32, v31, v34
	v_add_f32_e32 v34, v33, v32
	v_fmaak_f32 v35, s24, v34, 0x3e91f4c4
	v_sub_f32_e32 v33, v34, v33
	v_mul_f32_e32 v38, v31, v34
	v_fmaak_f32 v35, v34, v35, 0x3ecccdef
	v_sub_f32_e32 v32, v32, v33
	v_fma_f32 v39, v34, v31, -v38
	v_mul_f32_e32 v36, v34, v35
	v_fmac_f32_e32 v39, v34, v28
	v_ldexp_f32 v28, v28, 1
	v_fma_f32 v33, v34, v35, -v36
	v_fmac_f32_e32 v39, v32, v31
	v_ldexp_f32 v31, v31, 1
	v_fmac_f32_e32 v33, v32, v35
	v_add_f32_e32 v34, v38, v39
	v_add_f32_e32 v35, v36, v33
	v_sub_f32_e32 v36, v35, v36
	v_add_f32_e32 v37, 0x3f2aaaaa, v35
	v_sub_f32_e32 v33, v33, v36
	v_add_f32_e32 v36, 0xbf2aaaaa, v37
	v_add_f32_e32 v33, 0x31739010, v33
	v_sub_f32_e32 v35, v35, v36
	v_add_f32_e32 v33, v33, v35
	v_add_f32_e32 v32, v37, v33
	v_sub_f32_e32 v35, v37, v32
	v_mul_f32_e32 v36, v34, v32
	v_sub_f32_e32 v37, v34, v38
	v_add_f32_e32 v33, v33, v35
	v_fma_f32 v35, v34, v32, -v36
	v_sub_f32_e32 v37, v39, v37
	v_fmac_f32_e32 v35, v34, v33
	v_fmac_f32_e32 v35, v37, v32
	v_add_f32_e32 v32, v36, v35
	v_sub_f32_e32 v33, v32, v36
	v_add_f32_e32 v34, v31, v32
	v_mul_f32_e32 v36, 0x3f317218, v27
	v_sub_f32_e32 v33, v35, v33
	v_sub_f32_e32 v31, v34, v31
	v_fma_f32 v35, 0x3f317218, v27, -v36
	v_add_f32_e32 v28, v28, v33
	v_sub_f32_e32 v31, v32, v31
	v_fmac_f32_e32 v35, 0xb102e308, v27
	v_add_f32_e32 v27, v28, v31
	v_add_f32_e32 v28, v36, v35
	;; [unrolled: 1-line block ×3, first 2 shown]
	v_sub_f32_e32 v36, v28, v36
	v_add_f32_e32 v32, v28, v31
	v_sub_f32_e32 v34, v31, v34
	v_sub_f32_e32 v35, v35, v36
	v_sub_f32_e32 v33, v32, v28
	v_sub_f32_e32 v27, v27, v34
	v_sub_f32_e32 v37, v32, v33
	v_sub_f32_e32 v31, v31, v33
	v_add_f32_e32 v33, v35, v27
	v_sub_f32_e32 v28, v28, v37
	v_add_f32_e32 v28, v31, v28
	v_sub_f32_e32 v31, v33, v35
	;; [unrolled: 2-line block ×3, first 2 shown]
	v_sub_f32_e32 v27, v27, v31
	v_add_f32_e32 v34, v32, v28
	v_sub_f32_e32 v31, v35, v33
	v_sub_f32_e32 v32, v34, v32
	v_add_f32_e32 v27, v27, v31
	v_sub_f32_e32 v28, v28, v32
	v_add_f32_e32 v27, v27, v28
	v_add_f32_e32 v28, v34, v27
	v_sub_f32_e32 v31, v28, v34
	v_mul_f32_e32 v32, v29, v28
	v_sub_f32_e32 v27, v27, v31
	v_fma_f32 v28, v29, v28, -v32
	v_cmp_class_f32_e64 vcc_lo, v32, 0x204
	v_fmac_f32_e32 v28, v29, v27
	v_add_f32_e32 v27, v32, v28
	v_cndmask_b32_e32 v31, v27, v32, vcc_lo
	v_sub_f32_e32 v27, v27, v32
	v_cmp_eq_f32_e32 vcc_lo, 0x42b17218, v31
	v_sub_f32_e32 v27, v28, v27
	v_trunc_f32_e32 v28, v29
	v_cndmask_b32_e64 v33, 0, 0x37000000, vcc_lo
	v_cmp_neq_f32_e64 vcc_lo, 0x7f800000, |v31|
	v_sub_f32_e32 v34, v31, v33
	v_cndmask_b32_e32 v27, 0, v27, vcc_lo
	v_mul_f32_e32 v35, 0x3fb8aa3b, v34
	v_cmp_ngt_f32_e32 vcc_lo, 0xc2ce8ed0, v34
	v_cmp_nlt_f32_e64 s3, 0x42b17218, v34
	v_add_f32_e32 v27, v33, v27
	v_fma_f32 v36, 0x3fb8aa3b, v34, -v35
	v_rndne_f32_e32 v37, v35
	v_fmac_f32_e32 v36, 0x32a5705f, v34
	v_sub_f32_e32 v35, v35, v37
	v_cvt_i32_f32_e32 v32, v37
	v_add_f32_e32 v35, v35, v36
	v_exp_f32_e32 v35, v35
	v_ldexp_f32 v32, v35, v32
	v_mul_f32_e32 v35, 0.5, v29
	v_cndmask_b32_e32 v31, 0, v32, vcc_lo
	v_trunc_f32_e32 v32, v35
	v_cmp_eq_f32_e32 vcc_lo, v28, v29
	v_cndmask_b32_e64 v28, 0x7f800000, v31, s3
	v_cmp_neq_f32_e64 s3, v32, v35
	v_fma_f32 v27, v28, v27, v28
	s_and_b32 s3, vcc_lo, s3
	v_cndmask_b32_e64 v31, 0, v30, s3
	v_cndmask_b32_e64 v32, 1.0, v30, s3
	v_cmp_class_f32_e64 s3, v28, 0x204
	v_cndmask_b32_e64 v27, v27, v28, s3
	v_cndmask_b32_e64 v28, 0x7f800000, 0, s26
	v_cmp_gt_f32_e64 s3, 0, v29
	v_bfi_b32 v27, 0x7fffffff, v27, v32
	s_xor_b32 s3, s3, s6
	v_cndmask_b32_e64 v33, 0x7f800000, 0, s3
	v_cndmask_b32_e32 v32, 0x7fc00000, v27, vcc_lo
	v_cmp_neq_f32_e64 vcc_lo, |v30|, 1.0
	v_cmp_class_f32_e64 s3, v30, 0x204
	v_bfi_b32 v31, 0x7fffffff, v33, v31
	v_cndmask_b32_e32 v28, 1.0, v28, vcc_lo
	v_cmp_gt_f32_e32 vcc_lo, 0, v30
	v_cndmask_b32_e32 v27, v27, v32, vcc_lo
	v_cmp_class_f32_e64 vcc_lo, v29, 0x204
	v_cndmask_b32_e32 v27, v27, v28, vcc_lo
	s_or_b32 vcc_lo, s6, s3
	v_cndmask_b32_e32 v27, v27, v31, vcc_lo
	v_cmp_o_f32_e32 vcc_lo, v30, v29
	v_cndmask_b32_e32 v27, 0x7fc00000, v27, vcc_lo
	v_bfe_u32 v28, v27, 16, 1
	v_cmp_o_f32_e32 vcc_lo, v27, v27
	v_add3_u32 v29, v27, v28, 0x7fff
	v_add_co_u32 v27, s3, v3, s8
	v_add_co_ci_u32_e64 v28, null, s9, v4, s3
	v_cndmask_b32_sdwa v29, v23, v29, vcc_lo dst_sel:DWORD dst_unused:UNUSED_PAD src0_sel:DWORD src1_sel:WORD_1
	global_store_short v[27:28], v29, off
	s_or_b32 exec_lo, exec_lo, s25
	s_and_saveexec_b32 s25, s2
	s_cbranch_execz .LBB95_13
.LBB95_17:                              ;   in Loop: Header=BB95_4 Depth=1
	v_cmp_neq_f32_e32 vcc_lo, 1.0, v26
	v_cndmask_b32_e64 v28, 1.0, s22, vcc_lo
	v_cmp_neq_f32_e32 vcc_lo, 0, v28
	v_cmp_neq_f32_e64 s26, v28, |v28|
	v_cndmask_b32_e32 v29, 1.0, v26, vcc_lo
	v_frexp_mant_f32_e64 v26, |v29|
	v_cmp_lt_f32_e64 s27, |v29|, 1.0
	v_cmp_eq_f32_e64 s6, 0, v29
	v_cmp_gt_f32_e32 vcc_lo, 0x3f2aaaab, v26
	s_xor_b32 s26, s26, s27
	v_cndmask_b32_e64 v27, 1.0, 2.0, vcc_lo
	v_mul_f32_e32 v26, v26, v27
	v_add_f32_e32 v27, 1.0, v26
	v_add_f32_e32 v31, -1.0, v26
	v_rcp_f32_e32 v30, v27
	v_add_f32_e32 v33, -1.0, v27
	v_sub_f32_e32 v26, v26, v33
	v_mul_f32_e32 v32, v31, v30
	v_mul_f32_e32 v34, v27, v32
	v_fma_f32 v27, v32, v27, -v34
	v_fmac_f32_e32 v27, v32, v26
	v_add_f32_e32 v26, v34, v27
	v_sub_f32_e32 v33, v31, v26
	v_sub_f32_e32 v34, v26, v34
	;; [unrolled: 1-line block ×5, first 2 shown]
	v_add_f32_e32 v26, v27, v26
	v_add_f32_e32 v26, v33, v26
	v_mul_f32_e32 v26, v30, v26
	v_add_f32_e32 v30, v32, v26
	v_sub_f32_e32 v27, v30, v32
	v_mul_f32_e32 v31, v30, v30
	v_sub_f32_e32 v32, v26, v27
	v_fma_f32 v26, v30, v30, -v31
	v_add_f32_e32 v27, v32, v32
	v_fmac_f32_e32 v26, v30, v27
	v_add_f32_e32 v33, v31, v26
	v_fmaak_f32 v27, s24, v33, 0x3e91f4c4
	v_sub_f32_e32 v31, v33, v31
	v_mul_f32_e32 v38, v30, v33
	v_fmaak_f32 v27, v33, v27, 0x3ecccdef
	v_sub_f32_e32 v31, v26, v31
	v_fma_f32 v39, v33, v30, -v38
	v_mul_f32_e32 v34, v33, v27
	v_fmac_f32_e32 v39, v33, v32
	v_ldexp_f32 v32, v32, 1
	v_fma_f32 v35, v33, v27, -v34
	v_fmac_f32_e32 v39, v31, v30
	v_fmac_f32_e32 v35, v31, v27
	v_cvt_f64_f32_e64 v[26:27], |v29|
	v_add_f32_e32 v36, v34, v35
	v_sub_f32_e32 v34, v36, v34
	v_add_f32_e32 v37, 0x3f2aaaaa, v36
	v_sub_f32_e32 v34, v35, v34
	v_add_f32_e32 v35, 0xbf2aaaaa, v37
	v_add_f32_e32 v34, 0x31739010, v34
	v_sub_f32_e32 v35, v36, v35
	v_frexp_exp_i32_f64_e32 v26, v[26:27]
	v_add_f32_e32 v33, v34, v35
	v_add_f32_e32 v34, v38, v39
	;; [unrolled: 1-line block ×3, first 2 shown]
	v_sub_f32_e32 v36, v34, v38
	v_sub_f32_e32 v27, v37, v31
	v_mul_f32_e32 v35, v34, v31
	v_sub_f32_e32 v36, v39, v36
	v_add_f32_e32 v27, v33, v27
	v_fma_f32 v33, v34, v31, -v35
	v_subrev_co_ci_u32_e64 v26, null, 0, v26, vcc_lo
	v_fmac_f32_e32 v33, v34, v27
	v_ldexp_f32 v27, v30, 1
	v_cvt_f32_i32_e32 v26, v26
	v_fmac_f32_e32 v33, v36, v31
	v_add_f32_e32 v30, v35, v33
	v_add_f32_e32 v31, v27, v30
	v_sub_f32_e32 v34, v30, v35
	v_mul_f32_e32 v35, 0x3f317218, v26
	v_sub_f32_e32 v27, v31, v27
	v_sub_f32_e32 v33, v33, v34
	v_fma_f32 v34, 0x3f317218, v26, -v35
	v_sub_f32_e32 v27, v30, v27
	v_add_f32_e32 v30, v32, v33
	v_fmac_f32_e32 v34, 0xb102e308, v26
	v_add_f32_e32 v26, v30, v27
	v_add_f32_e32 v27, v35, v34
	;; [unrolled: 1-line block ×3, first 2 shown]
	v_sub_f32_e32 v35, v27, v35
	v_add_f32_e32 v32, v27, v30
	v_sub_f32_e32 v31, v30, v31
	v_sub_f32_e32 v34, v34, v35
	;; [unrolled: 1-line block ×6, first 2 shown]
	v_add_f32_e32 v31, v34, v26
	v_sub_f32_e32 v27, v27, v36
	v_add_f32_e32 v27, v30, v27
	v_sub_f32_e32 v30, v31, v34
	;; [unrolled: 2-line block ×3, first 2 shown]
	v_sub_f32_e32 v26, v26, v30
	v_add_f32_e32 v33, v32, v27
	v_sub_f32_e32 v30, v34, v31
	v_sub_f32_e32 v31, v33, v32
	v_add_f32_e32 v26, v26, v30
	v_sub_f32_e32 v27, v27, v31
	v_add_f32_e32 v26, v26, v27
	v_add_f32_e32 v27, v33, v26
	v_sub_f32_e32 v30, v27, v33
	v_mul_f32_e32 v31, v28, v27
	v_sub_f32_e32 v26, v26, v30
	v_fma_f32 v27, v28, v27, -v31
	v_cmp_class_f32_e64 vcc_lo, v31, 0x204
	v_fmac_f32_e32 v27, v28, v26
	v_add_f32_e32 v26, v31, v27
	v_cndmask_b32_e32 v30, v26, v31, vcc_lo
	v_sub_f32_e32 v26, v26, v31
	v_cmp_eq_f32_e32 vcc_lo, 0x42b17218, v30
	v_sub_f32_e32 v26, v27, v26
	v_cndmask_b32_e64 v32, 0, 0x37000000, vcc_lo
	v_cmp_neq_f32_e64 vcc_lo, 0x7f800000, |v30|
	v_sub_f32_e32 v33, v30, v32
	v_cndmask_b32_e32 v26, 0, v26, vcc_lo
	v_trunc_f32_e32 v30, v28
	v_mul_f32_e32 v34, 0x3fb8aa3b, v33
	v_cmp_ngt_f32_e32 vcc_lo, 0xc2ce8ed0, v33
	v_add_f32_e32 v26, v32, v26
	v_fma_f32 v35, 0x3fb8aa3b, v33, -v34
	v_rndne_f32_e32 v36, v34
	v_fmac_f32_e32 v35, 0x32a5705f, v33
	v_sub_f32_e32 v34, v34, v36
	v_cvt_i32_f32_e32 v31, v36
	v_add_f32_e32 v34, v34, v35
	v_exp_f32_e32 v34, v34
	v_ldexp_f32 v27, v34, v31
	v_mul_f32_e32 v31, 0.5, v28
	v_cndmask_b32_e32 v27, 0, v27, vcc_lo
	v_cmp_nlt_f32_e32 vcc_lo, 0x42b17218, v33
	v_trunc_f32_e32 v34, v31
	v_cndmask_b32_e32 v27, 0x7f800000, v27, vcc_lo
	v_cmp_eq_f32_e32 vcc_lo, v30, v28
	v_cmp_neq_f32_e64 s2, v34, v31
	v_fma_f32 v26, v27, v26, v27
	v_cmp_class_f32_e64 s3, v27, 0x204
	s_and_b32 s2, vcc_lo, s2
	v_cndmask_b32_e64 v30, 1.0, v29, s2
	v_cndmask_b32_e64 v32, 0, v29, s2
	v_cndmask_b32_e64 v26, v26, v27, s3
	;; [unrolled: 1-line block ×3, first 2 shown]
	v_cmp_gt_f32_e64 s3, 0, v28
	v_cmp_class_f32_e64 s2, v29, 0x204
	v_bfi_b32 v26, 0x7fffffff, v26, v30
	s_xor_b32 s3, s3, s6
	v_cndmask_b32_e64 v30, 0x7f800000, 0, s3
	v_cndmask_b32_e32 v31, 0x7fc00000, v26, vcc_lo
	v_cmp_neq_f32_e64 vcc_lo, |v29|, 1.0
	v_bfi_b32 v30, 0x7fffffff, v30, v32
	v_cndmask_b32_e32 v27, 1.0, v27, vcc_lo
	v_cmp_gt_f32_e32 vcc_lo, 0, v29
	v_cndmask_b32_e32 v26, v26, v31, vcc_lo
	v_cmp_class_f32_e64 vcc_lo, v28, 0x204
	v_cndmask_b32_e32 v26, v26, v27, vcc_lo
	s_or_b32 vcc_lo, s6, s2
	v_cndmask_b32_e32 v26, v26, v30, vcc_lo
	v_cmp_o_f32_e32 vcc_lo, v29, v28
	v_cndmask_b32_e32 v26, 0x7fc00000, v26, vcc_lo
	v_bfe_u32 v27, v26, 16, 1
	v_cmp_o_f32_e32 vcc_lo, v26, v26
	v_add3_u32 v26, v26, v27, 0x7fff
	v_cndmask_b32_sdwa v28, v23, v26, vcc_lo dst_sel:DWORD dst_unused:UNUSED_PAD src0_sel:DWORD src1_sel:WORD_1
	v_add_co_u32 v26, vcc_lo, v21, s8
	v_add_co_ci_u32_e64 v27, null, s9, v22, vcc_lo
	global_store_short v[26:27], v28, off
	s_or_b32 exec_lo, exec_lo, s25
	s_and_saveexec_b32 s6, s1
	s_cbranch_execz .LBB95_14
.LBB95_18:                              ;   in Loop: Header=BB95_4 Depth=1
	v_cmp_neq_f32_e32 vcc_lo, 1.0, v25
	v_cndmask_b32_e64 v27, 1.0, s22, vcc_lo
	v_cmp_neq_f32_e32 vcc_lo, 0, v27
	v_cmp_neq_f32_e64 s25, v27, |v27|
	v_cndmask_b32_e32 v28, 1.0, v25, vcc_lo
	v_frexp_mant_f32_e64 v25, |v28|
	v_cmp_lt_f32_e64 s26, |v28|, 1.0
	v_cmp_eq_f32_e64 s3, 0, v28
	v_cmp_gt_f32_e32 vcc_lo, 0x3f2aaaab, v25
	s_xor_b32 s25, s25, s26
	v_cndmask_b32_e64 v26, 1.0, 2.0, vcc_lo
	v_mul_f32_e32 v25, v25, v26
	v_add_f32_e32 v26, 1.0, v25
	v_add_f32_e32 v30, -1.0, v25
	v_rcp_f32_e32 v29, v26
	v_add_f32_e32 v32, -1.0, v26
	v_sub_f32_e32 v25, v25, v32
	v_mul_f32_e32 v31, v30, v29
	v_mul_f32_e32 v33, v26, v31
	v_fma_f32 v26, v31, v26, -v33
	v_fmac_f32_e32 v26, v31, v25
	v_add_f32_e32 v25, v33, v26
	v_sub_f32_e32 v32, v30, v25
	v_sub_f32_e32 v33, v25, v33
	;; [unrolled: 1-line block ×5, first 2 shown]
	v_add_f32_e32 v25, v26, v25
	v_add_f32_e32 v25, v32, v25
	v_mul_f32_e32 v25, v29, v25
	v_add_f32_e32 v29, v31, v25
	v_sub_f32_e32 v26, v29, v31
	v_mul_f32_e32 v30, v29, v29
	v_sub_f32_e32 v31, v25, v26
	v_fma_f32 v25, v29, v29, -v30
	v_add_f32_e32 v26, v31, v31
	v_fmac_f32_e32 v25, v29, v26
	v_add_f32_e32 v32, v30, v25
	v_fmaak_f32 v26, s24, v32, 0x3e91f4c4
	v_sub_f32_e32 v30, v32, v30
	v_mul_f32_e32 v37, v29, v32
	v_fmaak_f32 v26, v32, v26, 0x3ecccdef
	v_sub_f32_e32 v30, v25, v30
	v_fma_f32 v38, v32, v29, -v37
	v_mul_f32_e32 v33, v32, v26
	v_fmac_f32_e32 v38, v32, v31
	v_ldexp_f32 v31, v31, 1
	v_fma_f32 v34, v32, v26, -v33
	v_fmac_f32_e32 v38, v30, v29
	v_fmac_f32_e32 v34, v30, v26
	v_cvt_f64_f32_e64 v[25:26], |v28|
	v_add_f32_e32 v35, v33, v34
	v_sub_f32_e32 v33, v35, v33
	v_add_f32_e32 v36, 0x3f2aaaaa, v35
	v_sub_f32_e32 v33, v34, v33
	v_add_f32_e32 v34, 0xbf2aaaaa, v36
	v_add_f32_e32 v33, 0x31739010, v33
	v_sub_f32_e32 v34, v35, v34
	v_frexp_exp_i32_f64_e32 v25, v[25:26]
	v_add_f32_e32 v32, v33, v34
	v_add_f32_e32 v33, v37, v38
	;; [unrolled: 1-line block ×3, first 2 shown]
	v_sub_f32_e32 v35, v33, v37
	v_sub_f32_e32 v26, v36, v30
	v_mul_f32_e32 v34, v33, v30
	v_sub_f32_e32 v35, v38, v35
	v_add_f32_e32 v26, v32, v26
	v_fma_f32 v32, v33, v30, -v34
	v_subrev_co_ci_u32_e64 v25, null, 0, v25, vcc_lo
	v_fmac_f32_e32 v32, v33, v26
	v_ldexp_f32 v26, v29, 1
	v_cvt_f32_i32_e32 v25, v25
	v_fmac_f32_e32 v32, v35, v30
	v_add_f32_e32 v29, v34, v32
	v_add_f32_e32 v30, v26, v29
	v_sub_f32_e32 v33, v29, v34
	v_mul_f32_e32 v34, 0x3f317218, v25
	v_sub_f32_e32 v26, v30, v26
	v_sub_f32_e32 v32, v32, v33
	v_fma_f32 v33, 0x3f317218, v25, -v34
	v_sub_f32_e32 v26, v29, v26
	v_add_f32_e32 v29, v31, v32
	v_fmac_f32_e32 v33, 0xb102e308, v25
	v_add_f32_e32 v25, v29, v26
	v_add_f32_e32 v26, v34, v33
	v_add_f32_e32 v29, v30, v25
	v_sub_f32_e32 v34, v26, v34
	v_add_f32_e32 v31, v26, v29
	v_sub_f32_e32 v30, v29, v30
	v_sub_f32_e32 v33, v33, v34
	;; [unrolled: 1-line block ×6, first 2 shown]
	v_add_f32_e32 v30, v33, v25
	v_sub_f32_e32 v26, v26, v35
	v_add_f32_e32 v26, v29, v26
	v_sub_f32_e32 v29, v30, v33
	v_add_f32_e32 v26, v30, v26
	v_sub_f32_e32 v30, v30, v29
	v_sub_f32_e32 v25, v25, v29
	v_add_f32_e32 v32, v31, v26
	v_sub_f32_e32 v29, v33, v30
	v_sub_f32_e32 v30, v32, v31
	v_add_f32_e32 v25, v25, v29
	v_sub_f32_e32 v26, v26, v30
	v_add_f32_e32 v25, v25, v26
	v_add_f32_e32 v26, v32, v25
	v_sub_f32_e32 v29, v26, v32
	v_mul_f32_e32 v30, v27, v26
	v_sub_f32_e32 v25, v25, v29
	v_fma_f32 v26, v27, v26, -v30
	v_cmp_class_f32_e64 vcc_lo, v30, 0x204
	v_fmac_f32_e32 v26, v27, v25
	v_add_f32_e32 v25, v30, v26
	v_cndmask_b32_e32 v29, v25, v30, vcc_lo
	v_sub_f32_e32 v25, v25, v30
	v_cmp_eq_f32_e32 vcc_lo, 0x42b17218, v29
	v_sub_f32_e32 v25, v26, v25
	v_cndmask_b32_e64 v31, 0, 0x37000000, vcc_lo
	v_cmp_neq_f32_e64 vcc_lo, 0x7f800000, |v29|
	v_sub_f32_e32 v32, v29, v31
	v_cndmask_b32_e32 v25, 0, v25, vcc_lo
	v_trunc_f32_e32 v29, v27
	v_mul_f32_e32 v33, 0x3fb8aa3b, v32
	v_cmp_ngt_f32_e32 vcc_lo, 0xc2ce8ed0, v32
	v_add_f32_e32 v25, v31, v25
	v_fma_f32 v34, 0x3fb8aa3b, v32, -v33
	v_rndne_f32_e32 v35, v33
	v_fmac_f32_e32 v34, 0x32a5705f, v32
	v_sub_f32_e32 v33, v33, v35
	v_cvt_i32_f32_e32 v30, v35
	v_add_f32_e32 v33, v33, v34
	v_exp_f32_e32 v33, v33
	v_ldexp_f32 v26, v33, v30
	v_mul_f32_e32 v30, 0.5, v27
	v_cndmask_b32_e32 v26, 0, v26, vcc_lo
	v_cmp_nlt_f32_e32 vcc_lo, 0x42b17218, v32
	v_trunc_f32_e32 v33, v30
	v_cndmask_b32_e32 v26, 0x7f800000, v26, vcc_lo
	v_cmp_eq_f32_e32 vcc_lo, v29, v27
	v_cmp_neq_f32_e64 s1, v33, v30
	v_fma_f32 v25, v26, v25, v26
	v_cmp_class_f32_e64 s2, v26, 0x204
	s_and_b32 s1, vcc_lo, s1
	v_cndmask_b32_e64 v29, 1.0, v28, s1
	v_cndmask_b32_e64 v31, 0, v28, s1
	v_cndmask_b32_e64 v25, v25, v26, s2
	;; [unrolled: 1-line block ×3, first 2 shown]
	v_cmp_gt_f32_e64 s2, 0, v27
	v_cmp_class_f32_e64 s1, v28, 0x204
	v_bfi_b32 v25, 0x7fffffff, v25, v29
	s_xor_b32 s2, s2, s3
	v_cndmask_b32_e64 v29, 0x7f800000, 0, s2
	v_cndmask_b32_e32 v30, 0x7fc00000, v25, vcc_lo
	v_cmp_neq_f32_e64 vcc_lo, |v28|, 1.0
	v_bfi_b32 v29, 0x7fffffff, v29, v31
	v_cndmask_b32_e32 v26, 1.0, v26, vcc_lo
	v_cmp_gt_f32_e32 vcc_lo, 0, v28
	v_cndmask_b32_e32 v25, v25, v30, vcc_lo
	v_cmp_class_f32_e64 vcc_lo, v27, 0x204
	v_cndmask_b32_e32 v25, v25, v26, vcc_lo
	s_or_b32 vcc_lo, s3, s1
	v_cndmask_b32_e32 v25, v25, v29, vcc_lo
	v_cmp_o_f32_e32 vcc_lo, v28, v27
	v_cndmask_b32_e32 v25, 0x7fc00000, v25, vcc_lo
	v_bfe_u32 v26, v25, 16, 1
	v_cmp_o_f32_e32 vcc_lo, v25, v25
	v_add3_u32 v25, v25, v26, 0x7fff
	v_cndmask_b32_sdwa v27, v23, v25, vcc_lo dst_sel:DWORD dst_unused:UNUSED_PAD src0_sel:DWORD src1_sel:WORD_1
	v_add_co_u32 v25, vcc_lo, v14, s8
	v_add_co_ci_u32_e64 v26, null, s9, v15, vcc_lo
	global_store_short v[25:26], v27, off
	s_or_b32 exec_lo, exec_lo, s6
	s_and_saveexec_b32 s3, s0
	s_cbranch_execz .LBB95_3
.LBB95_19:                              ;   in Loop: Header=BB95_4 Depth=1
	v_cmp_neq_f32_e32 vcc_lo, 1.0, v24
	v_cndmask_b32_e64 v26, 1.0, s22, vcc_lo
	v_cmp_neq_f32_e32 vcc_lo, 0, v26
	v_cmp_neq_f32_e64 s6, v26, |v26|
	v_cndmask_b32_e32 v27, 1.0, v24, vcc_lo
	v_frexp_mant_f32_e64 v24, |v27|
	v_cmp_lt_f32_e64 s25, |v27|, 1.0
	v_cmp_eq_f32_e64 s2, 0, v27
	v_cmp_gt_f32_e32 vcc_lo, 0x3f2aaaab, v24
	s_xor_b32 s6, s6, s25
	v_cndmask_b32_e64 v25, 1.0, 2.0, vcc_lo
	v_mul_f32_e32 v24, v24, v25
	v_add_f32_e32 v25, 1.0, v24
	v_add_f32_e32 v29, -1.0, v24
	v_rcp_f32_e32 v28, v25
	v_add_f32_e32 v31, -1.0, v25
	v_sub_f32_e32 v24, v24, v31
	v_mul_f32_e32 v30, v29, v28
	v_mul_f32_e32 v32, v25, v30
	v_fma_f32 v25, v30, v25, -v32
	v_fmac_f32_e32 v25, v30, v24
	v_add_f32_e32 v24, v32, v25
	v_sub_f32_e32 v31, v29, v24
	v_sub_f32_e32 v32, v24, v32
	;; [unrolled: 1-line block ×5, first 2 shown]
	v_add_f32_e32 v24, v25, v24
	v_add_f32_e32 v24, v31, v24
	v_mul_f32_e32 v24, v28, v24
	v_add_f32_e32 v28, v30, v24
	v_sub_f32_e32 v25, v28, v30
	v_mul_f32_e32 v29, v28, v28
	v_sub_f32_e32 v30, v24, v25
	v_fma_f32 v24, v28, v28, -v29
	v_add_f32_e32 v25, v30, v30
	v_fmac_f32_e32 v24, v28, v25
	v_add_f32_e32 v31, v29, v24
	v_fmaak_f32 v25, s24, v31, 0x3e91f4c4
	v_sub_f32_e32 v29, v31, v29
	v_mul_f32_e32 v36, v28, v31
	v_fmaak_f32 v25, v31, v25, 0x3ecccdef
	v_sub_f32_e32 v29, v24, v29
	v_fma_f32 v37, v31, v28, -v36
	v_mul_f32_e32 v32, v31, v25
	v_fmac_f32_e32 v37, v31, v30
	v_ldexp_f32 v30, v30, 1
	v_fma_f32 v33, v31, v25, -v32
	v_fmac_f32_e32 v37, v29, v28
	v_fmac_f32_e32 v33, v29, v25
	v_cvt_f64_f32_e64 v[24:25], |v27|
	v_add_f32_e32 v34, v32, v33
	v_sub_f32_e32 v32, v34, v32
	v_add_f32_e32 v35, 0x3f2aaaaa, v34
	v_sub_f32_e32 v32, v33, v32
	v_add_f32_e32 v33, 0xbf2aaaaa, v35
	v_add_f32_e32 v32, 0x31739010, v32
	v_sub_f32_e32 v33, v34, v33
	v_frexp_exp_i32_f64_e32 v24, v[24:25]
	v_add_f32_e32 v31, v32, v33
	v_add_f32_e32 v32, v36, v37
	;; [unrolled: 1-line block ×3, first 2 shown]
	v_sub_f32_e32 v34, v32, v36
	v_sub_f32_e32 v25, v35, v29
	v_mul_f32_e32 v33, v32, v29
	v_sub_f32_e32 v34, v37, v34
	v_add_f32_e32 v25, v31, v25
	v_fma_f32 v31, v32, v29, -v33
	v_subrev_co_ci_u32_e64 v24, null, 0, v24, vcc_lo
	v_fmac_f32_e32 v31, v32, v25
	v_ldexp_f32 v25, v28, 1
	v_cvt_f32_i32_e32 v24, v24
	v_fmac_f32_e32 v31, v34, v29
	v_add_f32_e32 v28, v33, v31
	v_add_f32_e32 v29, v25, v28
	v_sub_f32_e32 v32, v28, v33
	v_mul_f32_e32 v33, 0x3f317218, v24
	v_sub_f32_e32 v25, v29, v25
	v_sub_f32_e32 v31, v31, v32
	v_fma_f32 v32, 0x3f317218, v24, -v33
	v_sub_f32_e32 v25, v28, v25
	v_add_f32_e32 v28, v30, v31
	v_fmac_f32_e32 v32, 0xb102e308, v24
	v_add_f32_e32 v24, v28, v25
	v_add_f32_e32 v25, v33, v32
	;; [unrolled: 1-line block ×3, first 2 shown]
	v_sub_f32_e32 v33, v25, v33
	v_add_f32_e32 v30, v25, v28
	v_sub_f32_e32 v29, v28, v29
	v_sub_f32_e32 v32, v32, v33
	;; [unrolled: 1-line block ×6, first 2 shown]
	v_add_f32_e32 v29, v32, v24
	v_sub_f32_e32 v25, v25, v34
	v_add_f32_e32 v25, v28, v25
	v_sub_f32_e32 v28, v29, v32
	;; [unrolled: 2-line block ×3, first 2 shown]
	v_sub_f32_e32 v24, v24, v28
	v_add_f32_e32 v31, v30, v25
	v_sub_f32_e32 v28, v32, v29
	v_sub_f32_e32 v29, v31, v30
	v_add_f32_e32 v24, v24, v28
	v_sub_f32_e32 v25, v25, v29
	v_add_f32_e32 v24, v24, v25
	v_add_f32_e32 v25, v31, v24
	v_sub_f32_e32 v28, v25, v31
	v_mul_f32_e32 v29, v26, v25
	v_sub_f32_e32 v24, v24, v28
	v_fma_f32 v25, v26, v25, -v29
	v_cmp_class_f32_e64 vcc_lo, v29, 0x204
	v_fmac_f32_e32 v25, v26, v24
	v_add_f32_e32 v24, v29, v25
	v_cndmask_b32_e32 v28, v24, v29, vcc_lo
	v_sub_f32_e32 v24, v24, v29
	v_cmp_eq_f32_e32 vcc_lo, 0x42b17218, v28
	v_sub_f32_e32 v24, v25, v24
	v_cndmask_b32_e64 v30, 0, 0x37000000, vcc_lo
	v_cmp_neq_f32_e64 vcc_lo, 0x7f800000, |v28|
	v_sub_f32_e32 v31, v28, v30
	v_cndmask_b32_e32 v24, 0, v24, vcc_lo
	v_trunc_f32_e32 v28, v26
	v_mul_f32_e32 v32, 0x3fb8aa3b, v31
	v_cmp_ngt_f32_e32 vcc_lo, 0xc2ce8ed0, v31
	v_add_f32_e32 v24, v30, v24
	v_fma_f32 v33, 0x3fb8aa3b, v31, -v32
	v_rndne_f32_e32 v34, v32
	v_fmac_f32_e32 v33, 0x32a5705f, v31
	v_sub_f32_e32 v32, v32, v34
	v_cvt_i32_f32_e32 v29, v34
	v_add_f32_e32 v32, v32, v33
	v_exp_f32_e32 v32, v32
	v_ldexp_f32 v25, v32, v29
	v_mul_f32_e32 v29, 0.5, v26
	v_cndmask_b32_e32 v25, 0, v25, vcc_lo
	v_cmp_nlt_f32_e32 vcc_lo, 0x42b17218, v31
	v_trunc_f32_e32 v32, v29
	v_cndmask_b32_e32 v25, 0x7f800000, v25, vcc_lo
	v_cmp_eq_f32_e32 vcc_lo, v28, v26
	v_cmp_neq_f32_e64 s0, v32, v29
	v_fma_f32 v24, v25, v24, v25
	v_cmp_class_f32_e64 s1, v25, 0x204
	s_and_b32 s0, vcc_lo, s0
	v_cndmask_b32_e64 v28, 1.0, v27, s0
	v_cndmask_b32_e64 v30, 0, v27, s0
	v_cndmask_b32_e64 v24, v24, v25, s1
	;; [unrolled: 1-line block ×3, first 2 shown]
	v_cmp_gt_f32_e64 s1, 0, v26
	v_cmp_class_f32_e64 s0, v27, 0x204
	v_bfi_b32 v24, 0x7fffffff, v24, v28
	s_xor_b32 s1, s1, s2
	v_cndmask_b32_e64 v28, 0x7f800000, 0, s1
	v_cndmask_b32_e32 v29, 0x7fc00000, v24, vcc_lo
	v_cmp_neq_f32_e64 vcc_lo, |v27|, 1.0
	v_bfi_b32 v28, 0x7fffffff, v28, v30
	v_cndmask_b32_e32 v25, 1.0, v25, vcc_lo
	v_cmp_gt_f32_e32 vcc_lo, 0, v27
	v_cndmask_b32_e32 v24, v24, v29, vcc_lo
	v_cmp_class_f32_e64 vcc_lo, v26, 0x204
	v_cndmask_b32_e32 v24, v24, v25, vcc_lo
	s_or_b32 vcc_lo, s2, s0
	v_cndmask_b32_e32 v24, v24, v28, vcc_lo
	v_cmp_o_f32_e32 vcc_lo, v27, v26
	v_cndmask_b32_e32 v24, 0x7fc00000, v24, vcc_lo
	v_bfe_u32 v25, v24, 16, 1
	v_cmp_o_f32_e32 vcc_lo, v24, v24
	v_add3_u32 v24, v24, v25, 0x7fff
	v_cndmask_b32_sdwa v26, v23, v24, vcc_lo dst_sel:DWORD dst_unused:UNUSED_PAD src0_sel:DWORD src1_sel:WORD_1
	v_add_co_u32 v24, vcc_lo, v7, s8
	v_add_co_ci_u32_e64 v25, null, s9, v8, vcc_lo
	global_store_short v[24:25], v26, off
	s_branch .LBB95_3
.LBB95_20:
	s_mov_b32 s0, 0
.LBB95_21:
	s_andn2_b32 vcc_lo, exec_lo, s0
	s_cbranch_vccnz .LBB95_25
; %bb.22:
	v_cmp_gt_i64_e64 s0, 0x10000, s[10:11]
	v_mov_b32_e32 v2, 0
	v_lshlrev_b32_e32 v1, 2, v0
	s_mov_b32 s23, 0
	s_and_b32 s0, s0, exec_lo
	s_cselect_b32 s21, s11, 0
	s_cselect_b32 s20, s10, 0x10000
	s_mov_b32 s0, exec_lo
	v_cmpx_gt_i64_e64 s[20:21], v[1:2]
	s_cbranch_execz .LBB95_25
; %bb.23:
	s_load_dword s0, s[4:5], 0xd54
	v_lshlrev_b32_e32 v3, 3, v0
	v_mov_b32_e32 v1, v2
	s_mov_b32 s26, 0x3e76c4e1
	v_add_co_u32 v6, s1, s8, v3
	v_add_co_ci_u32_e64 v7, null, s9, 0, s1
	s_waitcnt lgkmcnt(0)
	s_and_b32 s24, s0, 0xffff
	s_lshl_b32 s25, s24, 3
.LBB95_24:                              ; =>This Inner Loop Header: Depth=1
	v_add_co_u32 v2, vcc_lo, s16, v6
	v_add_co_ci_u32_e64 v3, null, s17, v7, vcc_lo
	v_add_co_u32 v4, vcc_lo, s18, v6
	v_add_co_ci_u32_e64 v5, null, s19, v7, vcc_lo
	global_load_dwordx2 v[2:3], v[2:3], off
	v_add_co_u32 v0, vcc_lo, v0, s24
	v_add_co_ci_u32_e64 v1, null, 0, v1, vcc_lo
	s_waitcnt vmcnt(0)
	v_lshlrev_b32_e32 v8, 16, v2
	v_and_b32_e32 v10, 0xffff0000, v2
	v_alignbit_b32 v11, v3, v2, 16
	v_and_b32_e32 v12, 0xffff0000, v3
	v_cmp_neq_f32_e32 vcc_lo, 1.0, v8
	v_and_b32_e32 v13, 0xffff0000, v11
	v_cndmask_b32_e64 v2, 1.0, s22, vcc_lo
	v_cmp_neq_f32_e32 vcc_lo, 1.0, v10
	v_trunc_f32_e32 v14, v2
	v_cndmask_b32_e64 v9, 1.0, s22, vcc_lo
	v_cmp_neq_f32_e32 vcc_lo, 1.0, v12
	v_mul_f32_e32 v15, 0.5, v2
	v_cmp_gt_f32_e64 s4, 0, v2
	v_cmp_eq_f32_e64 s2, v14, v2
	v_trunc_f32_e32 v16, v9
	v_cndmask_b32_e64 v3, 1.0, s22, vcc_lo
	v_cmp_neq_f32_e32 vcc_lo, 0, v2
	v_mul_f32_e32 v17, 0.5, v9
	v_cmp_gt_f32_e64 s6, 0, v9
	v_trunc_f32_e32 v14, v15
	v_trunc_f32_e32 v18, v3
	v_cndmask_b32_e32 v8, 1.0, v8, vcc_lo
	v_cmp_neq_f32_e32 vcc_lo, 0, v9
	v_mul_f32_e32 v19, 0.5, v3
	v_cmp_eq_f32_e64 s3, v16, v9
	v_trunc_f32_e32 v16, v17
	v_frexp_mant_f32_e64 v20, |v8|
	v_cndmask_b32_e32 v11, 1.0, v10, vcc_lo
	v_cmp_neq_f32_e32 vcc_lo, 1.0, v13
	v_cvt_f64_f32_e64 v[22:23], |v8|
	v_cmp_gt_f32_e64 s7, 0, v3
	v_cmp_gt_f32_e64 s9, 0x3f2aaaab, v20
	v_cmp_eq_f32_e64 s0, 0, v11
	v_cndmask_b32_e64 v10, 1.0, s22, vcc_lo
	v_cmp_neq_f32_e32 vcc_lo, 0, v3
	v_frexp_mant_f32_e64 v21, |v11|
	v_cvt_f64_f32_e64 v[24:25], |v11|
	v_cmp_eq_f32_e64 s5, v18, v3
	v_cmp_neq_f32_e64 s1, 0, v10
	v_cndmask_b32_e32 v12, 1.0, v12, vcc_lo
	v_cmp_eq_f32_e32 vcc_lo, 0, v8
	v_trunc_f32_e32 v30, v10
	v_mul_f32_e32 v31, 0.5, v10
	v_cndmask_b32_e64 v13, 1.0, v13, s1
	v_frexp_mant_f32_e64 v32, |v12|
	s_xor_b32 s4, s4, vcc_lo
	v_trunc_f32_e32 v18, v19
	v_cmp_eq_f32_e64 s1, 0, v12
	v_cmp_neq_f32_e64 s10, v14, v15
	v_cndmask_b32_e64 v14, 0x7f800000, 0, s4
	s_xor_b32 s4, s6, s0
	v_cndmask_b32_e64 v33, 1.0, 2.0, s9
	v_cmp_gt_f32_e64 s11, 0x3f2aaaab, v21
	v_cmp_neq_f32_e64 s12, v16, v17
	v_frexp_mant_f32_e64 v34, |v13|
	v_cmp_gt_f32_e64 s13, 0x3f2aaaab, v32
	v_cmp_gt_f32_e64 s8, 0, v10
	v_cvt_f64_f32_e64 v[26:27], |v12|
	v_cndmask_b32_e64 v16, 0x7f800000, 0, s4
	v_cvt_f64_f32_e64 v[28:29], |v13|
	v_cmp_eq_f32_e64 s4, 0, v13
	v_cmp_eq_f32_e64 s6, v30, v10
	v_trunc_f32_e32 v30, v31
	v_cmp_neq_f32_e64 s14, v18, v19
	s_xor_b32 s7, s7, s1
	v_cndmask_b32_e64 v15, 1.0, 2.0, s11
	v_cndmask_b32_e64 v35, 1.0, 2.0, s13
	v_cndmask_b32_e64 v18, 0x7f800000, 0, s7
	v_mul_f32_e32 v33, v20, v33
	s_and_b32 s7, s2, s10
	s_and_b32 s10, s3, s12
	v_cmp_gt_f32_e64 s12, 0x3f2aaaab, v34
	s_xor_b32 s8, s8, s4
	v_cmp_neq_f32_e64 s15, v30, v31
	v_cndmask_b32_e64 v30, 0x7f800000, 0, s8
	s_and_b32 s8, s5, s14
	v_mul_f32_e32 v36, v21, v15
	v_cndmask_b32_e64 v15, 1.0, 2.0, s12
	v_mul_f32_e32 v31, v32, v35
	v_cndmask_b32_e64 v32, 0, v8, s7
	v_cndmask_b32_e64 v37, 0, v12, s8
	v_add_f32_e32 v39, 1.0, v33
	v_add_f32_e32 v41, 1.0, v36
	v_mul_f32_e32 v34, v34, v15
	v_bfi_b32 v15, 0x7fffffff, v14, v32
	v_bfi_b32 v14, 0x7fffffff, v18, v37
	v_rcp_f32_e32 v37, v39
	v_frexp_exp_i32_f64_e32 v22, v[22:23]
	v_frexp_exp_i32_f64_e32 v23, v[24:25]
	v_add_f32_e32 v38, -1.0, v33
	v_add_f32_e32 v43, 1.0, v31
	v_rcp_f32_e32 v45, v41
	v_add_f32_e32 v47, 1.0, v34
	v_cndmask_b32_e64 v17, 1.0, v8, s7
	s_and_b32 s7, s6, s15
	v_frexp_exp_i32_f64_e32 v24, v[26:27]
	v_frexp_exp_i32_f64_e32 v28, v[28:29]
	v_cndmask_b32_e64 v35, 0, v11, s10
	v_add_f32_e32 v40, -1.0, v36
	v_cndmask_b32_e64 v32, 0, v13, s7
	v_rcp_f32_e32 v49, v43
	v_add_f32_e32 v27, -1.0, v47
	v_mul_f32_e32 v29, v38, v37
	v_add_f32_e32 v42, -1.0, v31
	v_bfi_b32 v16, 0x7fffffff, v16, v35
	v_add_f32_e32 v35, -1.0, v39
	v_add_f32_e32 v46, -1.0, v34
	v_bfi_b32 v18, 0x7fffffff, v30, v32
	v_rcp_f32_e32 v30, v47
	v_mul_f32_e32 v32, v40, v45
	v_sub_f32_e32 v27, v34, v27
	v_mul_f32_e32 v34, v39, v29
	v_add_f32_e32 v44, -1.0, v41
	v_sub_f32_e32 v25, v33, v35
	v_mul_f32_e32 v33, v42, v49
	v_mul_f32_e32 v35, v41, v32
	v_fma_f32 v39, v29, v39, -v34
	v_add_f32_e32 v48, -1.0, v43
	v_sub_f32_e32 v26, v36, v44
	v_mul_f32_e32 v36, v46, v30
	v_mul_f32_e32 v44, v43, v33
	v_fma_f32 v41, v32, v41, -v35
	v_subrev_co_ci_u32_e64 v23, null, 0, v23, s11
	v_fmac_f32_e32 v39, v29, v25
	v_sub_f32_e32 v31, v31, v48
	v_mul_f32_e32 v48, v47, v36
	v_fma_f32 v43, v33, v43, -v44
	v_subrev_co_ci_u32_e64 v24, null, 0, v24, s13
	v_fmac_f32_e32 v41, v32, v26
	v_cvt_f32_i32_e32 v23, v23
	v_subrev_co_ci_u32_e64 v26, null, 0, v28, s12
	v_add_f32_e32 v28, v34, v39
	v_subrev_co_ci_u32_e64 v22, null, 0, v22, s9
	v_fma_f32 v25, v36, v47, -v48
	v_fmac_f32_e32 v43, v33, v31
	v_cvt_f32_i32_e32 v24, v24
	v_add_f32_e32 v31, v35, v41
	v_mul_f32_e32 v50, 0x3f317218, v23
	v_sub_f32_e32 v52, v38, v28
	v_cvt_f32_i32_e32 v22, v22
	v_fmac_f32_e32 v25, v36, v27
	v_add_f32_e32 v27, v44, v43
	v_mul_f32_e32 v51, 0x3f317218, v24
	v_sub_f32_e32 v34, v28, v34
	v_sub_f32_e32 v53, v40, v31
	v_fma_f32 v57, 0x3f317218, v23, -v50
	v_sub_f32_e32 v38, v38, v52
	v_mul_f32_e32 v47, 0x3f317218, v22
	v_cvt_f32_i32_e32 v26, v26
	v_sub_f32_e32 v35, v31, v35
	v_add_f32_e32 v54, v48, v25
	v_sub_f32_e32 v55, v42, v27
	v_fma_f32 v59, 0x3f317218, v24, -v51
	v_sub_f32_e32 v34, v34, v39
	v_sub_f32_e32 v39, v40, v53
	v_fmac_f32_e32 v57, 0xb102e308, v23
	v_sub_f32_e32 v23, v38, v28
	v_sub_f32_e32 v44, v27, v44
	v_fma_f32 v56, 0x3f317218, v22, -v47
	v_mul_f32_e32 v58, 0x3f317218, v26
	v_sub_f32_e32 v35, v35, v41
	v_sub_f32_e32 v41, v46, v54
	;; [unrolled: 1-line block ×3, first 2 shown]
	v_fmac_f32_e32 v59, 0xb102e308, v24
	v_sub_f32_e32 v24, v39, v31
	v_add_f32_e32 v23, v34, v23
	v_sub_f32_e32 v40, v54, v48
	v_sub_f32_e32 v43, v44, v43
	v_fmac_f32_e32 v56, 0xb102e308, v22
	v_fma_f32 v22, 0x3f317218, v26, -v58
	v_sub_f32_e32 v28, v46, v41
	v_sub_f32_e32 v27, v42, v27
	v_add_f32_e32 v24, v35, v24
	v_add_f32_e32 v23, v52, v23
	v_sub_f32_e32 v25, v40, v25
	v_add_f32_e32 v31, v47, v56
	v_add_f32_e32 v38, v50, v57
	v_fmac_f32_e32 v22, 0xb102e308, v26
	v_sub_f32_e32 v28, v28, v54
	v_add_f32_e32 v27, v43, v27
	v_add_f32_e32 v24, v53, v24
	v_mul_f32_e32 v23, v37, v23
	v_sub_f32_e32 v34, v31, v47
	v_sub_f32_e32 v35, v38, v50
	v_add_f32_e32 v39, v58, v22
	v_add_f32_e32 v25, v25, v28
	;; [unrolled: 1-line block ×3, first 2 shown]
	v_mul_f32_e32 v24, v45, v24
	v_add_f32_e32 v37, v29, v23
	v_sub_f32_e32 v28, v56, v34
	v_sub_f32_e32 v34, v57, v35
	;; [unrolled: 1-line block ×3, first 2 shown]
	v_add_f32_e32 v25, v41, v25
	v_mul_f32_e32 v27, v49, v27
	v_add_f32_e32 v41, v32, v24
	v_sub_f32_e32 v29, v37, v29
	v_sub_f32_e32 v35, v22, v35
	v_mul_f32_e32 v22, v30, v25
	v_add_f32_e32 v25, v33, v27
	v_mul_f32_e32 v30, v37, v37
	v_sub_f32_e32 v32, v41, v32
	v_sub_f32_e32 v29, v23, v29
	v_mul_f32_e32 v42, v41, v41
	v_add_f32_e32 v43, v36, v22
	v_sub_f32_e32 v33, v25, v33
	v_fma_f32 v23, v37, v37, -v30
	v_sub_f32_e32 v24, v24, v32
	v_add_f32_e32 v46, v29, v29
	v_mul_f32_e32 v44, v25, v25
	v_fma_f32 v32, v41, v41, -v42
	v_sub_f32_e32 v36, v43, v36
	v_sub_f32_e32 v27, v27, v33
	v_add_f32_e32 v47, v24, v24
	v_fmac_f32_e32 v23, v37, v46
	v_mul_f32_e32 v45, v43, v43
	v_fma_f32 v33, v25, v25, -v44
	v_sub_f32_e32 v36, v22, v36
	v_add_f32_e32 v48, v27, v27
	v_fmac_f32_e32 v32, v41, v47
	v_add_f32_e32 v47, v30, v23
	v_fma_f32 v22, v43, v43, -v45
	v_add_f32_e32 v46, v36, v36
	v_fmac_f32_e32 v33, v25, v48
	v_add_f32_e32 v26, v51, v59
	v_fmaak_f32 v49, s26, v47, 0x3e91f4c4
	v_add_f32_e32 v48, v42, v32
	v_fmac_f32_e32 v22, v43, v46
	v_add_f32_e32 v46, v44, v33
	v_sub_f32_e32 v30, v47, v30
	v_mul_f32_e32 v50, v37, v47
	v_fmaak_f32 v49, v47, v49, 0x3ecccdef
	v_sub_f32_e32 v40, v26, v51
	v_fmaak_f32 v51, s26, v48, 0x3e91f4c4
	v_add_f32_e32 v53, v45, v22
	v_fmaak_f32 v54, s26, v46, 0x3e91f4c4
	v_sub_f32_e32 v23, v23, v30
	v_fma_f32 v30, v47, v37, -v50
	v_mul_f32_e32 v58, v47, v49
	v_sub_f32_e32 v42, v48, v42
	v_mul_f32_e32 v52, v41, v48
	v_sub_f32_e32 v44, v46, v44
	v_mul_f32_e32 v55, v25, v46
	v_fmaak_f32 v51, v48, v51, 0x3ecccdef
	v_fmaak_f32 v56, s26, v53, 0x3e91f4c4
	;; [unrolled: 1-line block ×3, first 2 shown]
	v_fmac_f32_e32 v30, v47, v29
	v_fma_f32 v47, v47, v49, -v58
	v_sub_f32_e32 v40, v59, v40
	v_sub_f32_e32 v32, v32, v42
	v_fma_f32 v42, v48, v41, -v52
	v_sub_f32_e32 v45, v53, v45
	v_mul_f32_e32 v57, v43, v53
	v_sub_f32_e32 v33, v33, v44
	v_fma_f32 v44, v46, v25, -v55
	v_mul_f32_e32 v59, v48, v51
	v_fmaak_f32 v56, v53, v56, 0x3ecccdef
	v_fmac_f32_e32 v47, v23, v49
	v_mul_f32_e32 v49, v46, v54
	v_fmac_f32_e32 v42, v48, v24
	v_sub_f32_e32 v22, v22, v45
	v_fma_f32 v45, v53, v43, -v57
	v_fmac_f32_e32 v44, v46, v27
	v_fmac_f32_e32 v30, v23, v37
	v_fma_f32 v23, v48, v51, -v59
	v_mul_f32_e32 v48, v53, v56
	v_fma_f32 v46, v46, v54, -v49
	v_fmac_f32_e32 v45, v53, v36
	v_fmac_f32_e32 v44, v33, v25
	;; [unrolled: 1-line block ×3, first 2 shown]
	v_fma_f32 v53, v53, v56, -v48
	v_fmac_f32_e32 v46, v33, v54
	v_fmac_f32_e32 v45, v22, v43
	v_add_f32_e32 v33, v58, v47
	v_add_f32_e32 v54, v59, v23
	v_fmac_f32_e32 v53, v22, v56
	v_add_f32_e32 v22, v49, v46
	v_fmac_f32_e32 v42, v32, v41
	v_sub_f32_e32 v56, v33, v58
	v_sub_f32_e32 v58, v54, v59
	v_add_f32_e32 v59, 0x3f2aaaaa, v33
	v_sub_f32_e32 v49, v22, v49
	v_add_f32_e32 v32, v50, v30
	;; [unrolled: 2-line block ×3, first 2 shown]
	v_sub_f32_e32 v23, v23, v58
	v_sub_f32_e32 v46, v46, v49
	v_add_f32_e32 v49, 0xbf2aaaaa, v59
	v_add_f32_e32 v58, 0x3f2aaaaa, v22
	;; [unrolled: 1-line block ×5, first 2 shown]
	v_sub_f32_e32 v33, v33, v49
	v_add_f32_e32 v49, 0xbf2aaaaa, v56
	v_add_f32_e32 v51, v52, v42
	v_sub_f32_e32 v50, v32, v50
	v_ldexp_f32 v37, v37, 1
	v_add_f32_e32 v33, v47, v33
	v_sub_f32_e32 v49, v54, v49
	v_add_f32_e32 v54, 0xbf2aaaaa, v58
	v_sub_f32_e32 v52, v51, v52
	v_sub_f32_e32 v30, v30, v50
	v_ldexp_f32 v41, v41, 1
	v_add_f32_e32 v23, v23, v49
	v_sub_f32_e32 v22, v22, v54
	v_add_f32_e32 v54, v55, v44
	v_sub_f32_e32 v42, v42, v52
	v_add_f32_e32 v52, v57, v45
	v_add_f32_e32 v47, v56, v23
	;; [unrolled: 1-line block ×4, first 2 shown]
	v_ldexp_f32 v25, v25, 1
	v_sub_f32_e32 v57, v52, v57
	v_ldexp_f32 v43, v43, 1
	v_ldexp_f32 v29, v29, 1
	v_sub_f32_e32 v49, v59, v46
	v_mul_f32_e32 v59, v32, v46
	v_sub_f32_e32 v45, v45, v57
	v_ldexp_f32 v24, v24, 1
	v_ldexp_f32 v27, v27, 1
	v_add_f32_e32 v33, v33, v49
	v_fma_f32 v49, v32, v46, -v59
	v_ldexp_f32 v36, v36, 1
	v_cndmask_b32_e64 v20, 1.0, v12, s8
	v_cmp_neq_f32_e64 s8, v9, |v9|
	v_cmp_lt_f32_e64 s14, |v11|, 1.0
	v_fmac_f32_e32 v49, v32, v33
	v_add_f32_e32 v32, v58, v22
	v_sub_f32_e32 v33, v56, v47
	v_cndmask_b32_e64 v19, 1.0, v11, s10
	v_cndmask_b32_e64 v21, 1.0, v13, s7
	v_fmac_f32_e32 v49, v30, v46
	v_sub_f32_e32 v56, v58, v32
	v_mul_f32_e32 v58, v51, v47
	v_add_f32_e32 v23, v23, v33
	v_mul_f32_e32 v33, v54, v32
	v_cmp_neq_f32_e64 s7, v2, |v2|
	v_add_f32_e32 v22, v22, v56
	v_fma_f32 v56, v51, v47, -v58
	v_cmp_neq_f32_e64 s9, v3, |v3|
	v_cmp_lt_f32_e64 s10, |v8|, 1.0
	v_cmp_lt_f32_e64 s27, |v12|, 1.0
	s_xor_b32 s8, s8, s14
	v_fmac_f32_e32 v56, v51, v23
	v_fma_f32 v51, v54, v32, -v33
	v_cndmask_b32_e64 v50, 0x7f800000, 0, s8
	v_cmp_neq_f32_e64 s8, |v11|, 1.0
	v_cmp_neq_f32_e64 s15, v10, |v10|
	v_fmac_f32_e32 v56, v42, v47
	v_fmac_f32_e32 v51, v54, v22
	v_sub_f32_e32 v54, v54, v55
	s_xor_b32 s7, s7, s10
	v_cmp_lt_f32_e64 s10, |v13|, 1.0
	v_add_f32_e32 v42, v58, v56
	s_xor_b32 s9, s9, s27
	v_sub_f32_e32 v44, v44, v54
	v_add_f32_e32 v54, v48, v53
	v_cndmask_b32_e64 v55, 0x7f800000, 0, s7
	v_add_f32_e32 v47, v41, v42
	v_cmp_neq_f32_e64 s7, |v8|, 1.0
	v_fmac_f32_e32 v51, v44, v32
	v_sub_f32_e32 v48, v54, v48
	v_add_f32_e32 v57, 0x3f2aaaaa, v54
	v_add_f32_e32 v32, v59, v49
	v_sub_f32_e32 v41, v47, v41
	v_cndmask_b32_e64 v50, 1.0, v50, s8
	v_sub_f32_e32 v48, v53, v48
	v_add_f32_e32 v53, 0xbf2aaaaa, v57
	v_sub_f32_e32 v44, v32, v59
	s_xor_b32 s10, s15, s10
	v_cndmask_b32_e64 v55, 1.0, v55, s7
	v_add_f32_e32 v48, 0x31739010, v48
	v_sub_f32_e32 v53, v54, v53
	v_sub_f32_e32 v44, v49, v44
	v_cndmask_b32_e64 v54, 0x7f800000, 0, s9
	v_cmp_neq_f32_e64 s9, |v12|, 1.0
	v_cmp_neq_f32_e64 s7, |v13|, 1.0
	v_add_f32_e32 v48, v48, v53
	v_add_f32_e32 v29, v29, v44
	v_cndmask_b32_e64 v53, 0x7f800000, 0, s10
	v_cndmask_b32_e64 v54, 1.0, v54, s9
	v_cmp_class_f32_e64 s11, v8, 0x204
	v_add_f32_e32 v30, v57, v48
	v_cmp_class_f32_e64 s13, v11, 0x204
	v_cndmask_b32_e64 v53, 1.0, v53, s7
	v_cmp_class_f32_e64 s12, v12, 0x204
	v_cmp_class_f32_e64 s14, v13, 0x204
	v_sub_f32_e32 v46, v57, v30
	v_mul_f32_e32 v57, v52, v30
	s_or_b32 s0, s0, s13
	s_or_b32 s1, s1, s12
	s_or_b32 vcc_lo, vcc_lo, s11
	v_add_f32_e32 v46, v48, v46
	v_fma_f32 v48, v52, v30, -v57
	v_lshlrev_b64 v[22:23], 2, v[0:1]
	v_fmac_f32_e32 v48, v52, v46
	v_sub_f32_e32 v46, v42, v58
	v_fmac_f32_e32 v48, v45, v30
	v_add_f32_e32 v30, v33, v51
	v_add_f32_e32 v45, v37, v32
	v_sub_f32_e32 v46, v56, v46
	v_add_f32_e32 v52, v57, v48
	v_sub_f32_e32 v33, v30, v33
	;; [unrolled: 2-line block ×5, first 2 shown]
	v_sub_f32_e32 v25, v58, v25
	v_sub_f32_e32 v32, v32, v37
	;; [unrolled: 1-line block ×6, first 2 shown]
	v_add_f32_e32 v27, v27, v33
	v_add_f32_e32 v29, v29, v32
	;; [unrolled: 1-line block ×3, first 2 shown]
	v_sub_f32_e32 v30, v52, v42
	v_add_f32_e32 v32, v36, v41
	v_add_f32_e32 v25, v27, v25
	;; [unrolled: 1-line block ×6, first 2 shown]
	v_sub_f32_e32 v36, v27, v45
	v_add_f32_e32 v37, v31, v27
	v_sub_f32_e32 v41, v33, v47
	v_add_f32_e32 v42, v38, v33
	v_add_f32_e32 v43, v56, v30
	v_sub_f32_e32 v44, v32, v58
	v_add_f32_e32 v45, v26, v32
	v_sub_f32_e32 v29, v29, v36
	v_sub_f32_e32 v36, v37, v31
	;; [unrolled: 1-line block ×5, first 2 shown]
	v_add_f32_e32 v47, v39, v43
	v_sub_f32_e32 v25, v25, v44
	v_sub_f32_e32 v44, v45, v26
	v_sub_f32_e32 v48, v37, v36
	v_sub_f32_e32 v27, v27, v36
	v_add_f32_e32 v36, v28, v29
	v_sub_f32_e32 v49, v42, v41
	v_sub_f32_e32 v33, v33, v41
	v_add_f32_e32 v41, v34, v24
	v_sub_f32_e32 v30, v30, v46
	v_sub_f32_e32 v46, v47, v39
	;; [unrolled: 1-line block ×4, first 2 shown]
	v_add_f32_e32 v44, v40, v25
	v_sub_f32_e32 v31, v31, v48
	v_sub_f32_e32 v48, v36, v28
	;; [unrolled: 1-line block ×6, first 2 shown]
	v_add_f32_e32 v46, v35, v30
	v_sub_f32_e32 v26, v26, v51
	v_sub_f32_e32 v51, v44, v40
	v_add_f32_e32 v27, v27, v31
	v_sub_f32_e32 v31, v36, v48
	v_add_f32_e32 v33, v33, v38
	v_sub_f32_e32 v38, v41, v49
	v_sub_f32_e32 v29, v29, v48
	;; [unrolled: 1-line block ×5, first 2 shown]
	v_add_f32_e32 v26, v32, v26
	v_sub_f32_e32 v32, v44, v51
	v_sub_f32_e32 v28, v28, v31
	v_add_f32_e32 v27, v36, v27
	v_sub_f32_e32 v31, v34, v38
	v_add_f32_e32 v33, v41, v33
	;; [unrolled: 2-line block ×3, first 2 shown]
	v_sub_f32_e32 v36, v46, v48
	v_sub_f32_e32 v32, v40, v32
	v_add_f32_e32 v26, v44, v26
	v_add_f32_e32 v28, v29, v28
	;; [unrolled: 1-line block ×5, first 2 shown]
	v_sub_f32_e32 v30, v30, v48
	v_sub_f32_e32 v35, v35, v36
	v_add_f32_e32 v34, v46, v34
	v_add_f32_e32 v25, v25, v32
	;; [unrolled: 1-line block ×3, first 2 shown]
	v_sub_f32_e32 v36, v29, v37
	v_sub_f32_e32 v37, v31, v42
	v_add_f32_e32 v30, v30, v35
	v_add_f32_e32 v35, v47, v34
	v_sub_f32_e32 v38, v32, v45
	v_sub_f32_e32 v27, v27, v36
	;; [unrolled: 1-line block ×5, first 2 shown]
	v_add_f32_e32 v27, v28, v27
	v_add_f32_e32 v24, v24, v33
	v_sub_f32_e32 v28, v34, v36
	v_add_f32_e32 v25, v25, v26
	v_add_f32_e32 v26, v29, v27
	;; [unrolled: 1-line block ×5, first 2 shown]
	v_sub_f32_e32 v29, v26, v29
	v_sub_f32_e32 v31, v33, v31
	v_mul_f32_e32 v36, v9, v33
	v_mul_f32_e32 v34, v2, v26
	v_add_f32_e32 v37, v35, v28
	v_sub_f32_e32 v32, v30, v32
	v_mul_f32_e32 v38, v3, v30
	v_sub_f32_e32 v27, v27, v29
	v_sub_f32_e32 v24, v24, v31
	v_fma_f32 v29, v9, v33, -v36
	v_fma_f32 v26, v2, v26, -v34
	v_sub_f32_e32 v31, v37, v35
	v_mul_f32_e32 v33, v10, v37
	v_sub_f32_e32 v25, v25, v32
	v_fma_f32 v30, v3, v30, -v38
	v_fmac_f32_e32 v29, v9, v24
	v_fmac_f32_e32 v26, v2, v27
	v_sub_f32_e32 v24, v28, v31
	v_fma_f32 v27, v10, v37, -v33
	v_fmac_f32_e32 v30, v3, v25
	v_add_f32_e32 v28, v36, v29
	v_cmp_class_f32_e64 s8, v36, 0x204
	v_cmp_class_f32_e64 s9, v38, 0x204
	v_fmac_f32_e32 v27, v10, v24
	v_add_f32_e32 v24, v38, v30
	v_sub_f32_e32 v32, v28, v36
	v_cndmask_b32_e64 v28, v28, v36, s8
	v_add_f32_e32 v25, v34, v26
	v_cmp_class_f32_e64 s7, v34, 0x204
	v_sub_f32_e32 v35, v24, v38
	v_cndmask_b32_e64 v24, v24, v38, s9
	v_cmp_eq_f32_e64 s9, 0x42b17218, v28
	v_sub_f32_e32 v31, v25, v34
	v_cndmask_b32_e64 v25, v25, v34, s7
	v_add_f32_e32 v34, v33, v27
	v_cmp_class_f32_e64 s7, v33, 0x204
	v_sub_f32_e32 v29, v29, v32
	v_cndmask_b32_e64 v32, 0, 0x37000000, s9
	v_cmp_eq_f32_e64 s9, 0x42b17218, v24
	v_sub_f32_e32 v26, v26, v31
	v_cmp_eq_f32_e64 s8, 0x42b17218, v25
	v_sub_f32_e32 v36, v34, v33
	v_cndmask_b32_e64 v33, v34, v33, s7
	v_cndmask_b32_e64 v34, 0, 0x37000000, s9
	v_cmp_neq_f32_e64 s9, 0x7f800000, |v25|
	v_cndmask_b32_e64 v31, 0, 0x37000000, s8
	v_cmp_neq_f32_e64 s8, 0x7f800000, |v28|
	v_sub_f32_e32 v30, v30, v35
	v_cmp_neq_f32_e64 s7, 0x7f800000, |v24|
	v_cndmask_b32_e64 v26, 0, v26, s9
	v_cmp_eq_f32_e64 s9, 0x42b17218, v33
	v_sub_f32_e32 v25, v25, v31
	v_cndmask_b32_e64 v29, 0, v29, s8
	v_sub_f32_e32 v28, v28, v32
	v_sub_f32_e32 v27, v27, v36
	v_cmp_neq_f32_e64 s8, 0x7f800000, |v33|
	v_cndmask_b32_e64 v35, 0, 0x37000000, s9
	v_cndmask_b32_e64 v30, 0, v30, s7
	v_sub_f32_e32 v24, v24, v34
	v_add_f32_e32 v26, v31, v26
	v_mul_f32_e32 v31, 0x3fb8aa3b, v25
	v_add_f32_e32 v29, v32, v29
	v_mul_f32_e32 v32, 0x3fb8aa3b, v28
	v_cndmask_b32_e64 v27, 0, v27, s8
	v_sub_f32_e32 v33, v33, v35
	v_add_f32_e32 v30, v34, v30
	v_mul_f32_e32 v34, 0x3fb8aa3b, v24
	v_fma_f32 v36, 0x3fb8aa3b, v25, -v31
	v_rndne_f32_e32 v37, v31
	v_fma_f32 v38, 0x3fb8aa3b, v28, -v32
	v_rndne_f32_e32 v39, v32
	v_add_f32_e32 v27, v35, v27
	v_mul_f32_e32 v35, 0x3fb8aa3b, v33
	v_fma_f32 v40, 0x3fb8aa3b, v24, -v34
	v_rndne_f32_e32 v41, v34
	v_fmac_f32_e32 v36, 0x32a5705f, v25
	v_sub_f32_e32 v31, v31, v37
	v_fmac_f32_e32 v38, 0x32a5705f, v28
	v_sub_f32_e32 v32, v32, v39
	v_fma_f32 v42, 0x3fb8aa3b, v33, -v35
	v_rndne_f32_e32 v43, v35
	v_fmac_f32_e32 v40, 0x32a5705f, v24
	v_sub_f32_e32 v34, v34, v41
	v_add_f32_e32 v31, v31, v36
	v_add_f32_e32 v32, v32, v38
	v_fmac_f32_e32 v42, 0x32a5705f, v33
	v_sub_f32_e32 v35, v35, v43
	v_add_f32_e32 v34, v34, v40
	v_exp_f32_e32 v31, v31
	v_exp_f32_e32 v32, v32
	v_cvt_i32_f32_e32 v37, v37
	v_add_f32_e32 v35, v35, v42
	v_exp_f32_e32 v34, v34
	v_cvt_i32_f32_e32 v39, v39
	v_cvt_i32_f32_e32 v41, v41
	;; [unrolled: 1-line block ×3, first 2 shown]
	v_exp_f32_e32 v35, v35
	v_cmp_ngt_f32_e64 s7, 0xc2ce8ed0, v28
	v_ldexp_f32 v31, v31, v37
	v_ldexp_f32 v32, v32, v39
	v_cmp_ngt_f32_e64 s8, 0xc2ce8ed0, v24
	v_cmp_ngt_f32_e64 s9, 0xc2ce8ed0, v25
	v_ldexp_f32 v34, v34, v41
	v_cmp_nlt_f32_e64 s10, 0x42b17218, v25
	v_cndmask_b32_e64 v32, 0, v32, s7
	v_cmp_nlt_f32_e64 s7, 0x42b17218, v28
	v_cndmask_b32_e64 v31, 0, v31, s9
	v_ldexp_f32 v28, v35, v36
	v_cmp_ngt_f32_e64 s9, 0xc2ce8ed0, v33
	v_cndmask_b32_e64 v34, 0, v34, s8
	v_cmp_nlt_f32_e64 s8, 0x42b17218, v24
	v_cndmask_b32_e64 v24, 0x7f800000, v31, s10
	v_cndmask_b32_e64 v25, 0x7f800000, v32, s7
	;; [unrolled: 1-line block ×3, first 2 shown]
	v_cmp_nlt_f32_e64 s7, 0x42b17218, v33
	v_cndmask_b32_e64 v31, 0x7f800000, v34, s8
	v_fma_f32 v26, v24, v26, v24
	v_fma_f32 v29, v25, v29, v25
	v_cmp_class_f32_e64 s8, v25, 0x204
	v_cndmask_b32_e64 v28, 0x7f800000, v28, s7
	v_fma_f32 v30, v31, v30, v31
	v_cmp_class_f32_e64 s7, v31, 0x204
	v_cmp_class_f32_e64 s9, v24, 0x204
	v_cndmask_b32_e64 v25, v29, v25, s8
	v_cmp_class_f32_e64 s8, v28, 0x204
	v_cndmask_b32_e64 v24, v26, v24, s9
	v_fma_f32 v26, v28, v27, v28
	v_cndmask_b32_e64 v27, v30, v31, s7
	v_bfi_b32 v19, 0x7fffffff, v25, v19
	v_bfi_b32 v17, 0x7fffffff, v24, v17
	v_cndmask_b32_e64 v24, v26, v28, s8
	v_bfi_b32 v20, 0x7fffffff, v27, v20
	v_cndmask_b32_e64 v26, 0x7fc00000, v19, s3
	v_cmp_gt_f32_e64 s3, 0, v12
	v_cndmask_b32_e64 v25, 0x7fc00000, v17, s2
	v_cmp_gt_f32_e64 s2, 0, v11
	v_bfi_b32 v21, 0x7fffffff, v24, v21
	v_cndmask_b32_e64 v24, 0x7fc00000, v20, s5
	v_cmp_gt_f32_e64 s5, 0, v8
	v_cndmask_b32_e64 v19, v19, v26, s2
	v_cmp_class_f32_e64 s2, v9, 0x204
	v_cndmask_b32_e64 v20, v20, v24, s3
	v_cndmask_b32_e64 v17, v17, v25, s5
	;; [unrolled: 1-line block ×3, first 2 shown]
	v_cmp_gt_f32_e64 s5, 0, v13
	v_cmp_class_f32_e64 s3, v3, 0x204
	v_cmp_class_f32_e64 s6, v2, 0x204
	v_cndmask_b32_e64 v19, v19, v50, s2
	v_cmp_class_f32_e64 s2, v10, 0x204
	v_cndmask_b32_e64 v21, v21, v25, s5
	v_cndmask_b32_e64 v20, v20, v54, s3
	;; [unrolled: 1-line block ×4, first 2 shown]
	s_or_b32 s0, s4, s14
	v_cndmask_b32_e32 v15, v17, v15, vcc_lo
	v_cmp_o_f32_e32 vcc_lo, v11, v9
	v_cndmask_b32_e64 v9, v21, v53, s2
	v_cndmask_b32_e64 v11, v20, v14, s1
	v_cmp_o_f32_e64 s1, v12, v3
	v_cmp_o_f32_e64 s2, v8, v2
	v_cndmask_b32_e32 v3, 0x7fc00000, v16, vcc_lo
	v_cndmask_b32_e64 v8, v9, v18, s0
	v_cmp_o_f32_e32 vcc_lo, v13, v10
	v_cndmask_b32_e64 v9, 0x7fc00000, v11, s1
	v_cndmask_b32_e64 v2, 0x7fc00000, v15, s2
	v_bfe_u32 v11, v3, 16, 1
	v_cmp_o_f32_e64 s0, v3, v3
	v_cndmask_b32_e32 v8, 0x7fc00000, v8, vcc_lo
	v_bfe_u32 v12, v9, 16, 1
	v_bfe_u32 v10, v2, 16, 1
	v_add3_u32 v11, v3, v11, 0x7fff
	v_cmp_o_f32_e32 vcc_lo, v9, v9
	v_bfe_u32 v13, v8, 16, 1
	v_add3_u32 v12, v9, v12, 0x7fff
	v_add3_u32 v10, v2, v10, 0x7fff
	v_and_b32_e32 v11, 0xffff0000, v11
	v_cmp_o_f32_e64 s1, v2, v2
	v_add3_u32 v13, v8, v13, 0x7fff
	v_and_b32_e32 v12, 0xffff0000, v12
	v_lshrrev_b32_e32 v10, 16, v10
	v_cndmask_b32_e64 v3, 0x7fc00000, v11, s0
	v_cmp_le_i64_e64 s0, s[20:21], v[22:23]
	v_lshrrev_b32_e32 v2, 16, v13
	v_cndmask_b32_e64 v9, 0x7fc0, v10, s1
	v_cndmask_b32_e32 v10, 0x7fc00000, v12, vcc_lo
	v_cmp_o_f32_e32 vcc_lo, v8, v8
	s_or_b32 s23, s0, s23
	v_or_b32_e32 v8, v9, v3
	v_cndmask_b32_e32 v2, 0x7fc0, v2, vcc_lo
	v_add_co_u32 v6, vcc_lo, v6, s25
	v_add_co_ci_u32_e64 v7, null, 0, v7, vcc_lo
	v_or3_b32 v3, 0, v2, v10
	v_or3_b32 v2, v8, 0, 0
	global_store_dwordx2 v[4:5], v[2:3], off
	s_andn2_b32 exec_lo, exec_lo, s23
	s_cbranch_execnz .LBB95_24
.LBB95_25:
	s_endpgm
	.section	.rodata,"a",@progbits
	.p2align	6, 0x0
	.amdhsa_kernel _ZN2at6native12_GLOBAL__N_125multi_tensor_apply_kernelINS1_28TensorListScalarListMetadataIfLi2EEENS1_25BinaryOpScalarListFunctorIN3c108BFloat16ELi2ELi1ELi1EEEJNS1_13power_functorIfEEEEEvT_T0_DpT1_
		.amdhsa_group_segment_fixed_size 0
		.amdhsa_private_segment_fixed_size 0
		.amdhsa_kernarg_size 3656
		.amdhsa_user_sgpr_count 6
		.amdhsa_user_sgpr_private_segment_buffer 1
		.amdhsa_user_sgpr_dispatch_ptr 0
		.amdhsa_user_sgpr_queue_ptr 0
		.amdhsa_user_sgpr_kernarg_segment_ptr 1
		.amdhsa_user_sgpr_dispatch_id 0
		.amdhsa_user_sgpr_flat_scratch_init 0
		.amdhsa_user_sgpr_private_segment_size 0
		.amdhsa_wavefront_size32 1
		.amdhsa_uses_dynamic_stack 0
		.amdhsa_system_sgpr_private_segment_wavefront_offset 0
		.amdhsa_system_sgpr_workgroup_id_x 1
		.amdhsa_system_sgpr_workgroup_id_y 0
		.amdhsa_system_sgpr_workgroup_id_z 0
		.amdhsa_system_sgpr_workgroup_info 0
		.amdhsa_system_vgpr_workitem_id 0
		.amdhsa_next_free_vgpr 60
		.amdhsa_next_free_sgpr 28
		.amdhsa_reserve_vcc 1
		.amdhsa_reserve_flat_scratch 0
		.amdhsa_float_round_mode_32 0
		.amdhsa_float_round_mode_16_64 0
		.amdhsa_float_denorm_mode_32 3
		.amdhsa_float_denorm_mode_16_64 3
		.amdhsa_dx10_clamp 1
		.amdhsa_ieee_mode 1
		.amdhsa_fp16_overflow 0
		.amdhsa_workgroup_processor_mode 1
		.amdhsa_memory_ordered 1
		.amdhsa_forward_progress 1
		.amdhsa_shared_vgpr_count 0
		.amdhsa_exception_fp_ieee_invalid_op 0
		.amdhsa_exception_fp_denorm_src 0
		.amdhsa_exception_fp_ieee_div_zero 0
		.amdhsa_exception_fp_ieee_overflow 0
		.amdhsa_exception_fp_ieee_underflow 0
		.amdhsa_exception_fp_ieee_inexact 0
		.amdhsa_exception_int_div_zero 0
	.end_amdhsa_kernel
	.section	.text._ZN2at6native12_GLOBAL__N_125multi_tensor_apply_kernelINS1_28TensorListScalarListMetadataIfLi2EEENS1_25BinaryOpScalarListFunctorIN3c108BFloat16ELi2ELi1ELi1EEEJNS1_13power_functorIfEEEEEvT_T0_DpT1_,"axG",@progbits,_ZN2at6native12_GLOBAL__N_125multi_tensor_apply_kernelINS1_28TensorListScalarListMetadataIfLi2EEENS1_25BinaryOpScalarListFunctorIN3c108BFloat16ELi2ELi1ELi1EEEJNS1_13power_functorIfEEEEEvT_T0_DpT1_,comdat
.Lfunc_end95:
	.size	_ZN2at6native12_GLOBAL__N_125multi_tensor_apply_kernelINS1_28TensorListScalarListMetadataIfLi2EEENS1_25BinaryOpScalarListFunctorIN3c108BFloat16ELi2ELi1ELi1EEEJNS1_13power_functorIfEEEEEvT_T0_DpT1_, .Lfunc_end95-_ZN2at6native12_GLOBAL__N_125multi_tensor_apply_kernelINS1_28TensorListScalarListMetadataIfLi2EEENS1_25BinaryOpScalarListFunctorIN3c108BFloat16ELi2ELi1ELi1EEEJNS1_13power_functorIfEEEEEvT_T0_DpT1_
                                        ; -- End function
	.set _ZN2at6native12_GLOBAL__N_125multi_tensor_apply_kernelINS1_28TensorListScalarListMetadataIfLi2EEENS1_25BinaryOpScalarListFunctorIN3c108BFloat16ELi2ELi1ELi1EEEJNS1_13power_functorIfEEEEEvT_T0_DpT1_.num_vgpr, 60
	.set _ZN2at6native12_GLOBAL__N_125multi_tensor_apply_kernelINS1_28TensorListScalarListMetadataIfLi2EEENS1_25BinaryOpScalarListFunctorIN3c108BFloat16ELi2ELi1ELi1EEEJNS1_13power_functorIfEEEEEvT_T0_DpT1_.num_agpr, 0
	.set _ZN2at6native12_GLOBAL__N_125multi_tensor_apply_kernelINS1_28TensorListScalarListMetadataIfLi2EEENS1_25BinaryOpScalarListFunctorIN3c108BFloat16ELi2ELi1ELi1EEEJNS1_13power_functorIfEEEEEvT_T0_DpT1_.numbered_sgpr, 28
	.set _ZN2at6native12_GLOBAL__N_125multi_tensor_apply_kernelINS1_28TensorListScalarListMetadataIfLi2EEENS1_25BinaryOpScalarListFunctorIN3c108BFloat16ELi2ELi1ELi1EEEJNS1_13power_functorIfEEEEEvT_T0_DpT1_.num_named_barrier, 0
	.set _ZN2at6native12_GLOBAL__N_125multi_tensor_apply_kernelINS1_28TensorListScalarListMetadataIfLi2EEENS1_25BinaryOpScalarListFunctorIN3c108BFloat16ELi2ELi1ELi1EEEJNS1_13power_functorIfEEEEEvT_T0_DpT1_.private_seg_size, 0
	.set _ZN2at6native12_GLOBAL__N_125multi_tensor_apply_kernelINS1_28TensorListScalarListMetadataIfLi2EEENS1_25BinaryOpScalarListFunctorIN3c108BFloat16ELi2ELi1ELi1EEEJNS1_13power_functorIfEEEEEvT_T0_DpT1_.uses_vcc, 1
	.set _ZN2at6native12_GLOBAL__N_125multi_tensor_apply_kernelINS1_28TensorListScalarListMetadataIfLi2EEENS1_25BinaryOpScalarListFunctorIN3c108BFloat16ELi2ELi1ELi1EEEJNS1_13power_functorIfEEEEEvT_T0_DpT1_.uses_flat_scratch, 0
	.set _ZN2at6native12_GLOBAL__N_125multi_tensor_apply_kernelINS1_28TensorListScalarListMetadataIfLi2EEENS1_25BinaryOpScalarListFunctorIN3c108BFloat16ELi2ELi1ELi1EEEJNS1_13power_functorIfEEEEEvT_T0_DpT1_.has_dyn_sized_stack, 0
	.set _ZN2at6native12_GLOBAL__N_125multi_tensor_apply_kernelINS1_28TensorListScalarListMetadataIfLi2EEENS1_25BinaryOpScalarListFunctorIN3c108BFloat16ELi2ELi1ELi1EEEJNS1_13power_functorIfEEEEEvT_T0_DpT1_.has_recursion, 0
	.set _ZN2at6native12_GLOBAL__N_125multi_tensor_apply_kernelINS1_28TensorListScalarListMetadataIfLi2EEENS1_25BinaryOpScalarListFunctorIN3c108BFloat16ELi2ELi1ELi1EEEJNS1_13power_functorIfEEEEEvT_T0_DpT1_.has_indirect_call, 0
	.section	.AMDGPU.csdata,"",@progbits
; Kernel info:
; codeLenInByte = 9416
; TotalNumSgprs: 30
; NumVgprs: 60
; ScratchSize: 0
; MemoryBound: 0
; FloatMode: 240
; IeeeMode: 1
; LDSByteSize: 0 bytes/workgroup (compile time only)
; SGPRBlocks: 0
; VGPRBlocks: 7
; NumSGPRsForWavesPerEU: 30
; NumVGPRsForWavesPerEU: 60
; Occupancy: 16
; WaveLimiterHint : 0
; COMPUTE_PGM_RSRC2:SCRATCH_EN: 0
; COMPUTE_PGM_RSRC2:USER_SGPR: 6
; COMPUTE_PGM_RSRC2:TRAP_HANDLER: 0
; COMPUTE_PGM_RSRC2:TGID_X_EN: 1
; COMPUTE_PGM_RSRC2:TGID_Y_EN: 0
; COMPUTE_PGM_RSRC2:TGID_Z_EN: 0
; COMPUTE_PGM_RSRC2:TIDIG_COMP_CNT: 0
	.section	.text._ZN2at6native12_GLOBAL__N_125multi_tensor_apply_kernelINS1_28TensorListScalarListMetadataIhLi1EEENS1_25BinaryOpScalarListFunctorIhLi1ELi1ELi0EEEJSt5minusIhEEEEvT_T0_DpT1_,"axG",@progbits,_ZN2at6native12_GLOBAL__N_125multi_tensor_apply_kernelINS1_28TensorListScalarListMetadataIhLi1EEENS1_25BinaryOpScalarListFunctorIhLi1ELi1ELi0EEEJSt5minusIhEEEEvT_T0_DpT1_,comdat
	.globl	_ZN2at6native12_GLOBAL__N_125multi_tensor_apply_kernelINS1_28TensorListScalarListMetadataIhLi1EEENS1_25BinaryOpScalarListFunctorIhLi1ELi1ELi0EEEJSt5minusIhEEEEvT_T0_DpT1_ ; -- Begin function _ZN2at6native12_GLOBAL__N_125multi_tensor_apply_kernelINS1_28TensorListScalarListMetadataIhLi1EEENS1_25BinaryOpScalarListFunctorIhLi1ELi1ELi0EEEJSt5minusIhEEEEvT_T0_DpT1_
	.p2align	8
	.type	_ZN2at6native12_GLOBAL__N_125multi_tensor_apply_kernelINS1_28TensorListScalarListMetadataIhLi1EEENS1_25BinaryOpScalarListFunctorIhLi1ELi1ELi0EEEJSt5minusIhEEEEvT_T0_DpT1_,@function
_ZN2at6native12_GLOBAL__N_125multi_tensor_apply_kernelINS1_28TensorListScalarListMetadataIhLi1EEENS1_25BinaryOpScalarListFunctorIhLi1ELi1ELi0EEEJSt5minusIhEEEEvT_T0_DpT1_: ; @_ZN2at6native12_GLOBAL__N_125multi_tensor_apply_kernelINS1_28TensorListScalarListMetadataIhLi1EEENS1_25BinaryOpScalarListFunctorIhLi1ELi1ELi0EEEJSt5minusIhEEEEvT_T0_DpT1_
; %bb.0:
	v_mov_b32_e32 v1, s6
	s_mul_i32 s2, s6, 3
	s_mul_hi_u32 s3, s6, 3
	global_load_ubyte v3, v1, s[4:5] offset:1632
	s_waitcnt vmcnt(0)
	v_add_co_u32 v1, s0, s4, v3
	v_add_co_ci_u32_e64 v2, null, s5, 0, s0
	s_add_u32 s0, s4, s6
	s_addc_u32 s1, s5, 0
	s_add_u32 s0, s0, s2
	global_load_ubyte v4, v[1:2], off offset:1536
	v_readfirstlane_b32 s2, v3
	s_addc_u32 s1, s1, s3
	s_load_dword s0, s[0:1], 0x7a0
	s_lshl_b32 s1, s2, 3
	s_clause 0x1
	s_load_dwordx2 s[2:3], s[4:5], s1 offset:0x300
	s_load_dwordx2 s[6:7], s[4:5], s1 offset:0x0
	s_waitcnt lgkmcnt(0)
	s_ashr_i32 s1, s0, 31
	s_lshl_b64 s[8:9], s[0:1], 16
	s_sub_u32 s10, s2, s8
	s_subb_u32 s11, s3, s9
	s_or_b32 s0, s2, s6
	s_and_b32 s0, s0, 3
	s_cmp_eq_u32 s0, 0
	s_cbranch_scc1 .LBB96_21
; %bb.1:
	v_cmp_lt_i64_e64 s0, s[10:11], 1
	s_and_b32 vcc_lo, exec_lo, s0
	s_cbranch_vccnz .LBB96_20
; %bb.2:
	s_load_dword s0, s[4:5], 0xcb4
	v_cmp_gt_i64_e64 s1, 0x10000, s[10:11]
	v_add_co_u32 v12, s2, s8, v0
	v_add_co_ci_u32_e64 v13, null, s9, 0, s2
	v_cmp_gt_u64_e64 s2, 0x10000, s[10:11]
	s_and_b32 s1, s1, exec_lo
	s_cselect_b32 s13, s11, 0
	s_cselect_b32 s12, s10, 0x10000
	v_add_co_u32 v1, vcc_lo, s6, v12
	v_add_co_ci_u32_e64 v2, null, s7, v13, vcc_lo
	s_waitcnt lgkmcnt(0)
	s_and_b32 s0, s0, 0xffff
	s_and_b32 s1, s2, exec_lo
	s_mul_i32 s2, s0, 3
	s_cselect_b32 s15, s11, 0
	s_cselect_b32 s14, s10, 0x10000
	s_lshl_b32 s1, s0, 1
	s_lshl_b32 s18, s0, 2
	s_add_u32 s3, s8, s2
	s_addc_u32 s16, s9, 0
	s_add_u32 s3, s6, s3
	v_add_co_u32 v6, s2, s2, v0
	s_addc_u32 s16, s7, s16
	v_add_co_u32 v3, s3, s3, v0
	v_add_co_ci_u32_e64 v7, null, 0, 0, s2
	s_add_u32 s2, s8, s1
	v_add_co_ci_u32_e64 v5, null, s16, 0, s3
	s_addc_u32 s3, s9, 0
	s_add_u32 s2, s6, s2
	v_add_co_u32 v10, s1, s1, v0
	s_addc_u32 s3, s7, s3
	v_add_co_u32 v8, s2, s2, v0
	v_add_co_ci_u32_e64 v11, null, 0, 0, s1
	s_add_u32 s1, s6, s0
	v_add_co_ci_u32_e64 v9, null, s3, 0, s2
	s_addc_u32 s2, s7, 0
	v_add_co_u32 v12, vcc_lo, s1, v12
	v_add_co_u32 v14, s0, v0, s0
	v_add_co_ci_u32_e64 v13, null, s2, v13, vcc_lo
	v_add_co_ci_u32_e64 v15, null, 0, 0, s0
	s_mov_b64 s[16:17], 0
	s_branch .LBB96_4
.LBB96_3:                               ;   in Loop: Header=BB96_4 Depth=1
	s_or_b32 exec_lo, exec_lo, s0
	s_add_u32 s16, s16, s18
	s_addc_u32 s17, s17, 0
	v_cmp_lt_i64_e64 s0, s[16:17], s[12:13]
	s_and_b32 vcc_lo, exec_lo, s0
	s_cbranch_vccz .LBB96_20
.LBB96_4:                               ; =>This Inner Loop Header: Depth=1
	s_waitcnt vmcnt(0)
	v_add_co_u32 v16, s0, v0, s16
	v_add_co_ci_u32_e64 v17, null, 0, s17, s0
	v_cmp_gt_u64_e32 vcc_lo, s[14:15], v[16:17]
	v_mov_b32_e32 v17, 0
	s_and_saveexec_b32 s1, vcc_lo
	s_cbranch_execz .LBB96_6
; %bb.5:                                ;   in Loop: Header=BB96_4 Depth=1
	v_add_co_u32 v16, s0, v1, s16
	v_add_co_ci_u32_e64 v17, null, s17, v2, s0
	global_load_ubyte v17, v[16:17], off
.LBB96_6:                               ;   in Loop: Header=BB96_4 Depth=1
	s_or_b32 exec_lo, exec_lo, s1
	v_add_co_u32 v18, s0, v14, s16
	v_add_co_ci_u32_e64 v19, null, s17, v15, s0
	v_mov_b32_e32 v16, 0
	v_cmp_gt_u64_e64 s0, s[14:15], v[18:19]
	v_mov_b32_e32 v18, 0
	s_and_saveexec_b32 s2, s0
	s_cbranch_execz .LBB96_8
; %bb.7:                                ;   in Loop: Header=BB96_4 Depth=1
	v_add_co_u32 v18, s1, v12, s16
	v_add_co_ci_u32_e64 v19, null, s17, v13, s1
	global_load_ubyte v18, v[18:19], off
.LBB96_8:                               ;   in Loop: Header=BB96_4 Depth=1
	s_or_b32 exec_lo, exec_lo, s2
	v_add_co_u32 v19, s1, v10, s16
	v_add_co_ci_u32_e64 v20, null, s17, v11, s1
	v_cmp_gt_u64_e64 s1, s[14:15], v[19:20]
	s_and_saveexec_b32 s3, s1
	s_cbranch_execz .LBB96_10
; %bb.9:                                ;   in Loop: Header=BB96_4 Depth=1
	v_add_co_u32 v19, s2, v8, s16
	v_add_co_ci_u32_e64 v20, null, s17, v9, s2
	global_load_ubyte v16, v[19:20], off
.LBB96_10:                              ;   in Loop: Header=BB96_4 Depth=1
	s_or_b32 exec_lo, exec_lo, s3
	v_add_co_u32 v19, s2, v6, s16
	v_add_co_ci_u32_e64 v20, null, s17, v7, s2
	v_cmp_gt_u64_e64 s2, s[14:15], v[19:20]
	v_mov_b32_e32 v19, 0
	s_and_saveexec_b32 s19, s2
	s_cbranch_execnz .LBB96_15
; %bb.11:                               ;   in Loop: Header=BB96_4 Depth=1
	s_or_b32 exec_lo, exec_lo, s19
	s_and_saveexec_b32 s3, vcc_lo
	s_cbranch_execnz .LBB96_16
.LBB96_12:                              ;   in Loop: Header=BB96_4 Depth=1
	s_or_b32 exec_lo, exec_lo, s3
	s_and_saveexec_b32 s3, s0
	s_cbranch_execnz .LBB96_17
.LBB96_13:                              ;   in Loop: Header=BB96_4 Depth=1
	s_or_b32 exec_lo, exec_lo, s3
	s_and_saveexec_b32 s0, s1
	s_cbranch_execnz .LBB96_18
.LBB96_14:                              ;   in Loop: Header=BB96_4 Depth=1
	s_or_b32 exec_lo, exec_lo, s0
	s_and_saveexec_b32 s0, s2
	s_cbranch_execz .LBB96_3
	s_branch .LBB96_19
.LBB96_15:                              ;   in Loop: Header=BB96_4 Depth=1
	v_add_co_u32 v19, s3, v3, s16
	v_add_co_ci_u32_e64 v20, null, s17, v5, s3
	global_load_ubyte v19, v[19:20], off
	s_or_b32 exec_lo, exec_lo, s19
	s_and_saveexec_b32 s3, vcc_lo
	s_cbranch_execz .LBB96_12
.LBB96_16:                              ;   in Loop: Header=BB96_4 Depth=1
	v_add_co_u32 v20, vcc_lo, v1, s16
	s_waitcnt vmcnt(0)
	v_sub_nc_u16 v17, v17, v4
	v_add_co_ci_u32_e64 v21, null, s17, v2, vcc_lo
	global_store_byte v[20:21], v17, off
	s_or_b32 exec_lo, exec_lo, s3
	s_and_saveexec_b32 s3, s0
	s_cbranch_execz .LBB96_13
.LBB96_17:                              ;   in Loop: Header=BB96_4 Depth=1
	s_waitcnt vmcnt(0)
	v_add_co_u32 v17, vcc_lo, v12, s16
	v_sub_nc_u16 v20, v18, v4
	v_add_co_ci_u32_e64 v18, null, s17, v13, vcc_lo
	global_store_byte v[17:18], v20, off
	s_or_b32 exec_lo, exec_lo, s3
	s_and_saveexec_b32 s0, s1
	s_cbranch_execz .LBB96_14
.LBB96_18:                              ;   in Loop: Header=BB96_4 Depth=1
	s_waitcnt vmcnt(0)
	v_sub_nc_u16 v18, v16, v4
	v_add_co_u32 v16, vcc_lo, v8, s16
	v_add_co_ci_u32_e64 v17, null, s17, v9, vcc_lo
	global_store_byte v[16:17], v18, off
	s_or_b32 exec_lo, exec_lo, s0
	s_and_saveexec_b32 s0, s2
	s_cbranch_execz .LBB96_3
.LBB96_19:                              ;   in Loop: Header=BB96_4 Depth=1
	s_waitcnt vmcnt(0)
	v_add_co_u32 v16, vcc_lo, v3, s16
	v_sub_nc_u16 v18, v19, v4
	v_add_co_ci_u32_e64 v17, null, s17, v5, vcc_lo
	global_store_byte v[16:17], v18, off
	s_branch .LBB96_3
.LBB96_20:
	s_cbranch_execz .LBB96_22
	s_branch .LBB96_25
.LBB96_21:
.LBB96_22:
	v_cmp_gt_i64_e64 s0, 0x10000, s[10:11]
	v_mov_b32_e32 v3, 0
	v_lshlrev_b32_e32 v2, 2, v0
	s_mov_b32 s1, 0
	s_and_b32 s0, s0, exec_lo
	s_cselect_b32 s3, s11, 0
	s_cselect_b32 s2, s10, 0x10000
	s_mov_b32 s0, exec_lo
	v_cmpx_gt_i64_e64 s[2:3], v[2:3]
	s_cbranch_execz .LBB96_25
; %bb.23:
	s_load_dword s0, s[4:5], 0xcb4
	v_mov_b32_e32 v1, v3
	s_waitcnt lgkmcnt(0)
	s_and_b32 s4, s0, 0xffff
	s_add_u32 s0, s6, s8
	s_addc_u32 s5, s7, s9
	v_add_co_u32 v2, s0, s0, v2
	v_add_co_ci_u32_e64 v3, null, s5, 0, s0
	s_lshl_b32 s5, s4, 2
	s_inst_prefetch 0x1
	.p2align	6
.LBB96_24:                              ; =>This Inner Loop Header: Depth=1
	global_load_dword v5, v[2:3], off
	v_add_co_u32 v0, vcc_lo, v0, s4
	v_add_co_ci_u32_e64 v1, null, 0, v1, vcc_lo
	s_waitcnt vmcnt(0)
	v_lshrrev_b32_e32 v6, 8, v5
	v_lshrrev_b32_e32 v7, 24, v5
	;; [unrolled: 1-line block ×3, first 2 shown]
	v_sub_nc_u16 v5, v5, v4
	v_sub_nc_u16 v6, v6, v4
	;; [unrolled: 1-line block ×4, first 2 shown]
	v_lshlrev_b16 v6, 8, v6
	v_lshlrev_b16 v7, 8, v7
	v_or_b32_sdwa v9, v5, v6 dst_sel:DWORD dst_unused:UNUSED_PAD src0_sel:BYTE_0 src1_sel:DWORD
	v_or_b32_sdwa v7, v8, v7 dst_sel:WORD_1 dst_unused:UNUSED_PAD src0_sel:BYTE_0 src1_sel:DWORD
	v_lshlrev_b64 v[5:6], 2, v[0:1]
	v_or_b32_sdwa v7, v9, v7 dst_sel:DWORD dst_unused:UNUSED_PAD src0_sel:WORD_0 src1_sel:DWORD
	v_cmp_le_i64_e32 vcc_lo, s[2:3], v[5:6]
	global_store_dword v[2:3], v7, off
	v_add_co_u32 v2, s0, v2, s5
	v_add_co_ci_u32_e64 v3, null, 0, v3, s0
	s_or_b32 s1, vcc_lo, s1
	s_andn2_b32 exec_lo, exec_lo, s1
	s_cbranch_execnz .LBB96_24
.LBB96_25:
	s_inst_prefetch 0x2
	s_endpgm
	.section	.rodata,"a",@progbits
	.p2align	6, 0x0
	.amdhsa_kernel _ZN2at6native12_GLOBAL__N_125multi_tensor_apply_kernelINS1_28TensorListScalarListMetadataIhLi1EEENS1_25BinaryOpScalarListFunctorIhLi1ELi1ELi0EEEJSt5minusIhEEEEvT_T0_DpT1_
		.amdhsa_group_segment_fixed_size 0
		.amdhsa_private_segment_fixed_size 0
		.amdhsa_kernarg_size 3496
		.amdhsa_user_sgpr_count 6
		.amdhsa_user_sgpr_private_segment_buffer 1
		.amdhsa_user_sgpr_dispatch_ptr 0
		.amdhsa_user_sgpr_queue_ptr 0
		.amdhsa_user_sgpr_kernarg_segment_ptr 1
		.amdhsa_user_sgpr_dispatch_id 0
		.amdhsa_user_sgpr_flat_scratch_init 0
		.amdhsa_user_sgpr_private_segment_size 0
		.amdhsa_wavefront_size32 1
		.amdhsa_uses_dynamic_stack 0
		.amdhsa_system_sgpr_private_segment_wavefront_offset 0
		.amdhsa_system_sgpr_workgroup_id_x 1
		.amdhsa_system_sgpr_workgroup_id_y 0
		.amdhsa_system_sgpr_workgroup_id_z 0
		.amdhsa_system_sgpr_workgroup_info 0
		.amdhsa_system_vgpr_workitem_id 0
		.amdhsa_next_free_vgpr 22
		.amdhsa_next_free_sgpr 20
		.amdhsa_reserve_vcc 1
		.amdhsa_reserve_flat_scratch 0
		.amdhsa_float_round_mode_32 0
		.amdhsa_float_round_mode_16_64 0
		.amdhsa_float_denorm_mode_32 3
		.amdhsa_float_denorm_mode_16_64 3
		.amdhsa_dx10_clamp 1
		.amdhsa_ieee_mode 1
		.amdhsa_fp16_overflow 0
		.amdhsa_workgroup_processor_mode 1
		.amdhsa_memory_ordered 1
		.amdhsa_forward_progress 1
		.amdhsa_shared_vgpr_count 0
		.amdhsa_exception_fp_ieee_invalid_op 0
		.amdhsa_exception_fp_denorm_src 0
		.amdhsa_exception_fp_ieee_div_zero 0
		.amdhsa_exception_fp_ieee_overflow 0
		.amdhsa_exception_fp_ieee_underflow 0
		.amdhsa_exception_fp_ieee_inexact 0
		.amdhsa_exception_int_div_zero 0
	.end_amdhsa_kernel
	.section	.text._ZN2at6native12_GLOBAL__N_125multi_tensor_apply_kernelINS1_28TensorListScalarListMetadataIhLi1EEENS1_25BinaryOpScalarListFunctorIhLi1ELi1ELi0EEEJSt5minusIhEEEEvT_T0_DpT1_,"axG",@progbits,_ZN2at6native12_GLOBAL__N_125multi_tensor_apply_kernelINS1_28TensorListScalarListMetadataIhLi1EEENS1_25BinaryOpScalarListFunctorIhLi1ELi1ELi0EEEJSt5minusIhEEEEvT_T0_DpT1_,comdat
.Lfunc_end96:
	.size	_ZN2at6native12_GLOBAL__N_125multi_tensor_apply_kernelINS1_28TensorListScalarListMetadataIhLi1EEENS1_25BinaryOpScalarListFunctorIhLi1ELi1ELi0EEEJSt5minusIhEEEEvT_T0_DpT1_, .Lfunc_end96-_ZN2at6native12_GLOBAL__N_125multi_tensor_apply_kernelINS1_28TensorListScalarListMetadataIhLi1EEENS1_25BinaryOpScalarListFunctorIhLi1ELi1ELi0EEEJSt5minusIhEEEEvT_T0_DpT1_
                                        ; -- End function
	.set _ZN2at6native12_GLOBAL__N_125multi_tensor_apply_kernelINS1_28TensorListScalarListMetadataIhLi1EEENS1_25BinaryOpScalarListFunctorIhLi1ELi1ELi0EEEJSt5minusIhEEEEvT_T0_DpT1_.num_vgpr, 22
	.set _ZN2at6native12_GLOBAL__N_125multi_tensor_apply_kernelINS1_28TensorListScalarListMetadataIhLi1EEENS1_25BinaryOpScalarListFunctorIhLi1ELi1ELi0EEEJSt5minusIhEEEEvT_T0_DpT1_.num_agpr, 0
	.set _ZN2at6native12_GLOBAL__N_125multi_tensor_apply_kernelINS1_28TensorListScalarListMetadataIhLi1EEENS1_25BinaryOpScalarListFunctorIhLi1ELi1ELi0EEEJSt5minusIhEEEEvT_T0_DpT1_.numbered_sgpr, 20
	.set _ZN2at6native12_GLOBAL__N_125multi_tensor_apply_kernelINS1_28TensorListScalarListMetadataIhLi1EEENS1_25BinaryOpScalarListFunctorIhLi1ELi1ELi0EEEJSt5minusIhEEEEvT_T0_DpT1_.num_named_barrier, 0
	.set _ZN2at6native12_GLOBAL__N_125multi_tensor_apply_kernelINS1_28TensorListScalarListMetadataIhLi1EEENS1_25BinaryOpScalarListFunctorIhLi1ELi1ELi0EEEJSt5minusIhEEEEvT_T0_DpT1_.private_seg_size, 0
	.set _ZN2at6native12_GLOBAL__N_125multi_tensor_apply_kernelINS1_28TensorListScalarListMetadataIhLi1EEENS1_25BinaryOpScalarListFunctorIhLi1ELi1ELi0EEEJSt5minusIhEEEEvT_T0_DpT1_.uses_vcc, 1
	.set _ZN2at6native12_GLOBAL__N_125multi_tensor_apply_kernelINS1_28TensorListScalarListMetadataIhLi1EEENS1_25BinaryOpScalarListFunctorIhLi1ELi1ELi0EEEJSt5minusIhEEEEvT_T0_DpT1_.uses_flat_scratch, 0
	.set _ZN2at6native12_GLOBAL__N_125multi_tensor_apply_kernelINS1_28TensorListScalarListMetadataIhLi1EEENS1_25BinaryOpScalarListFunctorIhLi1ELi1ELi0EEEJSt5minusIhEEEEvT_T0_DpT1_.has_dyn_sized_stack, 0
	.set _ZN2at6native12_GLOBAL__N_125multi_tensor_apply_kernelINS1_28TensorListScalarListMetadataIhLi1EEENS1_25BinaryOpScalarListFunctorIhLi1ELi1ELi0EEEJSt5minusIhEEEEvT_T0_DpT1_.has_recursion, 0
	.set _ZN2at6native12_GLOBAL__N_125multi_tensor_apply_kernelINS1_28TensorListScalarListMetadataIhLi1EEENS1_25BinaryOpScalarListFunctorIhLi1ELi1ELi0EEEJSt5minusIhEEEEvT_T0_DpT1_.has_indirect_call, 0
	.section	.AMDGPU.csdata,"",@progbits
; Kernel info:
; codeLenInByte = 1256
; TotalNumSgprs: 22
; NumVgprs: 22
; ScratchSize: 0
; MemoryBound: 0
; FloatMode: 240
; IeeeMode: 1
; LDSByteSize: 0 bytes/workgroup (compile time only)
; SGPRBlocks: 0
; VGPRBlocks: 2
; NumSGPRsForWavesPerEU: 22
; NumVGPRsForWavesPerEU: 22
; Occupancy: 16
; WaveLimiterHint : 0
; COMPUTE_PGM_RSRC2:SCRATCH_EN: 0
; COMPUTE_PGM_RSRC2:USER_SGPR: 6
; COMPUTE_PGM_RSRC2:TRAP_HANDLER: 0
; COMPUTE_PGM_RSRC2:TGID_X_EN: 1
; COMPUTE_PGM_RSRC2:TGID_Y_EN: 0
; COMPUTE_PGM_RSRC2:TGID_Z_EN: 0
; COMPUTE_PGM_RSRC2:TIDIG_COMP_CNT: 0
	.section	.text._ZN2at6native12_GLOBAL__N_125multi_tensor_apply_kernelINS1_28TensorListScalarListMetadataIaLi1EEENS1_25BinaryOpScalarListFunctorIaLi1ELi1ELi0EEEJSt5minusIaEEEEvT_T0_DpT1_,"axG",@progbits,_ZN2at6native12_GLOBAL__N_125multi_tensor_apply_kernelINS1_28TensorListScalarListMetadataIaLi1EEENS1_25BinaryOpScalarListFunctorIaLi1ELi1ELi0EEEJSt5minusIaEEEEvT_T0_DpT1_,comdat
	.globl	_ZN2at6native12_GLOBAL__N_125multi_tensor_apply_kernelINS1_28TensorListScalarListMetadataIaLi1EEENS1_25BinaryOpScalarListFunctorIaLi1ELi1ELi0EEEJSt5minusIaEEEEvT_T0_DpT1_ ; -- Begin function _ZN2at6native12_GLOBAL__N_125multi_tensor_apply_kernelINS1_28TensorListScalarListMetadataIaLi1EEENS1_25BinaryOpScalarListFunctorIaLi1ELi1ELi0EEEJSt5minusIaEEEEvT_T0_DpT1_
	.p2align	8
	.type	_ZN2at6native12_GLOBAL__N_125multi_tensor_apply_kernelINS1_28TensorListScalarListMetadataIaLi1EEENS1_25BinaryOpScalarListFunctorIaLi1ELi1ELi0EEEJSt5minusIaEEEEvT_T0_DpT1_,@function
_ZN2at6native12_GLOBAL__N_125multi_tensor_apply_kernelINS1_28TensorListScalarListMetadataIaLi1EEENS1_25BinaryOpScalarListFunctorIaLi1ELi1ELi0EEEJSt5minusIaEEEEvT_T0_DpT1_: ; @_ZN2at6native12_GLOBAL__N_125multi_tensor_apply_kernelINS1_28TensorListScalarListMetadataIaLi1EEENS1_25BinaryOpScalarListFunctorIaLi1ELi1ELi0EEEJSt5minusIaEEEEvT_T0_DpT1_
; %bb.0:
	v_mov_b32_e32 v1, s6
	s_mul_i32 s2, s6, 3
	s_mul_hi_u32 s3, s6, 3
	global_load_ubyte v3, v1, s[4:5] offset:1632
	s_waitcnt vmcnt(0)
	v_add_co_u32 v1, s0, s4, v3
	v_add_co_ci_u32_e64 v2, null, s5, 0, s0
	s_add_u32 s0, s4, s6
	s_addc_u32 s1, s5, 0
	s_add_u32 s0, s0, s2
	global_load_ubyte v4, v[1:2], off offset:1536
	v_readfirstlane_b32 s2, v3
	s_addc_u32 s1, s1, s3
	s_load_dword s0, s[0:1], 0x7a0
	s_lshl_b32 s1, s2, 3
	s_clause 0x1
	s_load_dwordx2 s[2:3], s[4:5], s1 offset:0x300
	s_load_dwordx2 s[6:7], s[4:5], s1 offset:0x0
	s_waitcnt lgkmcnt(0)
	s_ashr_i32 s1, s0, 31
	s_lshl_b64 s[8:9], s[0:1], 16
	s_sub_u32 s10, s2, s8
	s_subb_u32 s11, s3, s9
	s_or_b32 s0, s2, s6
	s_and_b32 s0, s0, 3
	s_cmp_eq_u32 s0, 0
	s_cbranch_scc1 .LBB97_21
; %bb.1:
	v_cmp_lt_i64_e64 s0, s[10:11], 1
	s_and_b32 vcc_lo, exec_lo, s0
	s_cbranch_vccnz .LBB97_20
; %bb.2:
	s_load_dword s0, s[4:5], 0xcb4
	v_cmp_gt_i64_e64 s1, 0x10000, s[10:11]
	v_add_co_u32 v12, s2, s8, v0
	v_add_co_ci_u32_e64 v13, null, s9, 0, s2
	v_cmp_gt_u64_e64 s2, 0x10000, s[10:11]
	s_and_b32 s1, s1, exec_lo
	s_cselect_b32 s13, s11, 0
	s_cselect_b32 s12, s10, 0x10000
	v_add_co_u32 v1, vcc_lo, s6, v12
	v_add_co_ci_u32_e64 v2, null, s7, v13, vcc_lo
	s_waitcnt lgkmcnt(0)
	s_and_b32 s0, s0, 0xffff
	s_and_b32 s1, s2, exec_lo
	s_mul_i32 s2, s0, 3
	s_cselect_b32 s15, s11, 0
	s_cselect_b32 s14, s10, 0x10000
	s_lshl_b32 s1, s0, 1
	s_lshl_b32 s18, s0, 2
	s_add_u32 s3, s8, s2
	s_addc_u32 s16, s9, 0
	s_add_u32 s3, s6, s3
	v_add_co_u32 v6, s2, s2, v0
	s_addc_u32 s16, s7, s16
	v_add_co_u32 v3, s3, s3, v0
	v_add_co_ci_u32_e64 v7, null, 0, 0, s2
	s_add_u32 s2, s8, s1
	v_add_co_ci_u32_e64 v5, null, s16, 0, s3
	s_addc_u32 s3, s9, 0
	s_add_u32 s2, s6, s2
	v_add_co_u32 v10, s1, s1, v0
	s_addc_u32 s3, s7, s3
	v_add_co_u32 v8, s2, s2, v0
	v_add_co_ci_u32_e64 v11, null, 0, 0, s1
	s_add_u32 s1, s6, s0
	v_add_co_ci_u32_e64 v9, null, s3, 0, s2
	s_addc_u32 s2, s7, 0
	v_add_co_u32 v12, vcc_lo, s1, v12
	v_add_co_u32 v14, s0, v0, s0
	v_add_co_ci_u32_e64 v13, null, s2, v13, vcc_lo
	v_add_co_ci_u32_e64 v15, null, 0, 0, s0
	s_mov_b64 s[16:17], 0
	s_branch .LBB97_4
.LBB97_3:                               ;   in Loop: Header=BB97_4 Depth=1
	s_or_b32 exec_lo, exec_lo, s0
	s_add_u32 s16, s16, s18
	s_addc_u32 s17, s17, 0
	v_cmp_lt_i64_e64 s0, s[16:17], s[12:13]
	s_and_b32 vcc_lo, exec_lo, s0
	s_cbranch_vccz .LBB97_20
.LBB97_4:                               ; =>This Inner Loop Header: Depth=1
	s_waitcnt vmcnt(0)
	v_add_co_u32 v16, s0, v0, s16
	v_add_co_ci_u32_e64 v17, null, 0, s17, s0
	v_cmp_gt_u64_e32 vcc_lo, s[14:15], v[16:17]
	v_mov_b32_e32 v17, 0
	s_and_saveexec_b32 s1, vcc_lo
	s_cbranch_execz .LBB97_6
; %bb.5:                                ;   in Loop: Header=BB97_4 Depth=1
	v_add_co_u32 v16, s0, v1, s16
	v_add_co_ci_u32_e64 v17, null, s17, v2, s0
	global_load_ubyte v17, v[16:17], off
.LBB97_6:                               ;   in Loop: Header=BB97_4 Depth=1
	s_or_b32 exec_lo, exec_lo, s1
	v_add_co_u32 v18, s0, v14, s16
	v_add_co_ci_u32_e64 v19, null, s17, v15, s0
	v_mov_b32_e32 v16, 0
	v_cmp_gt_u64_e64 s0, s[14:15], v[18:19]
	v_mov_b32_e32 v18, 0
	s_and_saveexec_b32 s2, s0
	s_cbranch_execz .LBB97_8
; %bb.7:                                ;   in Loop: Header=BB97_4 Depth=1
	v_add_co_u32 v18, s1, v12, s16
	v_add_co_ci_u32_e64 v19, null, s17, v13, s1
	global_load_ubyte v18, v[18:19], off
.LBB97_8:                               ;   in Loop: Header=BB97_4 Depth=1
	s_or_b32 exec_lo, exec_lo, s2
	v_add_co_u32 v19, s1, v10, s16
	v_add_co_ci_u32_e64 v20, null, s17, v11, s1
	v_cmp_gt_u64_e64 s1, s[14:15], v[19:20]
	s_and_saveexec_b32 s3, s1
	s_cbranch_execz .LBB97_10
; %bb.9:                                ;   in Loop: Header=BB97_4 Depth=1
	v_add_co_u32 v19, s2, v8, s16
	v_add_co_ci_u32_e64 v20, null, s17, v9, s2
	global_load_ubyte v16, v[19:20], off
.LBB97_10:                              ;   in Loop: Header=BB97_4 Depth=1
	s_or_b32 exec_lo, exec_lo, s3
	v_add_co_u32 v19, s2, v6, s16
	v_add_co_ci_u32_e64 v20, null, s17, v7, s2
	v_cmp_gt_u64_e64 s2, s[14:15], v[19:20]
	v_mov_b32_e32 v19, 0
	s_and_saveexec_b32 s19, s2
	s_cbranch_execnz .LBB97_15
; %bb.11:                               ;   in Loop: Header=BB97_4 Depth=1
	s_or_b32 exec_lo, exec_lo, s19
	s_and_saveexec_b32 s3, vcc_lo
	s_cbranch_execnz .LBB97_16
.LBB97_12:                              ;   in Loop: Header=BB97_4 Depth=1
	s_or_b32 exec_lo, exec_lo, s3
	s_and_saveexec_b32 s3, s0
	s_cbranch_execnz .LBB97_17
.LBB97_13:                              ;   in Loop: Header=BB97_4 Depth=1
	s_or_b32 exec_lo, exec_lo, s3
	s_and_saveexec_b32 s0, s1
	s_cbranch_execnz .LBB97_18
.LBB97_14:                              ;   in Loop: Header=BB97_4 Depth=1
	s_or_b32 exec_lo, exec_lo, s0
	s_and_saveexec_b32 s0, s2
	s_cbranch_execz .LBB97_3
	s_branch .LBB97_19
.LBB97_15:                              ;   in Loop: Header=BB97_4 Depth=1
	v_add_co_u32 v19, s3, v3, s16
	v_add_co_ci_u32_e64 v20, null, s17, v5, s3
	global_load_ubyte v19, v[19:20], off
	s_or_b32 exec_lo, exec_lo, s19
	s_and_saveexec_b32 s3, vcc_lo
	s_cbranch_execz .LBB97_12
.LBB97_16:                              ;   in Loop: Header=BB97_4 Depth=1
	v_add_co_u32 v20, vcc_lo, v1, s16
	s_waitcnt vmcnt(0)
	v_sub_nc_u16 v17, v17, v4
	v_add_co_ci_u32_e64 v21, null, s17, v2, vcc_lo
	global_store_byte v[20:21], v17, off
	s_or_b32 exec_lo, exec_lo, s3
	s_and_saveexec_b32 s3, s0
	s_cbranch_execz .LBB97_13
.LBB97_17:                              ;   in Loop: Header=BB97_4 Depth=1
	s_waitcnt vmcnt(0)
	v_add_co_u32 v17, vcc_lo, v12, s16
	v_sub_nc_u16 v20, v18, v4
	v_add_co_ci_u32_e64 v18, null, s17, v13, vcc_lo
	global_store_byte v[17:18], v20, off
	s_or_b32 exec_lo, exec_lo, s3
	s_and_saveexec_b32 s0, s1
	s_cbranch_execz .LBB97_14
.LBB97_18:                              ;   in Loop: Header=BB97_4 Depth=1
	s_waitcnt vmcnt(0)
	v_sub_nc_u16 v18, v16, v4
	v_add_co_u32 v16, vcc_lo, v8, s16
	v_add_co_ci_u32_e64 v17, null, s17, v9, vcc_lo
	global_store_byte v[16:17], v18, off
	s_or_b32 exec_lo, exec_lo, s0
	s_and_saveexec_b32 s0, s2
	s_cbranch_execz .LBB97_3
.LBB97_19:                              ;   in Loop: Header=BB97_4 Depth=1
	s_waitcnt vmcnt(0)
	v_add_co_u32 v16, vcc_lo, v3, s16
	v_sub_nc_u16 v18, v19, v4
	v_add_co_ci_u32_e64 v17, null, s17, v5, vcc_lo
	global_store_byte v[16:17], v18, off
	s_branch .LBB97_3
.LBB97_20:
	s_cbranch_execz .LBB97_22
	s_branch .LBB97_25
.LBB97_21:
.LBB97_22:
	v_cmp_gt_i64_e64 s0, 0x10000, s[10:11]
	v_mov_b32_e32 v3, 0
	v_lshlrev_b32_e32 v2, 2, v0
	s_mov_b32 s1, 0
	s_and_b32 s0, s0, exec_lo
	s_cselect_b32 s3, s11, 0
	s_cselect_b32 s2, s10, 0x10000
	s_mov_b32 s0, exec_lo
	v_cmpx_gt_i64_e64 s[2:3], v[2:3]
	s_cbranch_execz .LBB97_25
; %bb.23:
	s_load_dword s0, s[4:5], 0xcb4
	v_mov_b32_e32 v1, v3
	s_waitcnt lgkmcnt(0)
	s_and_b32 s4, s0, 0xffff
	s_add_u32 s0, s6, s8
	s_addc_u32 s5, s7, s9
	v_add_co_u32 v2, s0, s0, v2
	v_add_co_ci_u32_e64 v3, null, s5, 0, s0
	s_lshl_b32 s5, s4, 2
	s_inst_prefetch 0x1
	.p2align	6
.LBB97_24:                              ; =>This Inner Loop Header: Depth=1
	global_load_dword v5, v[2:3], off
	v_add_co_u32 v0, vcc_lo, v0, s4
	v_add_co_ci_u32_e64 v1, null, 0, v1, vcc_lo
	s_waitcnt vmcnt(0)
	v_lshrrev_b32_e32 v6, 8, v5
	v_lshrrev_b32_e32 v7, 24, v5
	;; [unrolled: 1-line block ×3, first 2 shown]
	v_sub_nc_u16 v5, v5, v4
	v_sub_nc_u16 v6, v6, v4
	;; [unrolled: 1-line block ×4, first 2 shown]
	v_lshlrev_b16 v6, 8, v6
	v_lshlrev_b16 v7, 8, v7
	v_or_b32_sdwa v9, v5, v6 dst_sel:DWORD dst_unused:UNUSED_PAD src0_sel:BYTE_0 src1_sel:DWORD
	v_or_b32_sdwa v7, v8, v7 dst_sel:WORD_1 dst_unused:UNUSED_PAD src0_sel:BYTE_0 src1_sel:DWORD
	v_lshlrev_b64 v[5:6], 2, v[0:1]
	v_or_b32_sdwa v7, v9, v7 dst_sel:DWORD dst_unused:UNUSED_PAD src0_sel:WORD_0 src1_sel:DWORD
	v_cmp_le_i64_e32 vcc_lo, s[2:3], v[5:6]
	global_store_dword v[2:3], v7, off
	v_add_co_u32 v2, s0, v2, s5
	v_add_co_ci_u32_e64 v3, null, 0, v3, s0
	s_or_b32 s1, vcc_lo, s1
	s_andn2_b32 exec_lo, exec_lo, s1
	s_cbranch_execnz .LBB97_24
.LBB97_25:
	s_inst_prefetch 0x2
	s_endpgm
	.section	.rodata,"a",@progbits
	.p2align	6, 0x0
	.amdhsa_kernel _ZN2at6native12_GLOBAL__N_125multi_tensor_apply_kernelINS1_28TensorListScalarListMetadataIaLi1EEENS1_25BinaryOpScalarListFunctorIaLi1ELi1ELi0EEEJSt5minusIaEEEEvT_T0_DpT1_
		.amdhsa_group_segment_fixed_size 0
		.amdhsa_private_segment_fixed_size 0
		.amdhsa_kernarg_size 3496
		.amdhsa_user_sgpr_count 6
		.amdhsa_user_sgpr_private_segment_buffer 1
		.amdhsa_user_sgpr_dispatch_ptr 0
		.amdhsa_user_sgpr_queue_ptr 0
		.amdhsa_user_sgpr_kernarg_segment_ptr 1
		.amdhsa_user_sgpr_dispatch_id 0
		.amdhsa_user_sgpr_flat_scratch_init 0
		.amdhsa_user_sgpr_private_segment_size 0
		.amdhsa_wavefront_size32 1
		.amdhsa_uses_dynamic_stack 0
		.amdhsa_system_sgpr_private_segment_wavefront_offset 0
		.amdhsa_system_sgpr_workgroup_id_x 1
		.amdhsa_system_sgpr_workgroup_id_y 0
		.amdhsa_system_sgpr_workgroup_id_z 0
		.amdhsa_system_sgpr_workgroup_info 0
		.amdhsa_system_vgpr_workitem_id 0
		.amdhsa_next_free_vgpr 22
		.amdhsa_next_free_sgpr 20
		.amdhsa_reserve_vcc 1
		.amdhsa_reserve_flat_scratch 0
		.amdhsa_float_round_mode_32 0
		.amdhsa_float_round_mode_16_64 0
		.amdhsa_float_denorm_mode_32 3
		.amdhsa_float_denorm_mode_16_64 3
		.amdhsa_dx10_clamp 1
		.amdhsa_ieee_mode 1
		.amdhsa_fp16_overflow 0
		.amdhsa_workgroup_processor_mode 1
		.amdhsa_memory_ordered 1
		.amdhsa_forward_progress 1
		.amdhsa_shared_vgpr_count 0
		.amdhsa_exception_fp_ieee_invalid_op 0
		.amdhsa_exception_fp_denorm_src 0
		.amdhsa_exception_fp_ieee_div_zero 0
		.amdhsa_exception_fp_ieee_overflow 0
		.amdhsa_exception_fp_ieee_underflow 0
		.amdhsa_exception_fp_ieee_inexact 0
		.amdhsa_exception_int_div_zero 0
	.end_amdhsa_kernel
	.section	.text._ZN2at6native12_GLOBAL__N_125multi_tensor_apply_kernelINS1_28TensorListScalarListMetadataIaLi1EEENS1_25BinaryOpScalarListFunctorIaLi1ELi1ELi0EEEJSt5minusIaEEEEvT_T0_DpT1_,"axG",@progbits,_ZN2at6native12_GLOBAL__N_125multi_tensor_apply_kernelINS1_28TensorListScalarListMetadataIaLi1EEENS1_25BinaryOpScalarListFunctorIaLi1ELi1ELi0EEEJSt5minusIaEEEEvT_T0_DpT1_,comdat
.Lfunc_end97:
	.size	_ZN2at6native12_GLOBAL__N_125multi_tensor_apply_kernelINS1_28TensorListScalarListMetadataIaLi1EEENS1_25BinaryOpScalarListFunctorIaLi1ELi1ELi0EEEJSt5minusIaEEEEvT_T0_DpT1_, .Lfunc_end97-_ZN2at6native12_GLOBAL__N_125multi_tensor_apply_kernelINS1_28TensorListScalarListMetadataIaLi1EEENS1_25BinaryOpScalarListFunctorIaLi1ELi1ELi0EEEJSt5minusIaEEEEvT_T0_DpT1_
                                        ; -- End function
	.set _ZN2at6native12_GLOBAL__N_125multi_tensor_apply_kernelINS1_28TensorListScalarListMetadataIaLi1EEENS1_25BinaryOpScalarListFunctorIaLi1ELi1ELi0EEEJSt5minusIaEEEEvT_T0_DpT1_.num_vgpr, 22
	.set _ZN2at6native12_GLOBAL__N_125multi_tensor_apply_kernelINS1_28TensorListScalarListMetadataIaLi1EEENS1_25BinaryOpScalarListFunctorIaLi1ELi1ELi0EEEJSt5minusIaEEEEvT_T0_DpT1_.num_agpr, 0
	.set _ZN2at6native12_GLOBAL__N_125multi_tensor_apply_kernelINS1_28TensorListScalarListMetadataIaLi1EEENS1_25BinaryOpScalarListFunctorIaLi1ELi1ELi0EEEJSt5minusIaEEEEvT_T0_DpT1_.numbered_sgpr, 20
	.set _ZN2at6native12_GLOBAL__N_125multi_tensor_apply_kernelINS1_28TensorListScalarListMetadataIaLi1EEENS1_25BinaryOpScalarListFunctorIaLi1ELi1ELi0EEEJSt5minusIaEEEEvT_T0_DpT1_.num_named_barrier, 0
	.set _ZN2at6native12_GLOBAL__N_125multi_tensor_apply_kernelINS1_28TensorListScalarListMetadataIaLi1EEENS1_25BinaryOpScalarListFunctorIaLi1ELi1ELi0EEEJSt5minusIaEEEEvT_T0_DpT1_.private_seg_size, 0
	.set _ZN2at6native12_GLOBAL__N_125multi_tensor_apply_kernelINS1_28TensorListScalarListMetadataIaLi1EEENS1_25BinaryOpScalarListFunctorIaLi1ELi1ELi0EEEJSt5minusIaEEEEvT_T0_DpT1_.uses_vcc, 1
	.set _ZN2at6native12_GLOBAL__N_125multi_tensor_apply_kernelINS1_28TensorListScalarListMetadataIaLi1EEENS1_25BinaryOpScalarListFunctorIaLi1ELi1ELi0EEEJSt5minusIaEEEEvT_T0_DpT1_.uses_flat_scratch, 0
	.set _ZN2at6native12_GLOBAL__N_125multi_tensor_apply_kernelINS1_28TensorListScalarListMetadataIaLi1EEENS1_25BinaryOpScalarListFunctorIaLi1ELi1ELi0EEEJSt5minusIaEEEEvT_T0_DpT1_.has_dyn_sized_stack, 0
	.set _ZN2at6native12_GLOBAL__N_125multi_tensor_apply_kernelINS1_28TensorListScalarListMetadataIaLi1EEENS1_25BinaryOpScalarListFunctorIaLi1ELi1ELi0EEEJSt5minusIaEEEEvT_T0_DpT1_.has_recursion, 0
	.set _ZN2at6native12_GLOBAL__N_125multi_tensor_apply_kernelINS1_28TensorListScalarListMetadataIaLi1EEENS1_25BinaryOpScalarListFunctorIaLi1ELi1ELi0EEEJSt5minusIaEEEEvT_T0_DpT1_.has_indirect_call, 0
	.section	.AMDGPU.csdata,"",@progbits
; Kernel info:
; codeLenInByte = 1256
; TotalNumSgprs: 22
; NumVgprs: 22
; ScratchSize: 0
; MemoryBound: 0
; FloatMode: 240
; IeeeMode: 1
; LDSByteSize: 0 bytes/workgroup (compile time only)
; SGPRBlocks: 0
; VGPRBlocks: 2
; NumSGPRsForWavesPerEU: 22
; NumVGPRsForWavesPerEU: 22
; Occupancy: 16
; WaveLimiterHint : 0
; COMPUTE_PGM_RSRC2:SCRATCH_EN: 0
; COMPUTE_PGM_RSRC2:USER_SGPR: 6
; COMPUTE_PGM_RSRC2:TRAP_HANDLER: 0
; COMPUTE_PGM_RSRC2:TGID_X_EN: 1
; COMPUTE_PGM_RSRC2:TGID_Y_EN: 0
; COMPUTE_PGM_RSRC2:TGID_Z_EN: 0
; COMPUTE_PGM_RSRC2:TIDIG_COMP_CNT: 0
	.section	.text._ZN2at6native12_GLOBAL__N_125multi_tensor_apply_kernelINS1_28TensorListScalarListMetadataIiLi1EEENS1_25BinaryOpScalarListFunctorIiLi1ELi1ELi0EEEJSt5minusIiEEEEvT_T0_DpT1_,"axG",@progbits,_ZN2at6native12_GLOBAL__N_125multi_tensor_apply_kernelINS1_28TensorListScalarListMetadataIiLi1EEENS1_25BinaryOpScalarListFunctorIiLi1ELi1ELi0EEEJSt5minusIiEEEEvT_T0_DpT1_,comdat
	.globl	_ZN2at6native12_GLOBAL__N_125multi_tensor_apply_kernelINS1_28TensorListScalarListMetadataIiLi1EEENS1_25BinaryOpScalarListFunctorIiLi1ELi1ELi0EEEJSt5minusIiEEEEvT_T0_DpT1_ ; -- Begin function _ZN2at6native12_GLOBAL__N_125multi_tensor_apply_kernelINS1_28TensorListScalarListMetadataIiLi1EEENS1_25BinaryOpScalarListFunctorIiLi1ELi1ELi0EEEJSt5minusIiEEEEvT_T0_DpT1_
	.p2align	8
	.type	_ZN2at6native12_GLOBAL__N_125multi_tensor_apply_kernelINS1_28TensorListScalarListMetadataIiLi1EEENS1_25BinaryOpScalarListFunctorIiLi1ELi1ELi0EEEJSt5minusIiEEEEvT_T0_DpT1_,@function
_ZN2at6native12_GLOBAL__N_125multi_tensor_apply_kernelINS1_28TensorListScalarListMetadataIiLi1EEENS1_25BinaryOpScalarListFunctorIiLi1ELi1ELi0EEEJSt5minusIiEEEEvT_T0_DpT1_: ; @_ZN2at6native12_GLOBAL__N_125multi_tensor_apply_kernelINS1_28TensorListScalarListMetadataIiLi1EEENS1_25BinaryOpScalarListFunctorIiLi1ELi1ELi0EEEJSt5minusIiEEEEvT_T0_DpT1_
; %bb.0:
	v_mov_b32_e32 v1, s6
	s_add_u32 s0, s4, s6
	s_mul_i32 s1, s6, 3
	s_mul_hi_u32 s2, s6, 3
	s_addc_u32 s3, s5, 0
	global_load_ubyte v1, v1, s[4:5] offset:1920
	s_add_u32 s0, s0, s1
	s_addc_u32 s1, s3, s2
	s_mov_b32 s13, 0
	s_load_dword s0, s[0:1], 0x8c0
	s_waitcnt vmcnt(0)
	v_readfirstlane_b32 s1, v1
	v_lshlrev_b32_e32 v1, 2, v1
	s_lshl_b32 s8, s1, 3
	v_sub_co_u32 v1, s1, 0, v1
	v_sub_co_ci_u32_e64 v2, null, 0, 0, s1
	s_waitcnt lgkmcnt(0)
	s_ashr_i32 s1, s0, 31
	s_clause 0x1
	s_load_dwordx2 s[2:3], s[4:5], s8 offset:0x300
	s_load_dwordx2 s[6:7], s[4:5], s8 offset:0x0
	s_add_u32 s8, s4, s8
	s_addc_u32 s9, s5, 0
	v_add_co_u32 v1, vcc_lo, s8, v1
	v_add_co_ci_u32_e64 v2, null, s9, v2, vcc_lo
	v_readfirstlane_b32 s8, v1
	v_readfirstlane_b32 s9, v2
	s_load_dword s18, s[8:9], 0x600
	s_lshl_b64 s[8:9], s[0:1], 18
	s_lshl_b64 s[0:1], s[0:1], 16
	s_waitcnt lgkmcnt(0)
	s_and_b32 s12, s6, 15
	s_sub_u32 s10, s2, s0
	s_subb_u32 s11, s3, s1
	s_and_b32 s0, s2, 3
	s_mov_b32 s1, s13
	s_or_b64 s[0:1], s[12:13], s[0:1]
	s_cmp_eq_u64 s[0:1], 0
	s_cbranch_scc1 .LBB98_21
; %bb.1:
	v_cmp_lt_i64_e64 s0, s[10:11], 1
	s_and_b32 vcc_lo, exec_lo, s0
	s_cbranch_vccnz .LBB98_20
; %bb.2:
	s_load_dword s0, s[4:5], 0xdd4
	v_cmp_gt_i64_e64 s1, 0x10000, s[10:11]
	v_cmp_gt_u64_e64 s2, 0x10000, s[10:11]
	v_lshlrev_b32_e32 v1, 2, v0
	s_and_b32 s1, s1, exec_lo
	s_cselect_b32 s13, s11, 0
	s_cselect_b32 s12, s10, 0x10000
	s_waitcnt lgkmcnt(0)
	s_and_b32 s0, s0, 0xffff
	s_and_b32 s1, s2, exec_lo
	v_add_co_u32 v5, s3, v0, s0
	s_cselect_b32 s15, s11, 0
	s_cselect_b32 s14, s10, 0x10000
	s_lshl_b32 s1, s0, 1
	v_lshlrev_b32_e32 v3, 2, v5
	s_mul_i32 s2, s0, 3
	s_lshl_b32 s19, s0, 2
	s_add_u32 s16, s6, s8
	v_add_co_u32 v6, s2, s2, v0
	v_add_co_u32 v9, s1, s1, v0
	s_addc_u32 s17, s7, s9
	v_add_co_ci_u32_e64 v7, null, 0, 0, s2
	v_add_co_u32 v1, s2, s16, v1
	v_add_co_ci_u32_e64 v10, null, 0, 0, s1
	v_add_co_u32 v3, s1, s16, v3
	v_add_co_ci_u32_e64 v2, null, s17, 0, s2
	v_add_co_ci_u32_e64 v8, null, 0, 0, s3
	;; [unrolled: 1-line block ×3, first 2 shown]
	s_lshl_b32 s20, s0, 4
	s_mul_i32 s21, s0, 12
	s_lshl_b32 s22, s0, 3
	s_mov_b64 s[16:17], 0
	s_branch .LBB98_4
.LBB98_3:                               ;   in Loop: Header=BB98_4 Depth=1
	s_or_b32 exec_lo, exec_lo, s0
	s_add_u32 s16, s16, s19
	s_addc_u32 s17, s17, 0
	v_add_co_u32 v1, vcc_lo, v1, s20
	v_cmp_lt_i64_e64 s0, s[16:17], s[12:13]
	v_add_co_ci_u32_e64 v2, null, 0, v2, vcc_lo
	v_add_co_u32 v3, vcc_lo, v3, s20
	v_add_co_ci_u32_e64 v4, null, 0, v4, vcc_lo
	s_and_b32 vcc_lo, exec_lo, s0
	s_cbranch_vccz .LBB98_20
.LBB98_4:                               ; =>This Inner Loop Header: Depth=1
	s_waitcnt vmcnt(0)
	v_add_co_u32 v11, s0, v0, s16
	v_add_co_ci_u32_e64 v12, null, 0, s17, s0
	v_cmp_gt_u64_e32 vcc_lo, s[14:15], v[11:12]
	v_mov_b32_e32 v11, 0
	s_and_saveexec_b32 s0, vcc_lo
	s_cbranch_execz .LBB98_6
; %bb.5:                                ;   in Loop: Header=BB98_4 Depth=1
	global_load_dword v11, v[1:2], off
.LBB98_6:                               ;   in Loop: Header=BB98_4 Depth=1
	s_or_b32 exec_lo, exec_lo, s0
	v_add_co_u32 v12, s0, v5, s16
	v_add_co_ci_u32_e64 v13, null, s17, v8, s0
	v_cmp_gt_u64_e64 s0, s[14:15], v[12:13]
	v_mov_b32_e32 v12, 0
	v_mov_b32_e32 v13, 0
	s_and_saveexec_b32 s1, s0
	s_cbranch_execz .LBB98_8
; %bb.7:                                ;   in Loop: Header=BB98_4 Depth=1
	global_load_dword v13, v[3:4], off
.LBB98_8:                               ;   in Loop: Header=BB98_4 Depth=1
	s_or_b32 exec_lo, exec_lo, s1
	v_add_co_u32 v14, s1, v9, s16
	v_add_co_ci_u32_e64 v15, null, s17, v10, s1
	v_cmp_gt_u64_e64 s1, s[14:15], v[14:15]
	s_and_saveexec_b32 s3, s1
	s_cbranch_execz .LBB98_10
; %bb.9:                                ;   in Loop: Header=BB98_4 Depth=1
	v_add_co_u32 v14, s2, v1, s22
	v_add_co_ci_u32_e64 v15, null, 0, v2, s2
	global_load_dword v12, v[14:15], off
.LBB98_10:                              ;   in Loop: Header=BB98_4 Depth=1
	s_or_b32 exec_lo, exec_lo, s3
	v_add_co_u32 v14, s2, v6, s16
	v_add_co_ci_u32_e64 v15, null, s17, v7, s2
	v_cmp_gt_u64_e64 s2, s[14:15], v[14:15]
	v_mov_b32_e32 v14, 0
	s_and_saveexec_b32 s23, s2
	s_cbranch_execnz .LBB98_15
; %bb.11:                               ;   in Loop: Header=BB98_4 Depth=1
	s_or_b32 exec_lo, exec_lo, s23
	s_and_saveexec_b32 s3, vcc_lo
	s_cbranch_execnz .LBB98_16
.LBB98_12:                              ;   in Loop: Header=BB98_4 Depth=1
	s_or_b32 exec_lo, exec_lo, s3
	s_and_saveexec_b32 s3, s0
	s_cbranch_execnz .LBB98_17
.LBB98_13:                              ;   in Loop: Header=BB98_4 Depth=1
	s_or_b32 exec_lo, exec_lo, s3
	s_and_saveexec_b32 s0, s1
	s_cbranch_execnz .LBB98_18
.LBB98_14:                              ;   in Loop: Header=BB98_4 Depth=1
	s_or_b32 exec_lo, exec_lo, s0
	s_and_saveexec_b32 s0, s2
	s_cbranch_execz .LBB98_3
	s_branch .LBB98_19
.LBB98_15:                              ;   in Loop: Header=BB98_4 Depth=1
	v_add_co_u32 v14, s3, v1, s21
	v_add_co_ci_u32_e64 v15, null, 0, v2, s3
	global_load_dword v14, v[14:15], off
	s_or_b32 exec_lo, exec_lo, s23
	s_and_saveexec_b32 s3, vcc_lo
	s_cbranch_execz .LBB98_12
.LBB98_16:                              ;   in Loop: Header=BB98_4 Depth=1
	s_waitcnt vmcnt(0)
	v_subrev_nc_u32_e32 v11, s18, v11
	global_store_dword v[1:2], v11, off
	s_or_b32 exec_lo, exec_lo, s3
	s_and_saveexec_b32 s3, s0
	s_cbranch_execz .LBB98_13
.LBB98_17:                              ;   in Loop: Header=BB98_4 Depth=1
	s_waitcnt vmcnt(0)
	v_subrev_nc_u32_e32 v11, s18, v13
	global_store_dword v[3:4], v11, off
	s_or_b32 exec_lo, exec_lo, s3
	s_and_saveexec_b32 s0, s1
	s_cbranch_execz .LBB98_14
.LBB98_18:                              ;   in Loop: Header=BB98_4 Depth=1
	s_waitcnt vmcnt(0)
	v_add_co_u32 v11, vcc_lo, v1, s22
	v_subrev_nc_u32_e32 v13, s18, v12
	v_add_co_ci_u32_e64 v12, null, 0, v2, vcc_lo
	global_store_dword v[11:12], v13, off
	s_or_b32 exec_lo, exec_lo, s0
	s_and_saveexec_b32 s0, s2
	s_cbranch_execz .LBB98_3
.LBB98_19:                              ;   in Loop: Header=BB98_4 Depth=1
	s_waitcnt vmcnt(0)
	v_add_co_u32 v11, vcc_lo, v1, s21
	v_subrev_nc_u32_e32 v13, s18, v14
	v_add_co_ci_u32_e64 v12, null, 0, v2, vcc_lo
	global_store_dword v[11:12], v13, off
	s_branch .LBB98_3
.LBB98_20:
	s_cbranch_execz .LBB98_22
	s_branch .LBB98_25
.LBB98_21:
.LBB98_22:
	v_cmp_gt_i64_e64 s0, 0x10000, s[10:11]
	v_mov_b32_e32 v2, 0
	v_lshlrev_b32_e32 v1, 2, v0
	s_mov_b32 s1, 0
	s_and_b32 s0, s0, exec_lo
	s_cselect_b32 s3, s11, 0
	s_cselect_b32 s2, s10, 0x10000
	s_mov_b32 s0, exec_lo
	v_cmpx_gt_i64_e64 s[2:3], v[1:2]
	s_cbranch_execz .LBB98_25
; %bb.23:
	s_load_dword s0, s[4:5], 0xdd4
	v_lshlrev_b32_e32 v1, 4, v0
	s_waitcnt lgkmcnt(0)
	s_and_b32 s4, s0, 0xffff
	s_add_u32 s0, s6, s8
	s_addc_u32 s5, s7, s9
	v_add_co_u32 v3, s0, s0, v1
	v_add_co_ci_u32_e64 v4, null, s5, 0, s0
	v_mov_b32_e32 v1, v2
	v_add_co_u32 v2, vcc_lo, v3, 8
	v_add_co_ci_u32_e64 v3, null, 0, v4, vcc_lo
	s_lshl_b32 s5, s4, 4
	.p2align	6
.LBB98_24:                              ; =>This Inner Loop Header: Depth=1
	global_load_dwordx4 v[4:7], v[2:3], off offset:-8
	v_add_co_u32 v0, vcc_lo, v0, s4
	v_add_co_ci_u32_e64 v1, null, 0, v1, vcc_lo
	v_lshlrev_b64 v[8:9], 2, v[0:1]
	v_cmp_le_i64_e32 vcc_lo, s[2:3], v[8:9]
	s_or_b32 s1, vcc_lo, s1
	s_waitcnt vmcnt(0)
	v_subrev_nc_u32_e32 v4, s18, v4
	v_subrev_nc_u32_e32 v5, s18, v5
	;; [unrolled: 1-line block ×4, first 2 shown]
	global_store_dwordx4 v[2:3], v[4:7], off offset:-8
	v_add_co_u32 v2, s0, v2, s5
	v_add_co_ci_u32_e64 v3, null, 0, v3, s0
	s_andn2_b32 exec_lo, exec_lo, s1
	s_cbranch_execnz .LBB98_24
.LBB98_25:
	s_endpgm
	.section	.rodata,"a",@progbits
	.p2align	6, 0x0
	.amdhsa_kernel _ZN2at6native12_GLOBAL__N_125multi_tensor_apply_kernelINS1_28TensorListScalarListMetadataIiLi1EEENS1_25BinaryOpScalarListFunctorIiLi1ELi1ELi0EEEJSt5minusIiEEEEvT_T0_DpT1_
		.amdhsa_group_segment_fixed_size 0
		.amdhsa_private_segment_fixed_size 0
		.amdhsa_kernarg_size 3784
		.amdhsa_user_sgpr_count 6
		.amdhsa_user_sgpr_private_segment_buffer 1
		.amdhsa_user_sgpr_dispatch_ptr 0
		.amdhsa_user_sgpr_queue_ptr 0
		.amdhsa_user_sgpr_kernarg_segment_ptr 1
		.amdhsa_user_sgpr_dispatch_id 0
		.amdhsa_user_sgpr_flat_scratch_init 0
		.amdhsa_user_sgpr_private_segment_size 0
		.amdhsa_wavefront_size32 1
		.amdhsa_uses_dynamic_stack 0
		.amdhsa_system_sgpr_private_segment_wavefront_offset 0
		.amdhsa_system_sgpr_workgroup_id_x 1
		.amdhsa_system_sgpr_workgroup_id_y 0
		.amdhsa_system_sgpr_workgroup_id_z 0
		.amdhsa_system_sgpr_workgroup_info 0
		.amdhsa_system_vgpr_workitem_id 0
		.amdhsa_next_free_vgpr 16
		.amdhsa_next_free_sgpr 24
		.amdhsa_reserve_vcc 1
		.amdhsa_reserve_flat_scratch 0
		.amdhsa_float_round_mode_32 0
		.amdhsa_float_round_mode_16_64 0
		.amdhsa_float_denorm_mode_32 3
		.amdhsa_float_denorm_mode_16_64 3
		.amdhsa_dx10_clamp 1
		.amdhsa_ieee_mode 1
		.amdhsa_fp16_overflow 0
		.amdhsa_workgroup_processor_mode 1
		.amdhsa_memory_ordered 1
		.amdhsa_forward_progress 1
		.amdhsa_shared_vgpr_count 0
		.amdhsa_exception_fp_ieee_invalid_op 0
		.amdhsa_exception_fp_denorm_src 0
		.amdhsa_exception_fp_ieee_div_zero 0
		.amdhsa_exception_fp_ieee_overflow 0
		.amdhsa_exception_fp_ieee_underflow 0
		.amdhsa_exception_fp_ieee_inexact 0
		.amdhsa_exception_int_div_zero 0
	.end_amdhsa_kernel
	.section	.text._ZN2at6native12_GLOBAL__N_125multi_tensor_apply_kernelINS1_28TensorListScalarListMetadataIiLi1EEENS1_25BinaryOpScalarListFunctorIiLi1ELi1ELi0EEEJSt5minusIiEEEEvT_T0_DpT1_,"axG",@progbits,_ZN2at6native12_GLOBAL__N_125multi_tensor_apply_kernelINS1_28TensorListScalarListMetadataIiLi1EEENS1_25BinaryOpScalarListFunctorIiLi1ELi1ELi0EEEJSt5minusIiEEEEvT_T0_DpT1_,comdat
.Lfunc_end98:
	.size	_ZN2at6native12_GLOBAL__N_125multi_tensor_apply_kernelINS1_28TensorListScalarListMetadataIiLi1EEENS1_25BinaryOpScalarListFunctorIiLi1ELi1ELi0EEEJSt5minusIiEEEEvT_T0_DpT1_, .Lfunc_end98-_ZN2at6native12_GLOBAL__N_125multi_tensor_apply_kernelINS1_28TensorListScalarListMetadataIiLi1EEENS1_25BinaryOpScalarListFunctorIiLi1ELi1ELi0EEEJSt5minusIiEEEEvT_T0_DpT1_
                                        ; -- End function
	.set _ZN2at6native12_GLOBAL__N_125multi_tensor_apply_kernelINS1_28TensorListScalarListMetadataIiLi1EEENS1_25BinaryOpScalarListFunctorIiLi1ELi1ELi0EEEJSt5minusIiEEEEvT_T0_DpT1_.num_vgpr, 16
	.set _ZN2at6native12_GLOBAL__N_125multi_tensor_apply_kernelINS1_28TensorListScalarListMetadataIiLi1EEENS1_25BinaryOpScalarListFunctorIiLi1ELi1ELi0EEEJSt5minusIiEEEEvT_T0_DpT1_.num_agpr, 0
	.set _ZN2at6native12_GLOBAL__N_125multi_tensor_apply_kernelINS1_28TensorListScalarListMetadataIiLi1EEENS1_25BinaryOpScalarListFunctorIiLi1ELi1ELi0EEEJSt5minusIiEEEEvT_T0_DpT1_.numbered_sgpr, 24
	.set _ZN2at6native12_GLOBAL__N_125multi_tensor_apply_kernelINS1_28TensorListScalarListMetadataIiLi1EEENS1_25BinaryOpScalarListFunctorIiLi1ELi1ELi0EEEJSt5minusIiEEEEvT_T0_DpT1_.num_named_barrier, 0
	.set _ZN2at6native12_GLOBAL__N_125multi_tensor_apply_kernelINS1_28TensorListScalarListMetadataIiLi1EEENS1_25BinaryOpScalarListFunctorIiLi1ELi1ELi0EEEJSt5minusIiEEEEvT_T0_DpT1_.private_seg_size, 0
	.set _ZN2at6native12_GLOBAL__N_125multi_tensor_apply_kernelINS1_28TensorListScalarListMetadataIiLi1EEENS1_25BinaryOpScalarListFunctorIiLi1ELi1ELi0EEEJSt5minusIiEEEEvT_T0_DpT1_.uses_vcc, 1
	.set _ZN2at6native12_GLOBAL__N_125multi_tensor_apply_kernelINS1_28TensorListScalarListMetadataIiLi1EEENS1_25BinaryOpScalarListFunctorIiLi1ELi1ELi0EEEJSt5minusIiEEEEvT_T0_DpT1_.uses_flat_scratch, 0
	.set _ZN2at6native12_GLOBAL__N_125multi_tensor_apply_kernelINS1_28TensorListScalarListMetadataIiLi1EEENS1_25BinaryOpScalarListFunctorIiLi1ELi1ELi0EEEJSt5minusIiEEEEvT_T0_DpT1_.has_dyn_sized_stack, 0
	.set _ZN2at6native12_GLOBAL__N_125multi_tensor_apply_kernelINS1_28TensorListScalarListMetadataIiLi1EEENS1_25BinaryOpScalarListFunctorIiLi1ELi1ELi0EEEJSt5minusIiEEEEvT_T0_DpT1_.has_recursion, 0
	.set _ZN2at6native12_GLOBAL__N_125multi_tensor_apply_kernelINS1_28TensorListScalarListMetadataIiLi1EEENS1_25BinaryOpScalarListFunctorIiLi1ELi1ELi0EEEJSt5minusIiEEEEvT_T0_DpT1_.has_indirect_call, 0
	.section	.AMDGPU.csdata,"",@progbits
; Kernel info:
; codeLenInByte = 1184
; TotalNumSgprs: 26
; NumVgprs: 16
; ScratchSize: 0
; MemoryBound: 0
; FloatMode: 240
; IeeeMode: 1
; LDSByteSize: 0 bytes/workgroup (compile time only)
; SGPRBlocks: 0
; VGPRBlocks: 1
; NumSGPRsForWavesPerEU: 26
; NumVGPRsForWavesPerEU: 16
; Occupancy: 16
; WaveLimiterHint : 0
; COMPUTE_PGM_RSRC2:SCRATCH_EN: 0
; COMPUTE_PGM_RSRC2:USER_SGPR: 6
; COMPUTE_PGM_RSRC2:TRAP_HANDLER: 0
; COMPUTE_PGM_RSRC2:TGID_X_EN: 1
; COMPUTE_PGM_RSRC2:TGID_Y_EN: 0
; COMPUTE_PGM_RSRC2:TGID_Z_EN: 0
; COMPUTE_PGM_RSRC2:TIDIG_COMP_CNT: 0
	.section	.text._ZN2at6native12_GLOBAL__N_125multi_tensor_apply_kernelINS1_28TensorListScalarListMetadataIlLi1EEENS1_25BinaryOpScalarListFunctorIlLi1ELi1ELi0EEEJSt5minusIlEEEEvT_T0_DpT1_,"axG",@progbits,_ZN2at6native12_GLOBAL__N_125multi_tensor_apply_kernelINS1_28TensorListScalarListMetadataIlLi1EEENS1_25BinaryOpScalarListFunctorIlLi1ELi1ELi0EEEJSt5minusIlEEEEvT_T0_DpT1_,comdat
	.globl	_ZN2at6native12_GLOBAL__N_125multi_tensor_apply_kernelINS1_28TensorListScalarListMetadataIlLi1EEENS1_25BinaryOpScalarListFunctorIlLi1ELi1ELi0EEEJSt5minusIlEEEEvT_T0_DpT1_ ; -- Begin function _ZN2at6native12_GLOBAL__N_125multi_tensor_apply_kernelINS1_28TensorListScalarListMetadataIlLi1EEENS1_25BinaryOpScalarListFunctorIlLi1ELi1ELi0EEEJSt5minusIlEEEEvT_T0_DpT1_
	.p2align	8
	.type	_ZN2at6native12_GLOBAL__N_125multi_tensor_apply_kernelINS1_28TensorListScalarListMetadataIlLi1EEENS1_25BinaryOpScalarListFunctorIlLi1ELi1ELi0EEEJSt5minusIlEEEEvT_T0_DpT1_,@function
_ZN2at6native12_GLOBAL__N_125multi_tensor_apply_kernelINS1_28TensorListScalarListMetadataIlLi1EEENS1_25BinaryOpScalarListFunctorIlLi1ELi1ELi0EEEJSt5minusIlEEEEvT_T0_DpT1_: ; @_ZN2at6native12_GLOBAL__N_125multi_tensor_apply_kernelINS1_28TensorListScalarListMetadataIlLi1EEENS1_25BinaryOpScalarListFunctorIlLi1ELi1ELi0EEEJSt5minusIlEEEEvT_T0_DpT1_
; %bb.0:
	v_mov_b32_e32 v1, 0x800
	s_add_u32 s0, s4, s6
	s_addc_u32 s1, s5, 0
	s_mov_b32 s7, 0
	global_load_ubyte v1, v1, s[0:1] offset:256
	s_lshl_b64 s[0:1], s[6:7], 2
	s_add_u32 s0, s4, s0
	s_addc_u32 s1, s5, s1
	s_load_dword s0, s[0:1], 0xa40
	s_waitcnt vmcnt(0)
	v_readfirstlane_b32 s2, v1
	s_lshl_b32 s1, s2, 3
	s_clause 0x2
	s_load_dwordx2 s[8:9], s[4:5], s1 offset:0x600
	s_load_dwordx2 s[10:11], s[4:5], s1 offset:0x0
	;; [unrolled: 1-line block ×3, first 2 shown]
	s_waitcnt lgkmcnt(0)
	s_ashr_i32 s1, s0, 31
	s_lshl_b64 s[12:13], s[0:1], 19
	s_lshl_b64 s[0:1], s[0:1], 16
	s_and_b32 s6, s10, 31
	s_sub_u32 s14, s2, s0
	s_subb_u32 s15, s3, s1
	s_and_b32 s0, s2, 3
	s_mov_b32 s1, s7
	s_or_b64 s[0:1], s[6:7], s[0:1]
	s_cmp_eq_u64 s[0:1], 0
	s_cbranch_scc1 .LBB99_21
; %bb.1:
	v_cmp_lt_i64_e64 s0, s[14:15], 1
	s_and_b32 vcc_lo, exec_lo, s0
	s_cbranch_vccnz .LBB99_20
; %bb.2:
	s_load_dword s0, s[4:5], 0xf54
	v_cmp_gt_i64_e64 s1, 0x10000, s[14:15]
	v_cmp_gt_u64_e64 s2, 0x10000, s[14:15]
	v_lshlrev_b32_e32 v1, 3, v0
	s_and_b32 s1, s1, exec_lo
	s_cselect_b32 s7, s15, 0
	s_cselect_b32 s6, s14, 0x10000
	s_waitcnt lgkmcnt(0)
	s_and_b32 s0, s0, 0xffff
	s_and_b32 s1, s2, exec_lo
	v_add_co_u32 v13, s3, v0, s0
	s_cselect_b32 s17, s15, 0
	s_cselect_b32 s16, s14, 0x10000
	s_lshl_b32 s1, s0, 1
	v_lshlrev_b32_e32 v3, 3, v13
	s_mul_i32 s2, s0, 3
	s_lshl_b32 s20, s0, 2
	s_add_u32 s18, s10, s12
	v_add_co_u32 v14, s2, s2, v0
	v_add_co_u32 v17, s1, s1, v0
	s_addc_u32 s19, s11, s13
	v_add_co_ci_u32_e64 v15, null, 0, 0, s2
	v_add_co_u32 v1, s2, s18, v1
	v_add_co_ci_u32_e64 v18, null, 0, 0, s1
	v_add_co_u32 v3, s1, s18, v3
	v_add_co_ci_u32_e64 v2, null, s19, 0, s2
	v_add_co_ci_u32_e64 v16, null, 0, 0, s3
	;; [unrolled: 1-line block ×3, first 2 shown]
	s_lshl_b32 s21, s0, 5
	s_mul_i32 s22, s0, 24
	s_lshl_b32 s23, s0, 4
	s_mov_b64 s[18:19], 0
	s_branch .LBB99_4
.LBB99_3:                               ;   in Loop: Header=BB99_4 Depth=1
	s_or_b32 exec_lo, exec_lo, s0
	s_add_u32 s18, s18, s20
	s_addc_u32 s19, s19, 0
	v_add_co_u32 v1, vcc_lo, v1, s21
	v_cmp_lt_i64_e64 s0, s[18:19], s[6:7]
	v_add_co_ci_u32_e64 v2, null, 0, v2, vcc_lo
	v_add_co_u32 v3, vcc_lo, v3, s21
	v_add_co_ci_u32_e64 v4, null, 0, v4, vcc_lo
	s_and_b32 vcc_lo, exec_lo, s0
	s_cbranch_vccz .LBB99_20
.LBB99_4:                               ; =>This Inner Loop Header: Depth=1
	s_waitcnt vmcnt(0)
	v_add_co_u32 v7, s0, v0, s18
	v_add_co_ci_u32_e64 v8, null, 0, s19, s0
	v_mov_b32_e32 v5, 0
	v_mov_b32_e32 v9, 0
	;; [unrolled: 1-line block ×3, first 2 shown]
	v_cmp_gt_u64_e32 vcc_lo, s[16:17], v[7:8]
	v_mov_b32_e32 v10, 0
	s_and_saveexec_b32 s0, vcc_lo
	s_cbranch_execz .LBB99_6
; %bb.5:                                ;   in Loop: Header=BB99_4 Depth=1
	global_load_dwordx2 v[9:10], v[1:2], off
.LBB99_6:                               ;   in Loop: Header=BB99_4 Depth=1
	s_or_b32 exec_lo, exec_lo, s0
	v_add_co_u32 v7, s0, v13, s18
	v_add_co_ci_u32_e64 v8, null, s19, v16, s0
	v_cmp_gt_u64_e64 s0, s[16:17], v[7:8]
	s_and_saveexec_b32 s1, s0
	s_cbranch_execz .LBB99_8
; %bb.7:                                ;   in Loop: Header=BB99_4 Depth=1
	global_load_dwordx2 v[5:6], v[3:4], off
.LBB99_8:                               ;   in Loop: Header=BB99_4 Depth=1
	s_or_b32 exec_lo, exec_lo, s1
	v_add_co_u32 v11, s1, v17, s18
	v_add_co_ci_u32_e64 v12, null, s19, v18, s1
	v_mov_b32_e32 v7, 0
	v_mov_b32_e32 v8, 0
	v_cmp_gt_u64_e64 s1, s[16:17], v[11:12]
	v_mov_b32_e32 v11, 0
	v_mov_b32_e32 v12, 0
	s_and_saveexec_b32 s3, s1
	s_cbranch_execz .LBB99_10
; %bb.9:                                ;   in Loop: Header=BB99_4 Depth=1
	v_add_co_u32 v11, s2, v1, s23
	v_add_co_ci_u32_e64 v12, null, 0, v2, s2
	global_load_dwordx2 v[11:12], v[11:12], off
.LBB99_10:                              ;   in Loop: Header=BB99_4 Depth=1
	s_or_b32 exec_lo, exec_lo, s3
	v_add_co_u32 v19, s2, v14, s18
	v_add_co_ci_u32_e64 v20, null, s19, v15, s2
	v_cmp_gt_u64_e64 s2, s[16:17], v[19:20]
	s_and_saveexec_b32 s24, s2
	s_cbranch_execnz .LBB99_15
; %bb.11:                               ;   in Loop: Header=BB99_4 Depth=1
	s_or_b32 exec_lo, exec_lo, s24
	s_and_saveexec_b32 s3, vcc_lo
	s_cbranch_execnz .LBB99_16
.LBB99_12:                              ;   in Loop: Header=BB99_4 Depth=1
	s_or_b32 exec_lo, exec_lo, s3
	s_and_saveexec_b32 s3, s0
	s_cbranch_execnz .LBB99_17
.LBB99_13:                              ;   in Loop: Header=BB99_4 Depth=1
	s_or_b32 exec_lo, exec_lo, s3
	s_and_saveexec_b32 s0, s1
	s_cbranch_execnz .LBB99_18
.LBB99_14:                              ;   in Loop: Header=BB99_4 Depth=1
	s_or_b32 exec_lo, exec_lo, s0
	s_and_saveexec_b32 s0, s2
	s_cbranch_execz .LBB99_3
	s_branch .LBB99_19
.LBB99_15:                              ;   in Loop: Header=BB99_4 Depth=1
	v_add_co_u32 v7, s3, v1, s22
	v_add_co_ci_u32_e64 v8, null, 0, v2, s3
	global_load_dwordx2 v[7:8], v[7:8], off
	s_or_b32 exec_lo, exec_lo, s24
	s_and_saveexec_b32 s3, vcc_lo
	s_cbranch_execz .LBB99_12
.LBB99_16:                              ;   in Loop: Header=BB99_4 Depth=1
	s_waitcnt vmcnt(0)
	v_sub_co_u32 v9, vcc_lo, v9, s8
	v_subrev_co_ci_u32_e64 v10, null, s9, v10, vcc_lo
	global_store_dwordx2 v[1:2], v[9:10], off
	s_or_b32 exec_lo, exec_lo, s3
	s_and_saveexec_b32 s3, s0
	s_cbranch_execz .LBB99_13
.LBB99_17:                              ;   in Loop: Header=BB99_4 Depth=1
	s_waitcnt vmcnt(0)
	v_sub_co_u32 v5, vcc_lo, v5, s8
	v_subrev_co_ci_u32_e64 v6, null, s9, v6, vcc_lo
	global_store_dwordx2 v[3:4], v[5:6], off
	s_or_b32 exec_lo, exec_lo, s3
	s_and_saveexec_b32 s0, s1
	s_cbranch_execz .LBB99_14
.LBB99_18:                              ;   in Loop: Header=BB99_4 Depth=1
	s_waitcnt vmcnt(0)
	v_sub_co_u32 v5, vcc_lo, v11, s8
	v_subrev_co_ci_u32_e64 v6, null, s9, v12, vcc_lo
	v_add_co_u32 v9, vcc_lo, v1, s23
	v_add_co_ci_u32_e64 v10, null, 0, v2, vcc_lo
	global_store_dwordx2 v[9:10], v[5:6], off
	s_or_b32 exec_lo, exec_lo, s0
	s_and_saveexec_b32 s0, s2
	s_cbranch_execz .LBB99_3
.LBB99_19:                              ;   in Loop: Header=BB99_4 Depth=1
	s_waitcnt vmcnt(0)
	v_sub_co_u32 v5, vcc_lo, v7, s8
	v_subrev_co_ci_u32_e64 v6, null, s9, v8, vcc_lo
	v_add_co_u32 v7, vcc_lo, v1, s22
	v_add_co_ci_u32_e64 v8, null, 0, v2, vcc_lo
	global_store_dwordx2 v[7:8], v[5:6], off
	s_branch .LBB99_3
.LBB99_20:
	s_cbranch_execz .LBB99_22
	s_branch .LBB99_25
.LBB99_21:
.LBB99_22:
	v_cmp_gt_i64_e64 s0, 0x10000, s[14:15]
	v_mov_b32_e32 v2, 0
	v_lshlrev_b32_e32 v1, 2, v0
	s_mov_b32 s1, 0
	s_and_b32 s0, s0, exec_lo
	s_cselect_b32 s3, s15, 0
	s_cselect_b32 s2, s14, 0x10000
	s_mov_b32 s0, exec_lo
	v_cmpx_gt_i64_e64 s[2:3], v[1:2]
	s_cbranch_execz .LBB99_25
; %bb.23:
	s_load_dword s0, s[4:5], 0xf54
	v_lshlrev_b32_e32 v1, 5, v0
	s_waitcnt lgkmcnt(0)
	s_and_b32 s4, s0, 0xffff
	s_add_u32 s0, s10, s12
	s_addc_u32 s5, s11, s13
	v_add_co_u32 v3, s0, s0, v1
	v_add_co_ci_u32_e64 v4, null, s5, 0, s0
	v_mov_b32_e32 v1, v2
	v_add_co_u32 v2, vcc_lo, v3, 16
	v_add_co_ci_u32_e64 v3, null, 0, v4, vcc_lo
	s_lshl_b32 s5, s4, 5
	s_inst_prefetch 0x1
	.p2align	6
.LBB99_24:                              ; =>This Inner Loop Header: Depth=1
	s_clause 0x1
	global_load_dwordx4 v[4:7], v[2:3], off offset:-16
	global_load_dwordx4 v[8:11], v[2:3], off
	v_add_co_u32 v0, vcc_lo, v0, s4
	v_add_co_ci_u32_e64 v1, null, 0, v1, vcc_lo
	s_waitcnt vmcnt(2)
	v_lshlrev_b64 v[12:13], 2, v[0:1]
	s_waitcnt vmcnt(1)
	v_sub_co_u32 v4, vcc_lo, v4, s8
	v_subrev_co_ci_u32_e64 v5, null, s9, v5, vcc_lo
	v_sub_co_u32 v6, vcc_lo, v6, s8
	v_subrev_co_ci_u32_e64 v7, null, s9, v7, vcc_lo
	s_waitcnt vmcnt(0)
	v_sub_co_u32 v8, vcc_lo, v8, s8
	v_subrev_co_ci_u32_e64 v9, null, s9, v9, vcc_lo
	v_sub_co_u32 v10, vcc_lo, v10, s8
	v_subrev_co_ci_u32_e64 v11, null, s9, v11, vcc_lo
	v_cmp_le_i64_e32 vcc_lo, s[2:3], v[12:13]
	global_store_dwordx4 v[2:3], v[4:7], off offset:-16
	global_store_dwordx4 v[2:3], v[8:11], off
	v_add_co_u32 v2, s0, v2, s5
	v_add_co_ci_u32_e64 v3, null, 0, v3, s0
	s_or_b32 s1, vcc_lo, s1
	s_andn2_b32 exec_lo, exec_lo, s1
	s_cbranch_execnz .LBB99_24
.LBB99_25:
	s_inst_prefetch 0x2
	s_endpgm
	.section	.rodata,"a",@progbits
	.p2align	6, 0x0
	.amdhsa_kernel _ZN2at6native12_GLOBAL__N_125multi_tensor_apply_kernelINS1_28TensorListScalarListMetadataIlLi1EEENS1_25BinaryOpScalarListFunctorIlLi1ELi1ELi0EEEJSt5minusIlEEEEvT_T0_DpT1_
		.amdhsa_group_segment_fixed_size 0
		.amdhsa_private_segment_fixed_size 0
		.amdhsa_kernarg_size 4168
		.amdhsa_user_sgpr_count 6
		.amdhsa_user_sgpr_private_segment_buffer 1
		.amdhsa_user_sgpr_dispatch_ptr 0
		.amdhsa_user_sgpr_queue_ptr 0
		.amdhsa_user_sgpr_kernarg_segment_ptr 1
		.amdhsa_user_sgpr_dispatch_id 0
		.amdhsa_user_sgpr_flat_scratch_init 0
		.amdhsa_user_sgpr_private_segment_size 0
		.amdhsa_wavefront_size32 1
		.amdhsa_uses_dynamic_stack 0
		.amdhsa_system_sgpr_private_segment_wavefront_offset 0
		.amdhsa_system_sgpr_workgroup_id_x 1
		.amdhsa_system_sgpr_workgroup_id_y 0
		.amdhsa_system_sgpr_workgroup_id_z 0
		.amdhsa_system_sgpr_workgroup_info 0
		.amdhsa_system_vgpr_workitem_id 0
		.amdhsa_next_free_vgpr 21
		.amdhsa_next_free_sgpr 25
		.amdhsa_reserve_vcc 1
		.amdhsa_reserve_flat_scratch 0
		.amdhsa_float_round_mode_32 0
		.amdhsa_float_round_mode_16_64 0
		.amdhsa_float_denorm_mode_32 3
		.amdhsa_float_denorm_mode_16_64 3
		.amdhsa_dx10_clamp 1
		.amdhsa_ieee_mode 1
		.amdhsa_fp16_overflow 0
		.amdhsa_workgroup_processor_mode 1
		.amdhsa_memory_ordered 1
		.amdhsa_forward_progress 1
		.amdhsa_shared_vgpr_count 0
		.amdhsa_exception_fp_ieee_invalid_op 0
		.amdhsa_exception_fp_denorm_src 0
		.amdhsa_exception_fp_ieee_div_zero 0
		.amdhsa_exception_fp_ieee_overflow 0
		.amdhsa_exception_fp_ieee_underflow 0
		.amdhsa_exception_fp_ieee_inexact 0
		.amdhsa_exception_int_div_zero 0
	.end_amdhsa_kernel
	.section	.text._ZN2at6native12_GLOBAL__N_125multi_tensor_apply_kernelINS1_28TensorListScalarListMetadataIlLi1EEENS1_25BinaryOpScalarListFunctorIlLi1ELi1ELi0EEEJSt5minusIlEEEEvT_T0_DpT1_,"axG",@progbits,_ZN2at6native12_GLOBAL__N_125multi_tensor_apply_kernelINS1_28TensorListScalarListMetadataIlLi1EEENS1_25BinaryOpScalarListFunctorIlLi1ELi1ELi0EEEJSt5minusIlEEEEvT_T0_DpT1_,comdat
.Lfunc_end99:
	.size	_ZN2at6native12_GLOBAL__N_125multi_tensor_apply_kernelINS1_28TensorListScalarListMetadataIlLi1EEENS1_25BinaryOpScalarListFunctorIlLi1ELi1ELi0EEEJSt5minusIlEEEEvT_T0_DpT1_, .Lfunc_end99-_ZN2at6native12_GLOBAL__N_125multi_tensor_apply_kernelINS1_28TensorListScalarListMetadataIlLi1EEENS1_25BinaryOpScalarListFunctorIlLi1ELi1ELi0EEEJSt5minusIlEEEEvT_T0_DpT1_
                                        ; -- End function
	.set _ZN2at6native12_GLOBAL__N_125multi_tensor_apply_kernelINS1_28TensorListScalarListMetadataIlLi1EEENS1_25BinaryOpScalarListFunctorIlLi1ELi1ELi0EEEJSt5minusIlEEEEvT_T0_DpT1_.num_vgpr, 21
	.set _ZN2at6native12_GLOBAL__N_125multi_tensor_apply_kernelINS1_28TensorListScalarListMetadataIlLi1EEENS1_25BinaryOpScalarListFunctorIlLi1ELi1ELi0EEEJSt5minusIlEEEEvT_T0_DpT1_.num_agpr, 0
	.set _ZN2at6native12_GLOBAL__N_125multi_tensor_apply_kernelINS1_28TensorListScalarListMetadataIlLi1EEENS1_25BinaryOpScalarListFunctorIlLi1ELi1ELi0EEEJSt5minusIlEEEEvT_T0_DpT1_.numbered_sgpr, 25
	.set _ZN2at6native12_GLOBAL__N_125multi_tensor_apply_kernelINS1_28TensorListScalarListMetadataIlLi1EEENS1_25BinaryOpScalarListFunctorIlLi1ELi1ELi0EEEJSt5minusIlEEEEvT_T0_DpT1_.num_named_barrier, 0
	.set _ZN2at6native12_GLOBAL__N_125multi_tensor_apply_kernelINS1_28TensorListScalarListMetadataIlLi1EEENS1_25BinaryOpScalarListFunctorIlLi1ELi1ELi0EEEJSt5minusIlEEEEvT_T0_DpT1_.private_seg_size, 0
	.set _ZN2at6native12_GLOBAL__N_125multi_tensor_apply_kernelINS1_28TensorListScalarListMetadataIlLi1EEENS1_25BinaryOpScalarListFunctorIlLi1ELi1ELi0EEEJSt5minusIlEEEEvT_T0_DpT1_.uses_vcc, 1
	.set _ZN2at6native12_GLOBAL__N_125multi_tensor_apply_kernelINS1_28TensorListScalarListMetadataIlLi1EEENS1_25BinaryOpScalarListFunctorIlLi1ELi1ELi0EEEJSt5minusIlEEEEvT_T0_DpT1_.uses_flat_scratch, 0
	.set _ZN2at6native12_GLOBAL__N_125multi_tensor_apply_kernelINS1_28TensorListScalarListMetadataIlLi1EEENS1_25BinaryOpScalarListFunctorIlLi1ELi1ELi0EEEJSt5minusIlEEEEvT_T0_DpT1_.has_dyn_sized_stack, 0
	.set _ZN2at6native12_GLOBAL__N_125multi_tensor_apply_kernelINS1_28TensorListScalarListMetadataIlLi1EEENS1_25BinaryOpScalarListFunctorIlLi1ELi1ELi0EEEJSt5minusIlEEEEvT_T0_DpT1_.has_recursion, 0
	.set _ZN2at6native12_GLOBAL__N_125multi_tensor_apply_kernelINS1_28TensorListScalarListMetadataIlLi1EEENS1_25BinaryOpScalarListFunctorIlLi1ELi1ELi0EEEJSt5minusIlEEEEvT_T0_DpT1_.has_indirect_call, 0
	.section	.AMDGPU.csdata,"",@progbits
; Kernel info:
; codeLenInByte = 1264
; TotalNumSgprs: 27
; NumVgprs: 21
; ScratchSize: 0
; MemoryBound: 0
; FloatMode: 240
; IeeeMode: 1
; LDSByteSize: 0 bytes/workgroup (compile time only)
; SGPRBlocks: 0
; VGPRBlocks: 2
; NumSGPRsForWavesPerEU: 27
; NumVGPRsForWavesPerEU: 21
; Occupancy: 16
; WaveLimiterHint : 1
; COMPUTE_PGM_RSRC2:SCRATCH_EN: 0
; COMPUTE_PGM_RSRC2:USER_SGPR: 6
; COMPUTE_PGM_RSRC2:TRAP_HANDLER: 0
; COMPUTE_PGM_RSRC2:TGID_X_EN: 1
; COMPUTE_PGM_RSRC2:TGID_Y_EN: 0
; COMPUTE_PGM_RSRC2:TGID_Z_EN: 0
; COMPUTE_PGM_RSRC2:TIDIG_COMP_CNT: 0
	.section	.text._ZN2at6native12_GLOBAL__N_125multi_tensor_apply_kernelINS1_28TensorListScalarListMetadataIsLi1EEENS1_25BinaryOpScalarListFunctorIsLi1ELi1ELi0EEEJSt5minusIsEEEEvT_T0_DpT1_,"axG",@progbits,_ZN2at6native12_GLOBAL__N_125multi_tensor_apply_kernelINS1_28TensorListScalarListMetadataIsLi1EEENS1_25BinaryOpScalarListFunctorIsLi1ELi1ELi0EEEJSt5minusIsEEEEvT_T0_DpT1_,comdat
	.globl	_ZN2at6native12_GLOBAL__N_125multi_tensor_apply_kernelINS1_28TensorListScalarListMetadataIsLi1EEENS1_25BinaryOpScalarListFunctorIsLi1ELi1ELi0EEEJSt5minusIsEEEEvT_T0_DpT1_ ; -- Begin function _ZN2at6native12_GLOBAL__N_125multi_tensor_apply_kernelINS1_28TensorListScalarListMetadataIsLi1EEENS1_25BinaryOpScalarListFunctorIsLi1ELi1ELi0EEEJSt5minusIsEEEEvT_T0_DpT1_
	.p2align	8
	.type	_ZN2at6native12_GLOBAL__N_125multi_tensor_apply_kernelINS1_28TensorListScalarListMetadataIsLi1EEENS1_25BinaryOpScalarListFunctorIsLi1ELi1ELi0EEEJSt5minusIsEEEEvT_T0_DpT1_,@function
_ZN2at6native12_GLOBAL__N_125multi_tensor_apply_kernelINS1_28TensorListScalarListMetadataIsLi1EEENS1_25BinaryOpScalarListFunctorIsLi1ELi1ELi0EEEJSt5minusIsEEEEvT_T0_DpT1_: ; @_ZN2at6native12_GLOBAL__N_125multi_tensor_apply_kernelINS1_28TensorListScalarListMetadataIsLi1EEENS1_25BinaryOpScalarListFunctorIsLi1ELi1ELi0EEEJSt5minusIsEEEEvT_T0_DpT1_
; %bb.0:
	v_mov_b32_e32 v1, s6
	s_add_u32 s0, s4, s6
	s_mul_i32 s1, s6, 3
	s_mul_hi_u32 s2, s6, 3
	s_addc_u32 s3, s5, 0
	global_load_ubyte v1, v1, s[4:5] offset:1728
	s_add_u32 s0, s0, s1
	s_addc_u32 s1, s3, s2
	s_mov_b32 s13, 0
	s_load_dword s0, s[0:1], 0x800
	s_waitcnt vmcnt(0)
	v_readfirstlane_b32 s1, v1
	v_mul_lo_u32 v2, v1, -6
	v_mul_hi_i32 v3, v1, -6
	s_lshl_b32 s6, s1, 3
	s_waitcnt lgkmcnt(0)
	s_ashr_i32 s1, s0, 31
	s_add_u32 s7, s4, s6
	s_addc_u32 s8, s5, 0
	v_add_co_u32 v1, vcc_lo, s7, v2
	v_add_co_ci_u32_e64 v2, null, s8, v3, vcc_lo
	s_load_dwordx2 s[2:3], s[4:5], s6 offset:0x300
	s_lshl_b64 s[8:9], s[0:1], 17
	s_lshl_b64 s[0:1], s[0:1], 16
	global_load_ushort v5, v[1:2], off offset:1536
	s_load_dwordx2 s[6:7], s[4:5], s6 offset:0x0
	s_waitcnt lgkmcnt(0)
	s_and_b32 s12, s6, 7
	s_sub_u32 s10, s2, s0
	s_subb_u32 s11, s3, s1
	s_and_b32 s0, s2, 3
	s_mov_b32 s1, s13
	s_or_b64 s[0:1], s[12:13], s[0:1]
	s_cmp_eq_u64 s[0:1], 0
	s_cbranch_scc1 .LBB100_21
; %bb.1:
	v_cmp_lt_i64_e64 s0, s[10:11], 1
	s_and_b32 vcc_lo, exec_lo, s0
	s_cbranch_vccnz .LBB100_20
; %bb.2:
	s_load_dword s0, s[4:5], 0xd14
	v_cmp_gt_i64_e64 s1, 0x10000, s[10:11]
	v_cmp_gt_u64_e64 s2, 0x10000, s[10:11]
	v_lshlrev_b32_e32 v1, 1, v0
	s_and_b32 s1, s1, exec_lo
	s_cselect_b32 s13, s11, 0
	s_cselect_b32 s12, s10, 0x10000
	s_waitcnt lgkmcnt(0)
	s_and_b32 s0, s0, 0xffff
	s_and_b32 s1, s2, exec_lo
	v_add_co_u32 v6, s3, v0, s0
	s_cselect_b32 s15, s11, 0
	s_cselect_b32 s14, s10, 0x10000
	s_lshl_b32 s1, s0, 1
	v_lshlrev_b32_e32 v3, 1, v6
	s_mul_i32 s2, s0, 3
	s_lshl_b32 s18, s0, 2
	s_add_u32 s16, s6, s8
	v_add_co_u32 v7, s2, s2, v0
	v_add_co_u32 v10, s1, s1, v0
	s_addc_u32 s17, s7, s9
	v_add_co_ci_u32_e64 v8, null, 0, 0, s2
	v_add_co_u32 v1, s2, s16, v1
	v_add_co_ci_u32_e64 v11, null, 0, 0, s1
	v_add_co_u32 v3, s1, s16, v3
	v_add_co_ci_u32_e64 v2, null, s17, 0, s2
	v_add_co_ci_u32_e64 v9, null, 0, 0, s3
	v_add_co_ci_u32_e64 v4, null, s17, 0, s1
	s_lshl_b32 s19, s0, 3
	s_mul_i32 s20, s0, 6
	s_mov_b64 s[16:17], 0
	s_branch .LBB100_4
.LBB100_3:                              ;   in Loop: Header=BB100_4 Depth=1
	s_or_b32 exec_lo, exec_lo, s0
	s_add_u32 s16, s16, s18
	s_addc_u32 s17, s17, 0
	v_add_co_u32 v1, vcc_lo, v1, s19
	v_cmp_lt_i64_e64 s0, s[16:17], s[12:13]
	v_add_co_ci_u32_e64 v2, null, 0, v2, vcc_lo
	v_add_co_u32 v3, vcc_lo, v3, s19
	v_add_co_ci_u32_e64 v4, null, 0, v4, vcc_lo
	s_and_b32 vcc_lo, exec_lo, s0
	s_cbranch_vccz .LBB100_20
.LBB100_4:                              ; =>This Inner Loop Header: Depth=1
	s_waitcnt vmcnt(0)
	v_add_co_u32 v12, s0, v0, s16
	v_add_co_ci_u32_e64 v13, null, 0, s17, s0
	v_cmp_gt_u64_e32 vcc_lo, s[14:15], v[12:13]
	v_mov_b32_e32 v12, 0
	s_and_saveexec_b32 s0, vcc_lo
	s_cbranch_execz .LBB100_6
; %bb.5:                                ;   in Loop: Header=BB100_4 Depth=1
	global_load_ushort v12, v[1:2], off
.LBB100_6:                              ;   in Loop: Header=BB100_4 Depth=1
	s_or_b32 exec_lo, exec_lo, s0
	v_add_co_u32 v13, s0, v6, s16
	v_add_co_ci_u32_e64 v14, null, s17, v9, s0
	v_cmp_gt_u64_e64 s0, s[14:15], v[13:14]
	v_mov_b32_e32 v13, 0
	v_mov_b32_e32 v14, 0
	s_and_saveexec_b32 s1, s0
	s_cbranch_execz .LBB100_8
; %bb.7:                                ;   in Loop: Header=BB100_4 Depth=1
	global_load_ushort v14, v[3:4], off
.LBB100_8:                              ;   in Loop: Header=BB100_4 Depth=1
	s_or_b32 exec_lo, exec_lo, s1
	v_add_co_u32 v15, s1, v10, s16
	v_add_co_ci_u32_e64 v16, null, s17, v11, s1
	v_cmp_gt_u64_e64 s1, s[14:15], v[15:16]
	s_and_saveexec_b32 s3, s1
	s_cbranch_execz .LBB100_10
; %bb.9:                                ;   in Loop: Header=BB100_4 Depth=1
	v_add_co_u32 v15, s2, v1, s18
	v_add_co_ci_u32_e64 v16, null, 0, v2, s2
	global_load_ushort v13, v[15:16], off
.LBB100_10:                             ;   in Loop: Header=BB100_4 Depth=1
	s_or_b32 exec_lo, exec_lo, s3
	v_add_co_u32 v15, s2, v7, s16
	v_add_co_ci_u32_e64 v16, null, s17, v8, s2
	v_cmp_gt_u64_e64 s2, s[14:15], v[15:16]
	v_mov_b32_e32 v15, 0
	s_and_saveexec_b32 s21, s2
	s_cbranch_execnz .LBB100_15
; %bb.11:                               ;   in Loop: Header=BB100_4 Depth=1
	s_or_b32 exec_lo, exec_lo, s21
	s_and_saveexec_b32 s3, vcc_lo
	s_cbranch_execnz .LBB100_16
.LBB100_12:                             ;   in Loop: Header=BB100_4 Depth=1
	s_or_b32 exec_lo, exec_lo, s3
	s_and_saveexec_b32 s3, s0
	s_cbranch_execnz .LBB100_17
.LBB100_13:                             ;   in Loop: Header=BB100_4 Depth=1
	s_or_b32 exec_lo, exec_lo, s3
	s_and_saveexec_b32 s0, s1
	s_cbranch_execnz .LBB100_18
.LBB100_14:                             ;   in Loop: Header=BB100_4 Depth=1
	s_or_b32 exec_lo, exec_lo, s0
	s_and_saveexec_b32 s0, s2
	s_cbranch_execz .LBB100_3
	s_branch .LBB100_19
.LBB100_15:                             ;   in Loop: Header=BB100_4 Depth=1
	v_add_co_u32 v15, s3, v1, s20
	v_add_co_ci_u32_e64 v16, null, 0, v2, s3
	global_load_ushort v15, v[15:16], off
	s_or_b32 exec_lo, exec_lo, s21
	s_and_saveexec_b32 s3, vcc_lo
	s_cbranch_execz .LBB100_12
.LBB100_16:                             ;   in Loop: Header=BB100_4 Depth=1
	s_waitcnt vmcnt(0)
	v_sub_nc_u16 v12, v12, v5
	global_store_short v[1:2], v12, off
	s_or_b32 exec_lo, exec_lo, s3
	s_and_saveexec_b32 s3, s0
	s_cbranch_execz .LBB100_13
.LBB100_17:                             ;   in Loop: Header=BB100_4 Depth=1
	s_waitcnt vmcnt(0)
	v_sub_nc_u16 v12, v14, v5
	global_store_short v[3:4], v12, off
	s_or_b32 exec_lo, exec_lo, s3
	s_and_saveexec_b32 s0, s1
	s_cbranch_execz .LBB100_14
.LBB100_18:                             ;   in Loop: Header=BB100_4 Depth=1
	s_waitcnt vmcnt(0)
	v_add_co_u32 v12, vcc_lo, v1, s18
	v_sub_nc_u16 v14, v13, v5
	v_add_co_ci_u32_e64 v13, null, 0, v2, vcc_lo
	global_store_short v[12:13], v14, off
	s_or_b32 exec_lo, exec_lo, s0
	s_and_saveexec_b32 s0, s2
	s_cbranch_execz .LBB100_3
.LBB100_19:                             ;   in Loop: Header=BB100_4 Depth=1
	s_waitcnt vmcnt(0)
	v_add_co_u32 v12, vcc_lo, v1, s20
	v_sub_nc_u16 v14, v15, v5
	v_add_co_ci_u32_e64 v13, null, 0, v2, vcc_lo
	global_store_short v[12:13], v14, off
	s_branch .LBB100_3
.LBB100_20:
	s_cbranch_execz .LBB100_22
	s_branch .LBB100_25
.LBB100_21:
.LBB100_22:
	v_cmp_gt_i64_e64 s0, 0x10000, s[10:11]
	v_mov_b32_e32 v2, 0
	v_lshlrev_b32_e32 v1, 2, v0
	s_mov_b32 s1, 0
	s_and_b32 s0, s0, exec_lo
	s_cselect_b32 s3, s11, 0
	s_cselect_b32 s2, s10, 0x10000
	s_mov_b32 s0, exec_lo
	v_cmpx_gt_i64_e64 s[2:3], v[1:2]
	s_cbranch_execz .LBB100_25
; %bb.23:
	s_load_dword s0, s[4:5], 0xd14
	v_mov_b32_e32 v1, v2
	v_lshlrev_b32_e32 v2, 3, v0
	s_waitcnt lgkmcnt(0)
	s_and_b32 s4, s0, 0xffff
	s_add_u32 s0, s6, s8
	s_addc_u32 s5, s7, s9
	v_add_co_u32 v2, s0, s0, v2
	v_add_co_ci_u32_e64 v3, null, s5, 0, s0
	s_lshl_b32 s5, s4, 3
	s_inst_prefetch 0x1
	.p2align	6
.LBB100_24:                             ; =>This Inner Loop Header: Depth=1
	global_load_dwordx2 v[6:7], v[2:3], off
	v_add_co_u32 v0, vcc_lo, v0, s4
	v_add_co_ci_u32_e64 v1, null, 0, v1, vcc_lo
	s_waitcnt vmcnt(0)
	v_lshrrev_b32_e32 v4, 16, v6
	v_lshrrev_b32_e32 v8, 16, v7
	v_sub_nc_u16 v10, v6, v5
	v_sub_nc_u16 v9, v7, v5
	v_lshlrev_b64 v[6:7], 2, v[0:1]
	v_sub_nc_u16 v4, v4, v5
	v_sub_nc_u16 v8, v8, v5
	v_cmp_le_i64_e32 vcc_lo, s[2:3], v[6:7]
	v_perm_b32 v9, v8, v9, 0x5040100
	v_perm_b32 v8, v4, v10, 0x5040100
	s_or_b32 s1, vcc_lo, s1
	global_store_dwordx2 v[2:3], v[8:9], off
	v_add_co_u32 v2, s0, v2, s5
	v_add_co_ci_u32_e64 v3, null, 0, v3, s0
	s_andn2_b32 exec_lo, exec_lo, s1
	s_cbranch_execnz .LBB100_24
.LBB100_25:
	s_inst_prefetch 0x2
	s_endpgm
	.section	.rodata,"a",@progbits
	.p2align	6, 0x0
	.amdhsa_kernel _ZN2at6native12_GLOBAL__N_125multi_tensor_apply_kernelINS1_28TensorListScalarListMetadataIsLi1EEENS1_25BinaryOpScalarListFunctorIsLi1ELi1ELi0EEEJSt5minusIsEEEEvT_T0_DpT1_
		.amdhsa_group_segment_fixed_size 0
		.amdhsa_private_segment_fixed_size 0
		.amdhsa_kernarg_size 3592
		.amdhsa_user_sgpr_count 6
		.amdhsa_user_sgpr_private_segment_buffer 1
		.amdhsa_user_sgpr_dispatch_ptr 0
		.amdhsa_user_sgpr_queue_ptr 0
		.amdhsa_user_sgpr_kernarg_segment_ptr 1
		.amdhsa_user_sgpr_dispatch_id 0
		.amdhsa_user_sgpr_flat_scratch_init 0
		.amdhsa_user_sgpr_private_segment_size 0
		.amdhsa_wavefront_size32 1
		.amdhsa_uses_dynamic_stack 0
		.amdhsa_system_sgpr_private_segment_wavefront_offset 0
		.amdhsa_system_sgpr_workgroup_id_x 1
		.amdhsa_system_sgpr_workgroup_id_y 0
		.amdhsa_system_sgpr_workgroup_id_z 0
		.amdhsa_system_sgpr_workgroup_info 0
		.amdhsa_system_vgpr_workitem_id 0
		.amdhsa_next_free_vgpr 17
		.amdhsa_next_free_sgpr 22
		.amdhsa_reserve_vcc 1
		.amdhsa_reserve_flat_scratch 0
		.amdhsa_float_round_mode_32 0
		.amdhsa_float_round_mode_16_64 0
		.amdhsa_float_denorm_mode_32 3
		.amdhsa_float_denorm_mode_16_64 3
		.amdhsa_dx10_clamp 1
		.amdhsa_ieee_mode 1
		.amdhsa_fp16_overflow 0
		.amdhsa_workgroup_processor_mode 1
		.amdhsa_memory_ordered 1
		.amdhsa_forward_progress 1
		.amdhsa_shared_vgpr_count 0
		.amdhsa_exception_fp_ieee_invalid_op 0
		.amdhsa_exception_fp_denorm_src 0
		.amdhsa_exception_fp_ieee_div_zero 0
		.amdhsa_exception_fp_ieee_overflow 0
		.amdhsa_exception_fp_ieee_underflow 0
		.amdhsa_exception_fp_ieee_inexact 0
		.amdhsa_exception_int_div_zero 0
	.end_amdhsa_kernel
	.section	.text._ZN2at6native12_GLOBAL__N_125multi_tensor_apply_kernelINS1_28TensorListScalarListMetadataIsLi1EEENS1_25BinaryOpScalarListFunctorIsLi1ELi1ELi0EEEJSt5minusIsEEEEvT_T0_DpT1_,"axG",@progbits,_ZN2at6native12_GLOBAL__N_125multi_tensor_apply_kernelINS1_28TensorListScalarListMetadataIsLi1EEENS1_25BinaryOpScalarListFunctorIsLi1ELi1ELi0EEEJSt5minusIsEEEEvT_T0_DpT1_,comdat
.Lfunc_end100:
	.size	_ZN2at6native12_GLOBAL__N_125multi_tensor_apply_kernelINS1_28TensorListScalarListMetadataIsLi1EEENS1_25BinaryOpScalarListFunctorIsLi1ELi1ELi0EEEJSt5minusIsEEEEvT_T0_DpT1_, .Lfunc_end100-_ZN2at6native12_GLOBAL__N_125multi_tensor_apply_kernelINS1_28TensorListScalarListMetadataIsLi1EEENS1_25BinaryOpScalarListFunctorIsLi1ELi1ELi0EEEJSt5minusIsEEEEvT_T0_DpT1_
                                        ; -- End function
	.set _ZN2at6native12_GLOBAL__N_125multi_tensor_apply_kernelINS1_28TensorListScalarListMetadataIsLi1EEENS1_25BinaryOpScalarListFunctorIsLi1ELi1ELi0EEEJSt5minusIsEEEEvT_T0_DpT1_.num_vgpr, 17
	.set _ZN2at6native12_GLOBAL__N_125multi_tensor_apply_kernelINS1_28TensorListScalarListMetadataIsLi1EEENS1_25BinaryOpScalarListFunctorIsLi1ELi1ELi0EEEJSt5minusIsEEEEvT_T0_DpT1_.num_agpr, 0
	.set _ZN2at6native12_GLOBAL__N_125multi_tensor_apply_kernelINS1_28TensorListScalarListMetadataIsLi1EEENS1_25BinaryOpScalarListFunctorIsLi1ELi1ELi0EEEJSt5minusIsEEEEvT_T0_DpT1_.numbered_sgpr, 22
	.set _ZN2at6native12_GLOBAL__N_125multi_tensor_apply_kernelINS1_28TensorListScalarListMetadataIsLi1EEENS1_25BinaryOpScalarListFunctorIsLi1ELi1ELi0EEEJSt5minusIsEEEEvT_T0_DpT1_.num_named_barrier, 0
	.set _ZN2at6native12_GLOBAL__N_125multi_tensor_apply_kernelINS1_28TensorListScalarListMetadataIsLi1EEENS1_25BinaryOpScalarListFunctorIsLi1ELi1ELi0EEEJSt5minusIsEEEEvT_T0_DpT1_.private_seg_size, 0
	.set _ZN2at6native12_GLOBAL__N_125multi_tensor_apply_kernelINS1_28TensorListScalarListMetadataIsLi1EEENS1_25BinaryOpScalarListFunctorIsLi1ELi1ELi0EEEJSt5minusIsEEEEvT_T0_DpT1_.uses_vcc, 1
	.set _ZN2at6native12_GLOBAL__N_125multi_tensor_apply_kernelINS1_28TensorListScalarListMetadataIsLi1EEENS1_25BinaryOpScalarListFunctorIsLi1ELi1ELi0EEEJSt5minusIsEEEEvT_T0_DpT1_.uses_flat_scratch, 0
	.set _ZN2at6native12_GLOBAL__N_125multi_tensor_apply_kernelINS1_28TensorListScalarListMetadataIsLi1EEENS1_25BinaryOpScalarListFunctorIsLi1ELi1ELi0EEEJSt5minusIsEEEEvT_T0_DpT1_.has_dyn_sized_stack, 0
	.set _ZN2at6native12_GLOBAL__N_125multi_tensor_apply_kernelINS1_28TensorListScalarListMetadataIsLi1EEENS1_25BinaryOpScalarListFunctorIsLi1ELi1ELi0EEEJSt5minusIsEEEEvT_T0_DpT1_.has_recursion, 0
	.set _ZN2at6native12_GLOBAL__N_125multi_tensor_apply_kernelINS1_28TensorListScalarListMetadataIsLi1EEENS1_25BinaryOpScalarListFunctorIsLi1ELi1ELi0EEEJSt5minusIsEEEEvT_T0_DpT1_.has_indirect_call, 0
	.section	.AMDGPU.csdata,"",@progbits
; Kernel info:
; codeLenInByte = 1172
; TotalNumSgprs: 24
; NumVgprs: 17
; ScratchSize: 0
; MemoryBound: 0
; FloatMode: 240
; IeeeMode: 1
; LDSByteSize: 0 bytes/workgroup (compile time only)
; SGPRBlocks: 0
; VGPRBlocks: 2
; NumSGPRsForWavesPerEU: 24
; NumVGPRsForWavesPerEU: 17
; Occupancy: 16
; WaveLimiterHint : 0
; COMPUTE_PGM_RSRC2:SCRATCH_EN: 0
; COMPUTE_PGM_RSRC2:USER_SGPR: 6
; COMPUTE_PGM_RSRC2:TRAP_HANDLER: 0
; COMPUTE_PGM_RSRC2:TGID_X_EN: 1
; COMPUTE_PGM_RSRC2:TGID_Y_EN: 0
; COMPUTE_PGM_RSRC2:TGID_Z_EN: 0
; COMPUTE_PGM_RSRC2:TIDIG_COMP_CNT: 0
	.section	.text._ZN2at6native12_GLOBAL__N_125multi_tensor_apply_kernelINS1_28TensorListScalarListMetadataIdLi1EEENS1_25BinaryOpScalarListFunctorIdLi1ELi1ELi0EEEJSt5minusIdEEEEvT_T0_DpT1_,"axG",@progbits,_ZN2at6native12_GLOBAL__N_125multi_tensor_apply_kernelINS1_28TensorListScalarListMetadataIdLi1EEENS1_25BinaryOpScalarListFunctorIdLi1ELi1ELi0EEEJSt5minusIdEEEEvT_T0_DpT1_,comdat
	.globl	_ZN2at6native12_GLOBAL__N_125multi_tensor_apply_kernelINS1_28TensorListScalarListMetadataIdLi1EEENS1_25BinaryOpScalarListFunctorIdLi1ELi1ELi0EEEJSt5minusIdEEEEvT_T0_DpT1_ ; -- Begin function _ZN2at6native12_GLOBAL__N_125multi_tensor_apply_kernelINS1_28TensorListScalarListMetadataIdLi1EEENS1_25BinaryOpScalarListFunctorIdLi1ELi1ELi0EEEJSt5minusIdEEEEvT_T0_DpT1_
	.p2align	8
	.type	_ZN2at6native12_GLOBAL__N_125multi_tensor_apply_kernelINS1_28TensorListScalarListMetadataIdLi1EEENS1_25BinaryOpScalarListFunctorIdLi1ELi1ELi0EEEJSt5minusIdEEEEvT_T0_DpT1_,@function
_ZN2at6native12_GLOBAL__N_125multi_tensor_apply_kernelINS1_28TensorListScalarListMetadataIdLi1EEENS1_25BinaryOpScalarListFunctorIdLi1ELi1ELi0EEEJSt5minusIdEEEEvT_T0_DpT1_: ; @_ZN2at6native12_GLOBAL__N_125multi_tensor_apply_kernelINS1_28TensorListScalarListMetadataIdLi1EEENS1_25BinaryOpScalarListFunctorIdLi1ELi1ELi0EEEJSt5minusIdEEEEvT_T0_DpT1_
; %bb.0:
	v_mov_b32_e32 v1, 0x800
	s_add_u32 s0, s4, s6
	s_addc_u32 s1, s5, 0
	s_mov_b32 s7, 0
	global_load_ubyte v1, v1, s[0:1] offset:256
	s_lshl_b64 s[0:1], s[6:7], 2
	s_add_u32 s0, s4, s0
	s_addc_u32 s1, s5, s1
	s_load_dword s0, s[0:1], 0xa40
	s_waitcnt vmcnt(0)
	v_readfirstlane_b32 s2, v1
	s_lshl_b32 s1, s2, 3
	s_clause 0x2
	s_load_dwordx2 s[8:9], s[4:5], s1 offset:0x600
	s_load_dwordx2 s[10:11], s[4:5], s1 offset:0x0
	;; [unrolled: 1-line block ×3, first 2 shown]
	s_waitcnt lgkmcnt(0)
	s_ashr_i32 s1, s0, 31
	s_lshl_b64 s[12:13], s[0:1], 19
	s_lshl_b64 s[0:1], s[0:1], 16
	s_and_b32 s6, s10, 31
	s_sub_u32 s14, s2, s0
	s_subb_u32 s15, s3, s1
	s_and_b32 s0, s2, 3
	s_mov_b32 s1, s7
	s_or_b64 s[0:1], s[6:7], s[0:1]
	s_cmp_eq_u64 s[0:1], 0
	s_cbranch_scc1 .LBB101_21
; %bb.1:
	v_cmp_lt_i64_e64 s0, s[14:15], 1
	s_and_b32 vcc_lo, exec_lo, s0
	s_cbranch_vccnz .LBB101_20
; %bb.2:
	s_load_dword s0, s[4:5], 0xf54
	v_cmp_gt_i64_e64 s1, 0x10000, s[14:15]
	v_cmp_gt_u64_e64 s2, 0x10000, s[14:15]
	v_lshlrev_b32_e32 v1, 3, v0
	s_and_b32 s1, s1, exec_lo
	s_cselect_b32 s7, s15, 0
	s_cselect_b32 s6, s14, 0x10000
	s_waitcnt lgkmcnt(0)
	s_and_b32 s0, s0, 0xffff
	s_and_b32 s1, s2, exec_lo
	v_add_co_u32 v13, s3, v0, s0
	s_cselect_b32 s17, s15, 0
	s_cselect_b32 s16, s14, 0x10000
	s_lshl_b32 s1, s0, 1
	v_lshlrev_b32_e32 v3, 3, v13
	s_mul_i32 s2, s0, 3
	s_lshl_b32 s20, s0, 2
	s_add_u32 s18, s10, s12
	v_add_co_u32 v14, s2, s2, v0
	v_add_co_u32 v17, s1, s1, v0
	s_addc_u32 s19, s11, s13
	v_add_co_ci_u32_e64 v15, null, 0, 0, s2
	v_add_co_u32 v1, s2, s18, v1
	v_add_co_ci_u32_e64 v18, null, 0, 0, s1
	v_add_co_u32 v3, s1, s18, v3
	v_add_co_ci_u32_e64 v2, null, s19, 0, s2
	v_add_co_ci_u32_e64 v16, null, 0, 0, s3
	;; [unrolled: 1-line block ×3, first 2 shown]
	s_lshl_b32 s21, s0, 5
	s_mul_i32 s22, s0, 24
	s_lshl_b32 s23, s0, 4
	s_mov_b64 s[18:19], 0
	s_branch .LBB101_4
.LBB101_3:                              ;   in Loop: Header=BB101_4 Depth=1
	s_or_b32 exec_lo, exec_lo, s0
	s_add_u32 s18, s18, s20
	s_addc_u32 s19, s19, 0
	v_add_co_u32 v1, vcc_lo, v1, s21
	v_cmp_lt_i64_e64 s0, s[18:19], s[6:7]
	v_add_co_ci_u32_e64 v2, null, 0, v2, vcc_lo
	v_add_co_u32 v3, vcc_lo, v3, s21
	v_add_co_ci_u32_e64 v4, null, 0, v4, vcc_lo
	s_and_b32 vcc_lo, exec_lo, s0
	s_cbranch_vccz .LBB101_20
.LBB101_4:                              ; =>This Inner Loop Header: Depth=1
	s_waitcnt vmcnt(0)
	v_add_co_u32 v7, s0, v0, s18
	v_add_co_ci_u32_e64 v8, null, 0, s19, s0
	v_mov_b32_e32 v5, 0
	v_mov_b32_e32 v6, 0
	v_cmp_gt_u64_e32 vcc_lo, s[16:17], v[7:8]
	v_mov_b32_e32 v7, 0
	v_mov_b32_e32 v8, 0
	s_and_saveexec_b32 s0, vcc_lo
	s_cbranch_execz .LBB101_6
; %bb.5:                                ;   in Loop: Header=BB101_4 Depth=1
	global_load_dwordx2 v[7:8], v[1:2], off
.LBB101_6:                              ;   in Loop: Header=BB101_4 Depth=1
	s_or_b32 exec_lo, exec_lo, s0
	v_add_co_u32 v9, s0, v13, s18
	v_add_co_ci_u32_e64 v10, null, s19, v16, s0
	v_cmp_gt_u64_e64 s0, s[16:17], v[9:10]
	s_and_saveexec_b32 s1, s0
	s_cbranch_execz .LBB101_8
; %bb.7:                                ;   in Loop: Header=BB101_4 Depth=1
	global_load_dwordx2 v[5:6], v[3:4], off
.LBB101_8:                              ;   in Loop: Header=BB101_4 Depth=1
	s_or_b32 exec_lo, exec_lo, s1
	v_add_co_u32 v11, s1, v17, s18
	v_add_co_ci_u32_e64 v12, null, s19, v18, s1
	v_mov_b32_e32 v9, 0
	v_mov_b32_e32 v10, 0
	v_cmp_gt_u64_e64 s1, s[16:17], v[11:12]
	v_mov_b32_e32 v11, 0
	v_mov_b32_e32 v12, 0
	s_and_saveexec_b32 s3, s1
	s_cbranch_execz .LBB101_10
; %bb.9:                                ;   in Loop: Header=BB101_4 Depth=1
	v_add_co_u32 v11, s2, v1, s23
	v_add_co_ci_u32_e64 v12, null, 0, v2, s2
	global_load_dwordx2 v[11:12], v[11:12], off
.LBB101_10:                             ;   in Loop: Header=BB101_4 Depth=1
	s_or_b32 exec_lo, exec_lo, s3
	v_add_co_u32 v19, s2, v14, s18
	v_add_co_ci_u32_e64 v20, null, s19, v15, s2
	v_cmp_gt_u64_e64 s2, s[16:17], v[19:20]
	s_and_saveexec_b32 s24, s2
	s_cbranch_execnz .LBB101_15
; %bb.11:                               ;   in Loop: Header=BB101_4 Depth=1
	s_or_b32 exec_lo, exec_lo, s24
	s_and_saveexec_b32 s3, vcc_lo
	s_cbranch_execnz .LBB101_16
.LBB101_12:                             ;   in Loop: Header=BB101_4 Depth=1
	s_or_b32 exec_lo, exec_lo, s3
	s_and_saveexec_b32 s3, s0
	s_cbranch_execnz .LBB101_17
.LBB101_13:                             ;   in Loop: Header=BB101_4 Depth=1
	s_or_b32 exec_lo, exec_lo, s3
	s_and_saveexec_b32 s0, s1
	s_cbranch_execnz .LBB101_18
.LBB101_14:                             ;   in Loop: Header=BB101_4 Depth=1
	s_or_b32 exec_lo, exec_lo, s0
	s_and_saveexec_b32 s0, s2
	s_cbranch_execz .LBB101_3
	s_branch .LBB101_19
.LBB101_15:                             ;   in Loop: Header=BB101_4 Depth=1
	v_add_co_u32 v9, s3, v1, s22
	v_add_co_ci_u32_e64 v10, null, 0, v2, s3
	global_load_dwordx2 v[9:10], v[9:10], off
	s_or_b32 exec_lo, exec_lo, s24
	s_and_saveexec_b32 s3, vcc_lo
	s_cbranch_execz .LBB101_12
.LBB101_16:                             ;   in Loop: Header=BB101_4 Depth=1
	s_waitcnt vmcnt(0)
	v_add_f64 v[7:8], v[7:8], -s[8:9]
	global_store_dwordx2 v[1:2], v[7:8], off
	s_or_b32 exec_lo, exec_lo, s3
	s_and_saveexec_b32 s3, s0
	s_cbranch_execz .LBB101_13
.LBB101_17:                             ;   in Loop: Header=BB101_4 Depth=1
	s_waitcnt vmcnt(0)
	v_add_f64 v[5:6], v[5:6], -s[8:9]
	global_store_dwordx2 v[3:4], v[5:6], off
	s_or_b32 exec_lo, exec_lo, s3
	s_and_saveexec_b32 s0, s1
	s_cbranch_execz .LBB101_14
.LBB101_18:                             ;   in Loop: Header=BB101_4 Depth=1
	s_waitcnt vmcnt(0)
	v_add_f64 v[5:6], v[11:12], -s[8:9]
	v_add_co_u32 v7, vcc_lo, v1, s23
	v_add_co_ci_u32_e64 v8, null, 0, v2, vcc_lo
	global_store_dwordx2 v[7:8], v[5:6], off
	s_or_b32 exec_lo, exec_lo, s0
	s_and_saveexec_b32 s0, s2
	s_cbranch_execz .LBB101_3
.LBB101_19:                             ;   in Loop: Header=BB101_4 Depth=1
	s_waitcnt vmcnt(0)
	v_add_f64 v[5:6], v[9:10], -s[8:9]
	v_add_co_u32 v7, vcc_lo, v1, s22
	v_add_co_ci_u32_e64 v8, null, 0, v2, vcc_lo
	global_store_dwordx2 v[7:8], v[5:6], off
	s_branch .LBB101_3
.LBB101_20:
	s_cbranch_execz .LBB101_22
	s_branch .LBB101_25
.LBB101_21:
.LBB101_22:
	v_cmp_gt_i64_e64 s0, 0x10000, s[14:15]
	v_mov_b32_e32 v2, 0
	v_lshlrev_b32_e32 v1, 2, v0
	s_mov_b32 s1, 0
	s_and_b32 s0, s0, exec_lo
	s_cselect_b32 s3, s15, 0
	s_cselect_b32 s2, s14, 0x10000
	s_mov_b32 s0, exec_lo
	v_cmpx_gt_i64_e64 s[2:3], v[1:2]
	s_cbranch_execz .LBB101_25
; %bb.23:
	s_load_dword s0, s[4:5], 0xf54
	v_lshlrev_b32_e32 v1, 5, v0
	s_waitcnt lgkmcnt(0)
	s_and_b32 s4, s0, 0xffff
	s_add_u32 s0, s10, s12
	s_addc_u32 s5, s11, s13
	v_add_co_u32 v3, s0, s0, v1
	v_add_co_ci_u32_e64 v4, null, s5, 0, s0
	v_mov_b32_e32 v1, v2
	v_add_co_u32 v2, vcc_lo, v3, 16
	v_add_co_ci_u32_e64 v3, null, 0, v4, vcc_lo
	s_lshl_b32 s5, s4, 5
	.p2align	6
.LBB101_24:                             ; =>This Inner Loop Header: Depth=1
	s_clause 0x1
	global_load_dwordx4 v[4:7], v[2:3], off offset:-16
	global_load_dwordx4 v[8:11], v[2:3], off
	v_add_co_u32 v0, vcc_lo, v0, s4
	v_add_co_ci_u32_e64 v1, null, 0, v1, vcc_lo
	s_waitcnt vmcnt(2)
	v_lshlrev_b64 v[12:13], 2, v[0:1]
	v_cmp_le_i64_e32 vcc_lo, s[2:3], v[12:13]
	s_or_b32 s1, vcc_lo, s1
	s_waitcnt vmcnt(1)
	v_add_f64 v[4:5], v[4:5], -s[8:9]
	v_add_f64 v[6:7], v[6:7], -s[8:9]
	s_waitcnt vmcnt(0)
	v_add_f64 v[8:9], v[8:9], -s[8:9]
	v_add_f64 v[10:11], v[10:11], -s[8:9]
	global_store_dwordx4 v[2:3], v[4:7], off offset:-16
	global_store_dwordx4 v[2:3], v[8:11], off
	v_add_co_u32 v2, s0, v2, s5
	v_add_co_ci_u32_e64 v3, null, 0, v3, s0
	s_andn2_b32 exec_lo, exec_lo, s1
	s_cbranch_execnz .LBB101_24
.LBB101_25:
	s_endpgm
	.section	.rodata,"a",@progbits
	.p2align	6, 0x0
	.amdhsa_kernel _ZN2at6native12_GLOBAL__N_125multi_tensor_apply_kernelINS1_28TensorListScalarListMetadataIdLi1EEENS1_25BinaryOpScalarListFunctorIdLi1ELi1ELi0EEEJSt5minusIdEEEEvT_T0_DpT1_
		.amdhsa_group_segment_fixed_size 0
		.amdhsa_private_segment_fixed_size 0
		.amdhsa_kernarg_size 4168
		.amdhsa_user_sgpr_count 6
		.amdhsa_user_sgpr_private_segment_buffer 1
		.amdhsa_user_sgpr_dispatch_ptr 0
		.amdhsa_user_sgpr_queue_ptr 0
		.amdhsa_user_sgpr_kernarg_segment_ptr 1
		.amdhsa_user_sgpr_dispatch_id 0
		.amdhsa_user_sgpr_flat_scratch_init 0
		.amdhsa_user_sgpr_private_segment_size 0
		.amdhsa_wavefront_size32 1
		.amdhsa_uses_dynamic_stack 0
		.amdhsa_system_sgpr_private_segment_wavefront_offset 0
		.amdhsa_system_sgpr_workgroup_id_x 1
		.amdhsa_system_sgpr_workgroup_id_y 0
		.amdhsa_system_sgpr_workgroup_id_z 0
		.amdhsa_system_sgpr_workgroup_info 0
		.amdhsa_system_vgpr_workitem_id 0
		.amdhsa_next_free_vgpr 21
		.amdhsa_next_free_sgpr 25
		.amdhsa_reserve_vcc 1
		.amdhsa_reserve_flat_scratch 0
		.amdhsa_float_round_mode_32 0
		.amdhsa_float_round_mode_16_64 0
		.amdhsa_float_denorm_mode_32 3
		.amdhsa_float_denorm_mode_16_64 3
		.amdhsa_dx10_clamp 1
		.amdhsa_ieee_mode 1
		.amdhsa_fp16_overflow 0
		.amdhsa_workgroup_processor_mode 1
		.amdhsa_memory_ordered 1
		.amdhsa_forward_progress 1
		.amdhsa_shared_vgpr_count 0
		.amdhsa_exception_fp_ieee_invalid_op 0
		.amdhsa_exception_fp_denorm_src 0
		.amdhsa_exception_fp_ieee_div_zero 0
		.amdhsa_exception_fp_ieee_overflow 0
		.amdhsa_exception_fp_ieee_underflow 0
		.amdhsa_exception_fp_ieee_inexact 0
		.amdhsa_exception_int_div_zero 0
	.end_amdhsa_kernel
	.section	.text._ZN2at6native12_GLOBAL__N_125multi_tensor_apply_kernelINS1_28TensorListScalarListMetadataIdLi1EEENS1_25BinaryOpScalarListFunctorIdLi1ELi1ELi0EEEJSt5minusIdEEEEvT_T0_DpT1_,"axG",@progbits,_ZN2at6native12_GLOBAL__N_125multi_tensor_apply_kernelINS1_28TensorListScalarListMetadataIdLi1EEENS1_25BinaryOpScalarListFunctorIdLi1ELi1ELi0EEEJSt5minusIdEEEEvT_T0_DpT1_,comdat
.Lfunc_end101:
	.size	_ZN2at6native12_GLOBAL__N_125multi_tensor_apply_kernelINS1_28TensorListScalarListMetadataIdLi1EEENS1_25BinaryOpScalarListFunctorIdLi1ELi1ELi0EEEJSt5minusIdEEEEvT_T0_DpT1_, .Lfunc_end101-_ZN2at6native12_GLOBAL__N_125multi_tensor_apply_kernelINS1_28TensorListScalarListMetadataIdLi1EEENS1_25BinaryOpScalarListFunctorIdLi1ELi1ELi0EEEJSt5minusIdEEEEvT_T0_DpT1_
                                        ; -- End function
	.set _ZN2at6native12_GLOBAL__N_125multi_tensor_apply_kernelINS1_28TensorListScalarListMetadataIdLi1EEENS1_25BinaryOpScalarListFunctorIdLi1ELi1ELi0EEEJSt5minusIdEEEEvT_T0_DpT1_.num_vgpr, 21
	.set _ZN2at6native12_GLOBAL__N_125multi_tensor_apply_kernelINS1_28TensorListScalarListMetadataIdLi1EEENS1_25BinaryOpScalarListFunctorIdLi1ELi1ELi0EEEJSt5minusIdEEEEvT_T0_DpT1_.num_agpr, 0
	.set _ZN2at6native12_GLOBAL__N_125multi_tensor_apply_kernelINS1_28TensorListScalarListMetadataIdLi1EEENS1_25BinaryOpScalarListFunctorIdLi1ELi1ELi0EEEJSt5minusIdEEEEvT_T0_DpT1_.numbered_sgpr, 25
	.set _ZN2at6native12_GLOBAL__N_125multi_tensor_apply_kernelINS1_28TensorListScalarListMetadataIdLi1EEENS1_25BinaryOpScalarListFunctorIdLi1ELi1ELi0EEEJSt5minusIdEEEEvT_T0_DpT1_.num_named_barrier, 0
	.set _ZN2at6native12_GLOBAL__N_125multi_tensor_apply_kernelINS1_28TensorListScalarListMetadataIdLi1EEENS1_25BinaryOpScalarListFunctorIdLi1ELi1ELi0EEEJSt5minusIdEEEEvT_T0_DpT1_.private_seg_size, 0
	.set _ZN2at6native12_GLOBAL__N_125multi_tensor_apply_kernelINS1_28TensorListScalarListMetadataIdLi1EEENS1_25BinaryOpScalarListFunctorIdLi1ELi1ELi0EEEJSt5minusIdEEEEvT_T0_DpT1_.uses_vcc, 1
	.set _ZN2at6native12_GLOBAL__N_125multi_tensor_apply_kernelINS1_28TensorListScalarListMetadataIdLi1EEENS1_25BinaryOpScalarListFunctorIdLi1ELi1ELi0EEEJSt5minusIdEEEEvT_T0_DpT1_.uses_flat_scratch, 0
	.set _ZN2at6native12_GLOBAL__N_125multi_tensor_apply_kernelINS1_28TensorListScalarListMetadataIdLi1EEENS1_25BinaryOpScalarListFunctorIdLi1ELi1ELi0EEEJSt5minusIdEEEEvT_T0_DpT1_.has_dyn_sized_stack, 0
	.set _ZN2at6native12_GLOBAL__N_125multi_tensor_apply_kernelINS1_28TensorListScalarListMetadataIdLi1EEENS1_25BinaryOpScalarListFunctorIdLi1ELi1ELi0EEEJSt5minusIdEEEEvT_T0_DpT1_.has_recursion, 0
	.set _ZN2at6native12_GLOBAL__N_125multi_tensor_apply_kernelINS1_28TensorListScalarListMetadataIdLi1EEENS1_25BinaryOpScalarListFunctorIdLi1ELi1ELi0EEEJSt5minusIdEEEEvT_T0_DpT1_.has_indirect_call, 0
	.section	.AMDGPU.csdata,"",@progbits
; Kernel info:
; codeLenInByte = 1164
; TotalNumSgprs: 27
; NumVgprs: 21
; ScratchSize: 0
; MemoryBound: 0
; FloatMode: 240
; IeeeMode: 1
; LDSByteSize: 0 bytes/workgroup (compile time only)
; SGPRBlocks: 0
; VGPRBlocks: 2
; NumSGPRsForWavesPerEU: 27
; NumVGPRsForWavesPerEU: 21
; Occupancy: 16
; WaveLimiterHint : 1
; COMPUTE_PGM_RSRC2:SCRATCH_EN: 0
; COMPUTE_PGM_RSRC2:USER_SGPR: 6
; COMPUTE_PGM_RSRC2:TRAP_HANDLER: 0
; COMPUTE_PGM_RSRC2:TGID_X_EN: 1
; COMPUTE_PGM_RSRC2:TGID_Y_EN: 0
; COMPUTE_PGM_RSRC2:TGID_Z_EN: 0
; COMPUTE_PGM_RSRC2:TIDIG_COMP_CNT: 0
	.section	.text._ZN2at6native12_GLOBAL__N_125multi_tensor_apply_kernelINS1_28TensorListScalarListMetadataIfLi1EEENS1_25BinaryOpScalarListFunctorIfLi1ELi1ELi0EEEJSt5minusIfEEEEvT_T0_DpT1_,"axG",@progbits,_ZN2at6native12_GLOBAL__N_125multi_tensor_apply_kernelINS1_28TensorListScalarListMetadataIfLi1EEENS1_25BinaryOpScalarListFunctorIfLi1ELi1ELi0EEEJSt5minusIfEEEEvT_T0_DpT1_,comdat
	.globl	_ZN2at6native12_GLOBAL__N_125multi_tensor_apply_kernelINS1_28TensorListScalarListMetadataIfLi1EEENS1_25BinaryOpScalarListFunctorIfLi1ELi1ELi0EEEJSt5minusIfEEEEvT_T0_DpT1_ ; -- Begin function _ZN2at6native12_GLOBAL__N_125multi_tensor_apply_kernelINS1_28TensorListScalarListMetadataIfLi1EEENS1_25BinaryOpScalarListFunctorIfLi1ELi1ELi0EEEJSt5minusIfEEEEvT_T0_DpT1_
	.p2align	8
	.type	_ZN2at6native12_GLOBAL__N_125multi_tensor_apply_kernelINS1_28TensorListScalarListMetadataIfLi1EEENS1_25BinaryOpScalarListFunctorIfLi1ELi1ELi0EEEJSt5minusIfEEEEvT_T0_DpT1_,@function
_ZN2at6native12_GLOBAL__N_125multi_tensor_apply_kernelINS1_28TensorListScalarListMetadataIfLi1EEENS1_25BinaryOpScalarListFunctorIfLi1ELi1ELi0EEEJSt5minusIfEEEEvT_T0_DpT1_: ; @_ZN2at6native12_GLOBAL__N_125multi_tensor_apply_kernelINS1_28TensorListScalarListMetadataIfLi1EEENS1_25BinaryOpScalarListFunctorIfLi1ELi1ELi0EEEJSt5minusIfEEEEvT_T0_DpT1_
; %bb.0:
	v_mov_b32_e32 v1, s6
	s_add_u32 s0, s4, s6
	s_mul_i32 s1, s6, 3
	s_mul_hi_u32 s2, s6, 3
	s_addc_u32 s3, s5, 0
	global_load_ubyte v1, v1, s[4:5] offset:1920
	s_add_u32 s0, s0, s1
	s_addc_u32 s1, s3, s2
	s_mov_b32 s13, 0
	s_load_dword s0, s[0:1], 0x8c0
	s_waitcnt vmcnt(0)
	v_readfirstlane_b32 s1, v1
	v_lshlrev_b32_e32 v1, 2, v1
	s_lshl_b32 s8, s1, 3
	v_sub_co_u32 v1, s1, 0, v1
	v_sub_co_ci_u32_e64 v2, null, 0, 0, s1
	s_waitcnt lgkmcnt(0)
	s_ashr_i32 s1, s0, 31
	s_clause 0x1
	s_load_dwordx2 s[2:3], s[4:5], s8 offset:0x300
	s_load_dwordx2 s[6:7], s[4:5], s8 offset:0x0
	s_add_u32 s8, s4, s8
	s_addc_u32 s9, s5, 0
	v_add_co_u32 v1, vcc_lo, s8, v1
	v_add_co_ci_u32_e64 v2, null, s9, v2, vcc_lo
	v_readfirstlane_b32 s8, v1
	v_readfirstlane_b32 s9, v2
	s_load_dword s18, s[8:9], 0x600
	s_lshl_b64 s[8:9], s[0:1], 18
	s_lshl_b64 s[0:1], s[0:1], 16
	s_waitcnt lgkmcnt(0)
	s_and_b32 s12, s6, 15
	s_sub_u32 s10, s2, s0
	s_subb_u32 s11, s3, s1
	s_and_b32 s0, s2, 3
	s_mov_b32 s1, s13
	s_or_b64 s[0:1], s[12:13], s[0:1]
	s_cmp_eq_u64 s[0:1], 0
	s_cbranch_scc1 .LBB102_21
; %bb.1:
	v_cmp_lt_i64_e64 s0, s[10:11], 1
	s_and_b32 vcc_lo, exec_lo, s0
	s_cbranch_vccnz .LBB102_20
; %bb.2:
	s_load_dword s0, s[4:5], 0xdd4
	v_cmp_gt_i64_e64 s1, 0x10000, s[10:11]
	v_cmp_gt_u64_e64 s2, 0x10000, s[10:11]
	v_lshlrev_b32_e32 v1, 2, v0
	s_and_b32 s1, s1, exec_lo
	s_cselect_b32 s13, s11, 0
	s_cselect_b32 s12, s10, 0x10000
	s_waitcnt lgkmcnt(0)
	s_and_b32 s0, s0, 0xffff
	s_and_b32 s1, s2, exec_lo
	v_add_co_u32 v5, s3, v0, s0
	s_cselect_b32 s15, s11, 0
	s_cselect_b32 s14, s10, 0x10000
	s_lshl_b32 s1, s0, 1
	v_lshlrev_b32_e32 v3, 2, v5
	s_mul_i32 s2, s0, 3
	s_lshl_b32 s19, s0, 2
	s_add_u32 s16, s6, s8
	v_add_co_u32 v6, s2, s2, v0
	v_add_co_u32 v9, s1, s1, v0
	s_addc_u32 s17, s7, s9
	v_add_co_ci_u32_e64 v7, null, 0, 0, s2
	v_add_co_u32 v1, s2, s16, v1
	v_add_co_ci_u32_e64 v10, null, 0, 0, s1
	v_add_co_u32 v3, s1, s16, v3
	v_add_co_ci_u32_e64 v2, null, s17, 0, s2
	v_add_co_ci_u32_e64 v8, null, 0, 0, s3
	;; [unrolled: 1-line block ×3, first 2 shown]
	s_lshl_b32 s20, s0, 4
	s_mul_i32 s21, s0, 12
	s_lshl_b32 s22, s0, 3
	s_mov_b64 s[16:17], 0
	s_branch .LBB102_4
.LBB102_3:                              ;   in Loop: Header=BB102_4 Depth=1
	s_or_b32 exec_lo, exec_lo, s0
	s_add_u32 s16, s16, s19
	s_addc_u32 s17, s17, 0
	v_add_co_u32 v1, vcc_lo, v1, s20
	v_cmp_lt_i64_e64 s0, s[16:17], s[12:13]
	v_add_co_ci_u32_e64 v2, null, 0, v2, vcc_lo
	v_add_co_u32 v3, vcc_lo, v3, s20
	v_add_co_ci_u32_e64 v4, null, 0, v4, vcc_lo
	s_and_b32 vcc_lo, exec_lo, s0
	s_cbranch_vccz .LBB102_20
.LBB102_4:                              ; =>This Inner Loop Header: Depth=1
	s_waitcnt vmcnt(0)
	v_add_co_u32 v11, s0, v0, s16
	v_add_co_ci_u32_e64 v12, null, 0, s17, s0
	v_cmp_gt_u64_e32 vcc_lo, s[14:15], v[11:12]
	v_mov_b32_e32 v11, 0
	s_and_saveexec_b32 s0, vcc_lo
	s_cbranch_execz .LBB102_6
; %bb.5:                                ;   in Loop: Header=BB102_4 Depth=1
	global_load_dword v11, v[1:2], off
.LBB102_6:                              ;   in Loop: Header=BB102_4 Depth=1
	s_or_b32 exec_lo, exec_lo, s0
	v_add_co_u32 v12, s0, v5, s16
	v_add_co_ci_u32_e64 v13, null, s17, v8, s0
	v_cmp_gt_u64_e64 s0, s[14:15], v[12:13]
	v_mov_b32_e32 v12, 0
	v_mov_b32_e32 v13, 0
	s_and_saveexec_b32 s1, s0
	s_cbranch_execz .LBB102_8
; %bb.7:                                ;   in Loop: Header=BB102_4 Depth=1
	global_load_dword v13, v[3:4], off
.LBB102_8:                              ;   in Loop: Header=BB102_4 Depth=1
	s_or_b32 exec_lo, exec_lo, s1
	v_add_co_u32 v14, s1, v9, s16
	v_add_co_ci_u32_e64 v15, null, s17, v10, s1
	v_cmp_gt_u64_e64 s1, s[14:15], v[14:15]
	s_and_saveexec_b32 s3, s1
	s_cbranch_execz .LBB102_10
; %bb.9:                                ;   in Loop: Header=BB102_4 Depth=1
	v_add_co_u32 v14, s2, v1, s22
	v_add_co_ci_u32_e64 v15, null, 0, v2, s2
	global_load_dword v12, v[14:15], off
.LBB102_10:                             ;   in Loop: Header=BB102_4 Depth=1
	s_or_b32 exec_lo, exec_lo, s3
	v_add_co_u32 v14, s2, v6, s16
	v_add_co_ci_u32_e64 v15, null, s17, v7, s2
	v_cmp_gt_u64_e64 s2, s[14:15], v[14:15]
	v_mov_b32_e32 v14, 0
	s_and_saveexec_b32 s23, s2
	s_cbranch_execnz .LBB102_15
; %bb.11:                               ;   in Loop: Header=BB102_4 Depth=1
	s_or_b32 exec_lo, exec_lo, s23
	s_and_saveexec_b32 s3, vcc_lo
	s_cbranch_execnz .LBB102_16
.LBB102_12:                             ;   in Loop: Header=BB102_4 Depth=1
	s_or_b32 exec_lo, exec_lo, s3
	s_and_saveexec_b32 s3, s0
	s_cbranch_execnz .LBB102_17
.LBB102_13:                             ;   in Loop: Header=BB102_4 Depth=1
	s_or_b32 exec_lo, exec_lo, s3
	s_and_saveexec_b32 s0, s1
	s_cbranch_execnz .LBB102_18
.LBB102_14:                             ;   in Loop: Header=BB102_4 Depth=1
	s_or_b32 exec_lo, exec_lo, s0
	s_and_saveexec_b32 s0, s2
	s_cbranch_execz .LBB102_3
	s_branch .LBB102_19
.LBB102_15:                             ;   in Loop: Header=BB102_4 Depth=1
	v_add_co_u32 v14, s3, v1, s21
	v_add_co_ci_u32_e64 v15, null, 0, v2, s3
	global_load_dword v14, v[14:15], off
	s_or_b32 exec_lo, exec_lo, s23
	s_and_saveexec_b32 s3, vcc_lo
	s_cbranch_execz .LBB102_12
.LBB102_16:                             ;   in Loop: Header=BB102_4 Depth=1
	s_waitcnt vmcnt(0)
	v_subrev_f32_e32 v11, s18, v11
	global_store_dword v[1:2], v11, off
	s_or_b32 exec_lo, exec_lo, s3
	s_and_saveexec_b32 s3, s0
	s_cbranch_execz .LBB102_13
.LBB102_17:                             ;   in Loop: Header=BB102_4 Depth=1
	s_waitcnt vmcnt(0)
	v_subrev_f32_e32 v11, s18, v13
	global_store_dword v[3:4], v11, off
	s_or_b32 exec_lo, exec_lo, s3
	s_and_saveexec_b32 s0, s1
	s_cbranch_execz .LBB102_14
.LBB102_18:                             ;   in Loop: Header=BB102_4 Depth=1
	s_waitcnt vmcnt(0)
	v_add_co_u32 v11, vcc_lo, v1, s22
	v_subrev_f32_e32 v13, s18, v12
	v_add_co_ci_u32_e64 v12, null, 0, v2, vcc_lo
	global_store_dword v[11:12], v13, off
	s_or_b32 exec_lo, exec_lo, s0
	s_and_saveexec_b32 s0, s2
	s_cbranch_execz .LBB102_3
.LBB102_19:                             ;   in Loop: Header=BB102_4 Depth=1
	s_waitcnt vmcnt(0)
	v_add_co_u32 v11, vcc_lo, v1, s21
	v_subrev_f32_e32 v13, s18, v14
	v_add_co_ci_u32_e64 v12, null, 0, v2, vcc_lo
	global_store_dword v[11:12], v13, off
	s_branch .LBB102_3
.LBB102_20:
	s_cbranch_execz .LBB102_22
	s_branch .LBB102_25
.LBB102_21:
.LBB102_22:
	v_cmp_gt_i64_e64 s0, 0x10000, s[10:11]
	v_mov_b32_e32 v2, 0
	v_lshlrev_b32_e32 v1, 2, v0
	s_mov_b32 s1, 0
	s_and_b32 s0, s0, exec_lo
	s_cselect_b32 s3, s11, 0
	s_cselect_b32 s2, s10, 0x10000
	s_mov_b32 s0, exec_lo
	v_cmpx_gt_i64_e64 s[2:3], v[1:2]
	s_cbranch_execz .LBB102_25
; %bb.23:
	s_load_dword s0, s[4:5], 0xdd4
	v_lshlrev_b32_e32 v1, 4, v0
	s_waitcnt lgkmcnt(0)
	s_and_b32 s4, s0, 0xffff
	s_add_u32 s0, s6, s8
	s_addc_u32 s5, s7, s9
	v_add_co_u32 v3, s0, s0, v1
	v_add_co_ci_u32_e64 v4, null, s5, 0, s0
	v_mov_b32_e32 v1, v2
	v_add_co_u32 v2, vcc_lo, v3, 8
	v_add_co_ci_u32_e64 v3, null, 0, v4, vcc_lo
	s_lshl_b32 s5, s4, 4
	.p2align	6
.LBB102_24:                             ; =>This Inner Loop Header: Depth=1
	global_load_dwordx4 v[4:7], v[2:3], off offset:-8
	v_add_co_u32 v0, vcc_lo, v0, s4
	v_add_co_ci_u32_e64 v1, null, 0, v1, vcc_lo
	v_lshlrev_b64 v[8:9], 2, v[0:1]
	v_cmp_le_i64_e32 vcc_lo, s[2:3], v[8:9]
	s_or_b32 s1, vcc_lo, s1
	s_waitcnt vmcnt(0)
	v_subrev_f32_e32 v4, s18, v4
	v_subrev_f32_e32 v5, s18, v5
	;; [unrolled: 1-line block ×4, first 2 shown]
	global_store_dwordx4 v[2:3], v[4:7], off offset:-8
	v_add_co_u32 v2, s0, v2, s5
	v_add_co_ci_u32_e64 v3, null, 0, v3, s0
	s_andn2_b32 exec_lo, exec_lo, s1
	s_cbranch_execnz .LBB102_24
.LBB102_25:
	s_endpgm
	.section	.rodata,"a",@progbits
	.p2align	6, 0x0
	.amdhsa_kernel _ZN2at6native12_GLOBAL__N_125multi_tensor_apply_kernelINS1_28TensorListScalarListMetadataIfLi1EEENS1_25BinaryOpScalarListFunctorIfLi1ELi1ELi0EEEJSt5minusIfEEEEvT_T0_DpT1_
		.amdhsa_group_segment_fixed_size 0
		.amdhsa_private_segment_fixed_size 0
		.amdhsa_kernarg_size 3784
		.amdhsa_user_sgpr_count 6
		.amdhsa_user_sgpr_private_segment_buffer 1
		.amdhsa_user_sgpr_dispatch_ptr 0
		.amdhsa_user_sgpr_queue_ptr 0
		.amdhsa_user_sgpr_kernarg_segment_ptr 1
		.amdhsa_user_sgpr_dispatch_id 0
		.amdhsa_user_sgpr_flat_scratch_init 0
		.amdhsa_user_sgpr_private_segment_size 0
		.amdhsa_wavefront_size32 1
		.amdhsa_uses_dynamic_stack 0
		.amdhsa_system_sgpr_private_segment_wavefront_offset 0
		.amdhsa_system_sgpr_workgroup_id_x 1
		.amdhsa_system_sgpr_workgroup_id_y 0
		.amdhsa_system_sgpr_workgroup_id_z 0
		.amdhsa_system_sgpr_workgroup_info 0
		.amdhsa_system_vgpr_workitem_id 0
		.amdhsa_next_free_vgpr 16
		.amdhsa_next_free_sgpr 24
		.amdhsa_reserve_vcc 1
		.amdhsa_reserve_flat_scratch 0
		.amdhsa_float_round_mode_32 0
		.amdhsa_float_round_mode_16_64 0
		.amdhsa_float_denorm_mode_32 3
		.amdhsa_float_denorm_mode_16_64 3
		.amdhsa_dx10_clamp 1
		.amdhsa_ieee_mode 1
		.amdhsa_fp16_overflow 0
		.amdhsa_workgroup_processor_mode 1
		.amdhsa_memory_ordered 1
		.amdhsa_forward_progress 1
		.amdhsa_shared_vgpr_count 0
		.amdhsa_exception_fp_ieee_invalid_op 0
		.amdhsa_exception_fp_denorm_src 0
		.amdhsa_exception_fp_ieee_div_zero 0
		.amdhsa_exception_fp_ieee_overflow 0
		.amdhsa_exception_fp_ieee_underflow 0
		.amdhsa_exception_fp_ieee_inexact 0
		.amdhsa_exception_int_div_zero 0
	.end_amdhsa_kernel
	.section	.text._ZN2at6native12_GLOBAL__N_125multi_tensor_apply_kernelINS1_28TensorListScalarListMetadataIfLi1EEENS1_25BinaryOpScalarListFunctorIfLi1ELi1ELi0EEEJSt5minusIfEEEEvT_T0_DpT1_,"axG",@progbits,_ZN2at6native12_GLOBAL__N_125multi_tensor_apply_kernelINS1_28TensorListScalarListMetadataIfLi1EEENS1_25BinaryOpScalarListFunctorIfLi1ELi1ELi0EEEJSt5minusIfEEEEvT_T0_DpT1_,comdat
.Lfunc_end102:
	.size	_ZN2at6native12_GLOBAL__N_125multi_tensor_apply_kernelINS1_28TensorListScalarListMetadataIfLi1EEENS1_25BinaryOpScalarListFunctorIfLi1ELi1ELi0EEEJSt5minusIfEEEEvT_T0_DpT1_, .Lfunc_end102-_ZN2at6native12_GLOBAL__N_125multi_tensor_apply_kernelINS1_28TensorListScalarListMetadataIfLi1EEENS1_25BinaryOpScalarListFunctorIfLi1ELi1ELi0EEEJSt5minusIfEEEEvT_T0_DpT1_
                                        ; -- End function
	.set _ZN2at6native12_GLOBAL__N_125multi_tensor_apply_kernelINS1_28TensorListScalarListMetadataIfLi1EEENS1_25BinaryOpScalarListFunctorIfLi1ELi1ELi0EEEJSt5minusIfEEEEvT_T0_DpT1_.num_vgpr, 16
	.set _ZN2at6native12_GLOBAL__N_125multi_tensor_apply_kernelINS1_28TensorListScalarListMetadataIfLi1EEENS1_25BinaryOpScalarListFunctorIfLi1ELi1ELi0EEEJSt5minusIfEEEEvT_T0_DpT1_.num_agpr, 0
	.set _ZN2at6native12_GLOBAL__N_125multi_tensor_apply_kernelINS1_28TensorListScalarListMetadataIfLi1EEENS1_25BinaryOpScalarListFunctorIfLi1ELi1ELi0EEEJSt5minusIfEEEEvT_T0_DpT1_.numbered_sgpr, 24
	.set _ZN2at6native12_GLOBAL__N_125multi_tensor_apply_kernelINS1_28TensorListScalarListMetadataIfLi1EEENS1_25BinaryOpScalarListFunctorIfLi1ELi1ELi0EEEJSt5minusIfEEEEvT_T0_DpT1_.num_named_barrier, 0
	.set _ZN2at6native12_GLOBAL__N_125multi_tensor_apply_kernelINS1_28TensorListScalarListMetadataIfLi1EEENS1_25BinaryOpScalarListFunctorIfLi1ELi1ELi0EEEJSt5minusIfEEEEvT_T0_DpT1_.private_seg_size, 0
	.set _ZN2at6native12_GLOBAL__N_125multi_tensor_apply_kernelINS1_28TensorListScalarListMetadataIfLi1EEENS1_25BinaryOpScalarListFunctorIfLi1ELi1ELi0EEEJSt5minusIfEEEEvT_T0_DpT1_.uses_vcc, 1
	.set _ZN2at6native12_GLOBAL__N_125multi_tensor_apply_kernelINS1_28TensorListScalarListMetadataIfLi1EEENS1_25BinaryOpScalarListFunctorIfLi1ELi1ELi0EEEJSt5minusIfEEEEvT_T0_DpT1_.uses_flat_scratch, 0
	.set _ZN2at6native12_GLOBAL__N_125multi_tensor_apply_kernelINS1_28TensorListScalarListMetadataIfLi1EEENS1_25BinaryOpScalarListFunctorIfLi1ELi1ELi0EEEJSt5minusIfEEEEvT_T0_DpT1_.has_dyn_sized_stack, 0
	.set _ZN2at6native12_GLOBAL__N_125multi_tensor_apply_kernelINS1_28TensorListScalarListMetadataIfLi1EEENS1_25BinaryOpScalarListFunctorIfLi1ELi1ELi0EEEJSt5minusIfEEEEvT_T0_DpT1_.has_recursion, 0
	.set _ZN2at6native12_GLOBAL__N_125multi_tensor_apply_kernelINS1_28TensorListScalarListMetadataIfLi1EEENS1_25BinaryOpScalarListFunctorIfLi1ELi1ELi0EEEJSt5minusIfEEEEvT_T0_DpT1_.has_indirect_call, 0
	.section	.AMDGPU.csdata,"",@progbits
; Kernel info:
; codeLenInByte = 1184
; TotalNumSgprs: 26
; NumVgprs: 16
; ScratchSize: 0
; MemoryBound: 0
; FloatMode: 240
; IeeeMode: 1
; LDSByteSize: 0 bytes/workgroup (compile time only)
; SGPRBlocks: 0
; VGPRBlocks: 1
; NumSGPRsForWavesPerEU: 26
; NumVGPRsForWavesPerEU: 16
; Occupancy: 16
; WaveLimiterHint : 0
; COMPUTE_PGM_RSRC2:SCRATCH_EN: 0
; COMPUTE_PGM_RSRC2:USER_SGPR: 6
; COMPUTE_PGM_RSRC2:TRAP_HANDLER: 0
; COMPUTE_PGM_RSRC2:TGID_X_EN: 1
; COMPUTE_PGM_RSRC2:TGID_Y_EN: 0
; COMPUTE_PGM_RSRC2:TGID_Z_EN: 0
; COMPUTE_PGM_RSRC2:TIDIG_COMP_CNT: 0
	.section	.text._ZN2at6native12_GLOBAL__N_125multi_tensor_apply_kernelINS1_28TensorListScalarListMetadataIN3c107complexIdEELi1EEENS1_25BinaryOpScalarListFunctorIS6_Li1ELi1ELi0EEEJSt5minusIS6_EEEEvT_T0_DpT1_,"axG",@progbits,_ZN2at6native12_GLOBAL__N_125multi_tensor_apply_kernelINS1_28TensorListScalarListMetadataIN3c107complexIdEELi1EEENS1_25BinaryOpScalarListFunctorIS6_Li1ELi1ELi0EEEJSt5minusIS6_EEEEvT_T0_DpT1_,comdat
	.globl	_ZN2at6native12_GLOBAL__N_125multi_tensor_apply_kernelINS1_28TensorListScalarListMetadataIN3c107complexIdEELi1EEENS1_25BinaryOpScalarListFunctorIS6_Li1ELi1ELi0EEEJSt5minusIS6_EEEEvT_T0_DpT1_ ; -- Begin function _ZN2at6native12_GLOBAL__N_125multi_tensor_apply_kernelINS1_28TensorListScalarListMetadataIN3c107complexIdEELi1EEENS1_25BinaryOpScalarListFunctorIS6_Li1ELi1ELi0EEEJSt5minusIS6_EEEEvT_T0_DpT1_
	.p2align	8
	.type	_ZN2at6native12_GLOBAL__N_125multi_tensor_apply_kernelINS1_28TensorListScalarListMetadataIN3c107complexIdEELi1EEENS1_25BinaryOpScalarListFunctorIS6_Li1ELi1ELi0EEEJSt5minusIS6_EEEEvT_T0_DpT1_,@function
_ZN2at6native12_GLOBAL__N_125multi_tensor_apply_kernelINS1_28TensorListScalarListMetadataIN3c107complexIdEELi1EEENS1_25BinaryOpScalarListFunctorIS6_Li1ELi1ELi0EEEJSt5minusIS6_EEEEvT_T0_DpT1_: ; @_ZN2at6native12_GLOBAL__N_125multi_tensor_apply_kernelINS1_28TensorListScalarListMetadataIN3c107complexIdEELi1EEENS1_25BinaryOpScalarListFunctorIS6_Li1ELi1ELi0EEEJSt5minusIS6_EEEEvT_T0_DpT1_
; %bb.0:
	v_mov_b32_e32 v1, 0x800
	s_add_u32 s0, s4, s6
	s_addc_u32 s1, s5, 0
	s_mov_b32 s7, 0
	global_load_ubyte v1, v1, s[0:1] offset:256
	s_lshl_b64 s[0:1], s[6:7], 2
	s_add_u32 s0, s4, s0
	s_addc_u32 s1, s5, s1
	s_load_dword s0, s[0:1], 0xa40
	s_waitcnt vmcnt(0)
	v_readfirstlane_b32 s1, v1
	s_lshl_b32 s6, s1, 3
	s_waitcnt lgkmcnt(0)
	s_ashr_i32 s1, s0, 31
	s_clause 0x1
	s_load_dwordx2 s[12:13], s[4:5], s6 offset:0x0
	s_load_dwordx2 s[2:3], s[4:5], s6 offset:0x240
	s_add_u32 s8, s4, s6
	s_addc_u32 s9, s5, 0
	s_lshl_b64 s[14:15], s[0:1], 20
	s_load_dwordx4 s[8:11], s[8:9], s6 offset:0x480
	s_waitcnt lgkmcnt(0)
	s_add_u32 s22, s12, s14
	s_addc_u32 s23, s13, s15
	s_lshl_b64 s[0:1], s[0:1], 16
	s_and_b32 s6, s22, 63
	s_sub_u32 s16, s2, s0
	s_subb_u32 s17, s3, s1
	s_and_b32 s0, s2, 3
	s_mov_b32 s1, s7
	s_or_b64 s[0:1], s[6:7], s[0:1]
	s_cmp_eq_u64 s[0:1], 0
	s_cbranch_scc1 .LBB103_21
; %bb.1:
	v_cmp_lt_i64_e64 s0, s[16:17], 1
	s_and_b32 vcc_lo, exec_lo, s0
	s_cbranch_vccnz .LBB103_20
; %bb.2:
	s_load_dword s0, s[4:5], 0xf54
	v_cmp_gt_i64_e64 s1, 0x10000, s[16:17]
	v_cmp_gt_u64_e64 s2, 0x10000, s[16:17]
	v_mov_b32_e32 v18, 0
	v_lshlrev_b32_e32 v17, 4, v0
	s_mov_b64 s[20:21], 0
	s_and_b32 s1, s1, exec_lo
	s_cselect_b32 s7, s17, 0
	s_cselect_b32 s6, s16, 0x10000
	s_waitcnt lgkmcnt(0)
	s_and_b32 s0, s0, 0xffff
	s_and_b32 s1, s2, exec_lo
	s_mul_i32 s2, s0, 3
	v_add_co_u32 v20, s3, v0, s0
	v_mad_u64_u32 v[18:19], null, s0, 48, v[17:18]
	s_cselect_b32 s19, s17, 0
	s_cselect_b32 s18, s16, 0x10000
	v_add_co_ci_u32_e64 v21, null, 0, 0, s3
	s_lshl_b32 s3, s0, 5
	v_add_co_u32 v22, s2, s2, v0
	v_add_co_ci_u32_e64 v23, null, 0, 0, s2
	v_add_co_u32 v1, s2, s3, v17
	s_lshl_b32 s1, s0, 1
	v_add_co_ci_u32_e64 v24, null, 0, 0, s2
	v_add_co_u32 v27, s1, s1, v0
	v_lshlrev_b32_e32 v25, 4, v20
	v_or_b32_e32 v18, 8, v18
	v_or_b32_e32 v26, 8, v1
	v_add_co_ci_u32_e64 v28, null, 0, 0, s1
	s_lshl_b32 s24, s0, 2
	s_lshl_b32 s25, s0, 6
	s_branch .LBB103_4
.LBB103_3:                              ;   in Loop: Header=BB103_4 Depth=1
	s_or_b32 exec_lo, exec_lo, s0
	s_add_u32 s20, s20, s24
	s_addc_u32 s21, s21, 0
	s_add_u32 s22, s22, s25
	v_cmp_lt_i64_e64 s0, s[20:21], s[6:7]
	s_addc_u32 s23, s23, 0
	s_and_b32 vcc_lo, exec_lo, s0
	s_cbranch_vccz .LBB103_20
.LBB103_4:                              ; =>This Inner Loop Header: Depth=1
	s_waitcnt vmcnt(0)
	v_add_co_u32 v1, s0, v0, s20
	v_add_co_ci_u32_e64 v2, null, 0, s21, s0
	v_mov_b32_e32 v3, 0
	v_mov_b32_e32 v7, 0
	;; [unrolled: 1-line block ×3, first 2 shown]
	v_cmp_gt_u64_e32 vcc_lo, s[18:19], v[1:2]
	v_mov_b32_e32 v4, 0
	v_mov_b32_e32 v8, 0
	;; [unrolled: 1-line block ×3, first 2 shown]
	s_and_saveexec_b32 s0, vcc_lo
	s_cbranch_execz .LBB103_6
; %bb.5:                                ;   in Loop: Header=BB103_4 Depth=1
	v_add_co_u32 v1, s1, s22, v17
	v_add_co_ci_u32_e64 v2, null, s23, 0, s1
	global_load_dwordx4 v[5:8], v[1:2], off
.LBB103_6:                              ;   in Loop: Header=BB103_4 Depth=1
	s_or_b32 exec_lo, exec_lo, s0
	v_add_co_u32 v1, s0, v20, s20
	v_add_co_ci_u32_e64 v2, null, s21, v21, s0
	v_cmp_gt_u64_e64 s0, s[18:19], v[1:2]
	v_mov_b32_e32 v1, 0
	v_mov_b32_e32 v2, 0
	s_and_saveexec_b32 s1, s0
	s_cbranch_execz .LBB103_8
; %bb.7:                                ;   in Loop: Header=BB103_4 Depth=1
	v_add_co_u32 v1, s2, s22, v25
	v_add_co_ci_u32_e64 v2, null, s23, 0, s2
	global_load_dwordx4 v[1:4], v[1:2], off
.LBB103_8:                              ;   in Loop: Header=BB103_4 Depth=1
	s_or_b32 exec_lo, exec_lo, s1
	v_add_co_u32 v9, s1, v27, s20
	v_add_co_ci_u32_e64 v10, null, s21, v28, s1
	v_mov_b32_e32 v11, 0
	v_mov_b32_e32 v15, 0
	;; [unrolled: 1-line block ×3, first 2 shown]
	v_cmp_gt_u64_e64 s1, s[18:19], v[9:10]
	v_mov_b32_e32 v12, 0
	v_mov_b32_e32 v16, 0
	v_mov_b32_e32 v14, 0
	s_and_saveexec_b32 s3, s1
	s_cbranch_execz .LBB103_10
; %bb.9:                                ;   in Loop: Header=BB103_4 Depth=1
	v_add_co_u32 v9, s2, s22, v26
	v_add_co_ci_u32_e64 v10, null, s23, v24, s2
	global_load_dwordx4 v[13:16], v[9:10], off offset:-8
.LBB103_10:                             ;   in Loop: Header=BB103_4 Depth=1
	s_or_b32 exec_lo, exec_lo, s3
	v_add_co_u32 v9, s2, v22, s20
	v_add_co_ci_u32_e64 v10, null, s21, v23, s2
	v_cmp_gt_u64_e64 s2, s[18:19], v[9:10]
	v_mov_b32_e32 v9, 0
	v_mov_b32_e32 v10, 0
	s_and_saveexec_b32 s26, s2
	s_cbranch_execnz .LBB103_15
; %bb.11:                               ;   in Loop: Header=BB103_4 Depth=1
	s_or_b32 exec_lo, exec_lo, s26
	s_and_saveexec_b32 s3, vcc_lo
	s_cbranch_execnz .LBB103_16
.LBB103_12:                             ;   in Loop: Header=BB103_4 Depth=1
	s_or_b32 exec_lo, exec_lo, s3
	s_and_saveexec_b32 s3, s0
	s_cbranch_execnz .LBB103_17
.LBB103_13:                             ;   in Loop: Header=BB103_4 Depth=1
	s_or_b32 exec_lo, exec_lo, s3
	s_and_saveexec_b32 s0, s1
	s_cbranch_execnz .LBB103_18
.LBB103_14:                             ;   in Loop: Header=BB103_4 Depth=1
	s_or_b32 exec_lo, exec_lo, s0
	s_and_saveexec_b32 s0, s2
	s_cbranch_execz .LBB103_3
	s_branch .LBB103_19
.LBB103_15:                             ;   in Loop: Header=BB103_4 Depth=1
	v_add_co_u32 v9, s3, s22, v18
	v_add_co_ci_u32_e64 v10, null, s23, v19, s3
	global_load_dwordx4 v[9:12], v[9:10], off offset:-8
	s_or_b32 exec_lo, exec_lo, s26
	s_and_saveexec_b32 s3, vcc_lo
	s_cbranch_execz .LBB103_12
.LBB103_16:                             ;   in Loop: Header=BB103_4 Depth=1
	s_waitcnt vmcnt(0)
	v_add_f64 v[7:8], v[7:8], -s[10:11]
	v_add_f64 v[5:6], v[5:6], -s[8:9]
	v_add_co_u32 v29, s26, s22, v17
	v_add_co_ci_u32_e64 v30, null, s23, 0, s26
	global_store_dwordx4 v[29:30], v[5:8], off
	s_or_b32 exec_lo, exec_lo, s3
	s_and_saveexec_b32 s3, s0
	s_cbranch_execz .LBB103_13
.LBB103_17:                             ;   in Loop: Header=BB103_4 Depth=1
	s_waitcnt vmcnt(0)
	v_add_f64 v[1:2], v[1:2], -s[8:9]
	v_add_f64 v[3:4], v[3:4], -s[10:11]
	v_add_co_u32 v5, s0, s22, v25
	v_add_co_ci_u32_e64 v6, null, s23, 0, s0
	global_store_dwordx4 v[5:6], v[1:4], off
	s_or_b32 exec_lo, exec_lo, s3
	s_and_saveexec_b32 s0, s1
	s_cbranch_execz .LBB103_14
.LBB103_18:                             ;   in Loop: Header=BB103_4 Depth=1
	s_waitcnt vmcnt(0)
	v_add_f64 v[1:2], v[13:14], -s[8:9]
	v_add_f64 v[3:4], v[15:16], -s[10:11]
	v_add_co_u32 v5, vcc_lo, s22, v26
	v_add_co_ci_u32_e64 v6, null, s23, v24, vcc_lo
	global_store_dwordx4 v[5:6], v[1:4], off offset:-8
	s_or_b32 exec_lo, exec_lo, s0
	s_and_saveexec_b32 s0, s2
	s_cbranch_execz .LBB103_3
.LBB103_19:                             ;   in Loop: Header=BB103_4 Depth=1
	s_waitcnt vmcnt(0)
	v_add_f64 v[1:2], v[9:10], -s[8:9]
	v_add_f64 v[3:4], v[11:12], -s[10:11]
	v_add_co_u32 v5, vcc_lo, s22, v18
	v_add_co_ci_u32_e64 v6, null, s23, v19, vcc_lo
	global_store_dwordx4 v[5:6], v[1:4], off offset:-8
	s_branch .LBB103_3
.LBB103_20:
	s_cbranch_execz .LBB103_22
	s_branch .LBB103_25
.LBB103_21:
.LBB103_22:
	v_cmp_gt_i64_e64 s0, 0x10000, s[16:17]
	s_waitcnt vmcnt(0)
	v_mov_b32_e32 v2, 0
	v_lshlrev_b32_e32 v1, 2, v0
	s_mov_b32 s1, 0
	s_and_b32 s0, s0, exec_lo
	s_cselect_b32 s3, s17, 0
	s_cselect_b32 s2, s16, 0x10000
	s_mov_b32 s0, exec_lo
	v_cmpx_gt_i64_e64 s[2:3], v[1:2]
	s_cbranch_execz .LBB103_25
; %bb.23:
	s_load_dword s0, s[4:5], 0xf54
	v_mov_b32_e32 v1, v2
	v_lshlrev_b32_e32 v2, 6, v0
	s_waitcnt lgkmcnt(0)
	s_and_b32 s4, s0, 0xffff
	s_add_u32 s0, s12, s14
	s_addc_u32 s5, s13, s15
	v_add_co_u32 v2, s0, s0, v2
	v_add_co_ci_u32_e64 v3, null, s5, 0, s0
	s_lshl_b32 s5, s4, 6
	s_inst_prefetch 0x1
	.p2align	6
.LBB103_24:                             ; =>This Inner Loop Header: Depth=1
	s_clause 0x3
	global_load_dwordx4 v[4:7], v[2:3], off
	global_load_dwordx4 v[8:11], v[2:3], off offset:16
	global_load_dwordx4 v[12:15], v[2:3], off offset:32
	;; [unrolled: 1-line block ×3, first 2 shown]
	v_add_co_u32 v0, vcc_lo, v0, s4
	v_add_co_ci_u32_e64 v1, null, 0, v1, vcc_lo
	v_lshlrev_b64 v[20:21], 2, v[0:1]
	v_cmp_le_i64_e32 vcc_lo, s[2:3], v[20:21]
	s_or_b32 s1, vcc_lo, s1
	s_waitcnt vmcnt(3)
	v_add_f64 v[4:5], v[4:5], -s[8:9]
	v_add_f64 v[6:7], v[6:7], -s[10:11]
	s_waitcnt vmcnt(2)
	v_add_f64 v[8:9], v[8:9], -s[8:9]
	v_add_f64 v[10:11], v[10:11], -s[10:11]
	;; [unrolled: 3-line block ×4, first 2 shown]
	global_store_dwordx4 v[2:3], v[4:7], off
	global_store_dwordx4 v[2:3], v[8:11], off offset:16
	global_store_dwordx4 v[2:3], v[12:15], off offset:32
	;; [unrolled: 1-line block ×3, first 2 shown]
	v_add_co_u32 v2, s0, v2, s5
	v_add_co_ci_u32_e64 v3, null, 0, v3, s0
	s_andn2_b32 exec_lo, exec_lo, s1
	s_cbranch_execnz .LBB103_24
.LBB103_25:
	s_inst_prefetch 0x2
	s_endpgm
	.section	.rodata,"a",@progbits
	.p2align	6, 0x0
	.amdhsa_kernel _ZN2at6native12_GLOBAL__N_125multi_tensor_apply_kernelINS1_28TensorListScalarListMetadataIN3c107complexIdEELi1EEENS1_25BinaryOpScalarListFunctorIS6_Li1ELi1ELi0EEEJSt5minusIS6_EEEEvT_T0_DpT1_
		.amdhsa_group_segment_fixed_size 0
		.amdhsa_private_segment_fixed_size 0
		.amdhsa_kernarg_size 4168
		.amdhsa_user_sgpr_count 6
		.amdhsa_user_sgpr_private_segment_buffer 1
		.amdhsa_user_sgpr_dispatch_ptr 0
		.amdhsa_user_sgpr_queue_ptr 0
		.amdhsa_user_sgpr_kernarg_segment_ptr 1
		.amdhsa_user_sgpr_dispatch_id 0
		.amdhsa_user_sgpr_flat_scratch_init 0
		.amdhsa_user_sgpr_private_segment_size 0
		.amdhsa_wavefront_size32 1
		.amdhsa_uses_dynamic_stack 0
		.amdhsa_system_sgpr_private_segment_wavefront_offset 0
		.amdhsa_system_sgpr_workgroup_id_x 1
		.amdhsa_system_sgpr_workgroup_id_y 0
		.amdhsa_system_sgpr_workgroup_id_z 0
		.amdhsa_system_sgpr_workgroup_info 0
		.amdhsa_system_vgpr_workitem_id 0
		.amdhsa_next_free_vgpr 31
		.amdhsa_next_free_sgpr 27
		.amdhsa_reserve_vcc 1
		.amdhsa_reserve_flat_scratch 0
		.amdhsa_float_round_mode_32 0
		.amdhsa_float_round_mode_16_64 0
		.amdhsa_float_denorm_mode_32 3
		.amdhsa_float_denorm_mode_16_64 3
		.amdhsa_dx10_clamp 1
		.amdhsa_ieee_mode 1
		.amdhsa_fp16_overflow 0
		.amdhsa_workgroup_processor_mode 1
		.amdhsa_memory_ordered 1
		.amdhsa_forward_progress 1
		.amdhsa_shared_vgpr_count 0
		.amdhsa_exception_fp_ieee_invalid_op 0
		.amdhsa_exception_fp_denorm_src 0
		.amdhsa_exception_fp_ieee_div_zero 0
		.amdhsa_exception_fp_ieee_overflow 0
		.amdhsa_exception_fp_ieee_underflow 0
		.amdhsa_exception_fp_ieee_inexact 0
		.amdhsa_exception_int_div_zero 0
	.end_amdhsa_kernel
	.section	.text._ZN2at6native12_GLOBAL__N_125multi_tensor_apply_kernelINS1_28TensorListScalarListMetadataIN3c107complexIdEELi1EEENS1_25BinaryOpScalarListFunctorIS6_Li1ELi1ELi0EEEJSt5minusIS6_EEEEvT_T0_DpT1_,"axG",@progbits,_ZN2at6native12_GLOBAL__N_125multi_tensor_apply_kernelINS1_28TensorListScalarListMetadataIN3c107complexIdEELi1EEENS1_25BinaryOpScalarListFunctorIS6_Li1ELi1ELi0EEEJSt5minusIS6_EEEEvT_T0_DpT1_,comdat
.Lfunc_end103:
	.size	_ZN2at6native12_GLOBAL__N_125multi_tensor_apply_kernelINS1_28TensorListScalarListMetadataIN3c107complexIdEELi1EEENS1_25BinaryOpScalarListFunctorIS6_Li1ELi1ELi0EEEJSt5minusIS6_EEEEvT_T0_DpT1_, .Lfunc_end103-_ZN2at6native12_GLOBAL__N_125multi_tensor_apply_kernelINS1_28TensorListScalarListMetadataIN3c107complexIdEELi1EEENS1_25BinaryOpScalarListFunctorIS6_Li1ELi1ELi0EEEJSt5minusIS6_EEEEvT_T0_DpT1_
                                        ; -- End function
	.set _ZN2at6native12_GLOBAL__N_125multi_tensor_apply_kernelINS1_28TensorListScalarListMetadataIN3c107complexIdEELi1EEENS1_25BinaryOpScalarListFunctorIS6_Li1ELi1ELi0EEEJSt5minusIS6_EEEEvT_T0_DpT1_.num_vgpr, 31
	.set _ZN2at6native12_GLOBAL__N_125multi_tensor_apply_kernelINS1_28TensorListScalarListMetadataIN3c107complexIdEELi1EEENS1_25BinaryOpScalarListFunctorIS6_Li1ELi1ELi0EEEJSt5minusIS6_EEEEvT_T0_DpT1_.num_agpr, 0
	.set _ZN2at6native12_GLOBAL__N_125multi_tensor_apply_kernelINS1_28TensorListScalarListMetadataIN3c107complexIdEELi1EEENS1_25BinaryOpScalarListFunctorIS6_Li1ELi1ELi0EEEJSt5minusIS6_EEEEvT_T0_DpT1_.numbered_sgpr, 27
	.set _ZN2at6native12_GLOBAL__N_125multi_tensor_apply_kernelINS1_28TensorListScalarListMetadataIN3c107complexIdEELi1EEENS1_25BinaryOpScalarListFunctorIS6_Li1ELi1ELi0EEEJSt5minusIS6_EEEEvT_T0_DpT1_.num_named_barrier, 0
	.set _ZN2at6native12_GLOBAL__N_125multi_tensor_apply_kernelINS1_28TensorListScalarListMetadataIN3c107complexIdEELi1EEENS1_25BinaryOpScalarListFunctorIS6_Li1ELi1ELi0EEEJSt5minusIS6_EEEEvT_T0_DpT1_.private_seg_size, 0
	.set _ZN2at6native12_GLOBAL__N_125multi_tensor_apply_kernelINS1_28TensorListScalarListMetadataIN3c107complexIdEELi1EEENS1_25BinaryOpScalarListFunctorIS6_Li1ELi1ELi0EEEJSt5minusIS6_EEEEvT_T0_DpT1_.uses_vcc, 1
	.set _ZN2at6native12_GLOBAL__N_125multi_tensor_apply_kernelINS1_28TensorListScalarListMetadataIN3c107complexIdEELi1EEENS1_25BinaryOpScalarListFunctorIS6_Li1ELi1ELi0EEEJSt5minusIS6_EEEEvT_T0_DpT1_.uses_flat_scratch, 0
	.set _ZN2at6native12_GLOBAL__N_125multi_tensor_apply_kernelINS1_28TensorListScalarListMetadataIN3c107complexIdEELi1EEENS1_25BinaryOpScalarListFunctorIS6_Li1ELi1ELi0EEEJSt5minusIS6_EEEEvT_T0_DpT1_.has_dyn_sized_stack, 0
	.set _ZN2at6native12_GLOBAL__N_125multi_tensor_apply_kernelINS1_28TensorListScalarListMetadataIN3c107complexIdEELi1EEENS1_25BinaryOpScalarListFunctorIS6_Li1ELi1ELi0EEEJSt5minusIS6_EEEEvT_T0_DpT1_.has_recursion, 0
	.set _ZN2at6native12_GLOBAL__N_125multi_tensor_apply_kernelINS1_28TensorListScalarListMetadataIN3c107complexIdEELi1EEENS1_25BinaryOpScalarListFunctorIS6_Li1ELi1ELi0EEEJSt5minusIS6_EEEEvT_T0_DpT1_.has_indirect_call, 0
	.section	.AMDGPU.csdata,"",@progbits
; Kernel info:
; codeLenInByte = 1364
; TotalNumSgprs: 29
; NumVgprs: 31
; ScratchSize: 0
; MemoryBound: 1
; FloatMode: 240
; IeeeMode: 1
; LDSByteSize: 0 bytes/workgroup (compile time only)
; SGPRBlocks: 0
; VGPRBlocks: 3
; NumSGPRsForWavesPerEU: 29
; NumVGPRsForWavesPerEU: 31
; Occupancy: 16
; WaveLimiterHint : 0
; COMPUTE_PGM_RSRC2:SCRATCH_EN: 0
; COMPUTE_PGM_RSRC2:USER_SGPR: 6
; COMPUTE_PGM_RSRC2:TRAP_HANDLER: 0
; COMPUTE_PGM_RSRC2:TGID_X_EN: 1
; COMPUTE_PGM_RSRC2:TGID_Y_EN: 0
; COMPUTE_PGM_RSRC2:TGID_Z_EN: 0
; COMPUTE_PGM_RSRC2:TIDIG_COMP_CNT: 0
	.section	.text._ZN2at6native12_GLOBAL__N_125multi_tensor_apply_kernelINS1_28TensorListScalarListMetadataIN3c107complexIfEELi1EEENS1_25BinaryOpScalarListFunctorIS6_Li1ELi1ELi0EEEJSt5minusIS6_EEEEvT_T0_DpT1_,"axG",@progbits,_ZN2at6native12_GLOBAL__N_125multi_tensor_apply_kernelINS1_28TensorListScalarListMetadataIN3c107complexIfEELi1EEENS1_25BinaryOpScalarListFunctorIS6_Li1ELi1ELi0EEEJSt5minusIS6_EEEEvT_T0_DpT1_,comdat
	.globl	_ZN2at6native12_GLOBAL__N_125multi_tensor_apply_kernelINS1_28TensorListScalarListMetadataIN3c107complexIfEELi1EEENS1_25BinaryOpScalarListFunctorIS6_Li1ELi1ELi0EEEJSt5minusIS6_EEEEvT_T0_DpT1_ ; -- Begin function _ZN2at6native12_GLOBAL__N_125multi_tensor_apply_kernelINS1_28TensorListScalarListMetadataIN3c107complexIfEELi1EEENS1_25BinaryOpScalarListFunctorIS6_Li1ELi1ELi0EEEJSt5minusIS6_EEEEvT_T0_DpT1_
	.p2align	8
	.type	_ZN2at6native12_GLOBAL__N_125multi_tensor_apply_kernelINS1_28TensorListScalarListMetadataIN3c107complexIfEELi1EEENS1_25BinaryOpScalarListFunctorIS6_Li1ELi1ELi0EEEJSt5minusIS6_EEEEvT_T0_DpT1_,@function
_ZN2at6native12_GLOBAL__N_125multi_tensor_apply_kernelINS1_28TensorListScalarListMetadataIN3c107complexIfEELi1EEENS1_25BinaryOpScalarListFunctorIS6_Li1ELi1ELi0EEEJSt5minusIS6_EEEEvT_T0_DpT1_: ; @_ZN2at6native12_GLOBAL__N_125multi_tensor_apply_kernelINS1_28TensorListScalarListMetadataIN3c107complexIfEELi1EEENS1_25BinaryOpScalarListFunctorIS6_Li1ELi1ELi0EEEJSt5minusIS6_EEEEvT_T0_DpT1_
; %bb.0:
	s_add_u32 s6, s6, s9
	s_addc_u32 s7, s7, 0
	s_setreg_b32 hwreg(HW_REG_FLAT_SCR_LO), s6
	s_setreg_b32 hwreg(HW_REG_FLAT_SCR_HI), s7
	s_add_u32 s0, s0, s9
	v_mov_b32_e32 v1, 0x800
	s_addc_u32 s1, s1, 0
	s_add_u32 s6, s4, s8
	s_addc_u32 s7, s5, 0
	s_mov_b32 s9, 0
	global_load_ubyte v1, v1, s[6:7] offset:256
	s_lshl_b64 s[6:7], s[8:9], 2
	s_add_u32 s6, s4, s6
	s_addc_u32 s7, s5, s7
	s_load_dword s6, s[6:7], 0xa40
	s_waitcnt vmcnt(0)
	v_readfirstlane_b32 s8, v1
	s_lshl_b32 s7, s8, 3
	s_clause 0x2
	s_load_dwordx2 s[10:11], s[4:5], s7 offset:0x600
	s_load_dwordx2 s[12:13], s[4:5], s7 offset:0x0
	;; [unrolled: 1-line block ×3, first 2 shown]
	s_waitcnt lgkmcnt(0)
	s_ashr_i32 s7, s6, 31
	s_lshl_b64 s[14:15], s[6:7], 19
	s_add_u32 s24, s12, s14
	s_addc_u32 s25, s13, s15
	s_lshl_b64 s[6:7], s[6:7], 16
	s_and_b32 s8, s24, 31
	s_sub_u32 s16, s18, s6
	s_subb_u32 s17, s19, s7
	s_and_b32 s6, s18, 3
	s_mov_b32 s7, s9
	s_or_b64 s[6:7], s[8:9], s[6:7]
	s_cmp_eq_u64 s[6:7], 0
	s_cbranch_scc1 .LBB104_19
; %bb.1:
	v_cmp_lt_i64_e64 s6, s[16:17], 1
	s_and_b32 vcc_lo, exec_lo, s6
	s_cbranch_vccnz .LBB104_18
; %bb.2:
	s_load_dword s6, s[4:5], 0xf54
	v_cmp_gt_i64_e64 s7, 0x10000, s[16:17]
	s_mov_b64 s[8:9], src_private_base
	v_cmp_gt_u64_e64 s8, 0x10000, s[16:17]
	v_mov_b32_e32 v15, 0
	s_mov_b64 s[22:23], 0
	s_and_b32 s7, s7, exec_lo
	s_cselect_b32 s19, s17, 0
	s_cselect_b32 s18, s16, 0x10000
	s_waitcnt lgkmcnt(0)
	s_and_b32 s26, s6, 0xffff
	s_and_b32 s6, s8, exec_lo
	s_cselect_b32 s21, s17, 0
	s_cselect_b32 s20, s16, 0x10000
	s_lshl_b32 s27, s26, 1
	s_mul_i32 s28, s26, 3
	s_lshl_b32 s29, s26, 2
	s_branch .LBB104_4
.LBB104_3:                              ;   in Loop: Header=BB104_4 Depth=1
	s_or_b32 exec_lo, exec_lo, s6
	s_add_u32 s22, s22, s29
	s_addc_u32 s23, s23, 0
	v_cmp_lt_i64_e64 s6, s[22:23], s[18:19]
	s_and_b32 vcc_lo, exec_lo, s6
	s_cbranch_vccz .LBB104_18
.LBB104_4:                              ; =>This Inner Loop Header: Depth=1
	v_add_co_u32 v11, s6, s22, v0
	v_add_co_ci_u32_e64 v12, null, s23, 0, s6
	v_mov_b32_e32 v4, 0
	v_mov_b32_e32 v3, 0
	v_cmp_gt_u64_e32 vcc_lo, s[20:21], v[11:12]
	v_lshlrev_b64 v[1:2], 3, v[11:12]
	s_and_saveexec_b32 s7, vcc_lo
	s_cbranch_execz .LBB104_6
; %bb.5:                                ;   in Loop: Header=BB104_4 Depth=1
	v_add_co_u32 v3, s6, s24, v1
	v_add_co_ci_u32_e64 v4, null, s25, v2, s6
	global_load_dwordx2 v[3:4], v[3:4], off
.LBB104_6:                              ;   in Loop: Header=BB104_4 Depth=1
	s_or_b32 exec_lo, exec_lo, s7
	v_add_co_u32 v5, s6, v11, s26
	v_add_co_ci_u32_e64 v6, null, 0, v12, s6
	v_mov_b32_e32 v8, 0
	v_mov_b32_e32 v7, 0
	v_cmp_gt_u64_e64 s6, s[20:21], v[5:6]
	v_lshlrev_b64 v[5:6], 3, v[5:6]
	s_and_saveexec_b32 s8, s6
	s_cbranch_execz .LBB104_8
; %bb.7:                                ;   in Loop: Header=BB104_4 Depth=1
	v_add_co_u32 v7, s7, s24, v5
	v_add_co_ci_u32_e64 v8, null, s25, v6, s7
	global_load_dwordx2 v[7:8], v[7:8], off
.LBB104_8:                              ;   in Loop: Header=BB104_4 Depth=1
	s_or_b32 exec_lo, exec_lo, s8
	v_add_co_u32 v9, s7, v11, s27
	v_add_co_ci_u32_e64 v10, null, 0, v12, s7
	v_mov_b32_e32 v13, 0
	v_mov_b32_e32 v14, 0
	v_cmp_gt_u64_e64 s7, s[20:21], v[9:10]
	v_lshlrev_b64 v[9:10], 3, v[9:10]
	s_and_saveexec_b32 s30, s7
	s_cbranch_execz .LBB104_10
; %bb.9:                                ;   in Loop: Header=BB104_4 Depth=1
	v_add_co_u32 v13, s8, s24, v9
	v_add_co_ci_u32_e64 v14, null, s25, v10, s8
	global_load_dwordx2 v[13:14], v[13:14], off
.LBB104_10:                             ;   in Loop: Header=BB104_4 Depth=1
	s_or_b32 exec_lo, exec_lo, s30
	v_add_co_u32 v16, s8, v11, s28
	v_add_co_ci_u32_e64 v17, null, 0, v12, s8
	buffer_store_dword v15, off, s[0:3], 0
	buffer_store_dword v15, off, s[0:3], 0 offset:4
	v_lshlrev_b64 v[11:12], 3, v[16:17]
	v_add_co_u32 v11, s8, s24, v11
	v_add_co_ci_u32_e64 v12, null, s25, v12, s8
	v_cmp_gt_u64_e64 s8, s[20:21], v[16:17]
	v_cndmask_b32_e64 v17, s9, v12, s8
	v_cndmask_b32_e64 v16, 0, v11, s8
	flat_load_dwordx2 v[16:17], v[16:17]
	s_waitcnt vmcnt(0) lgkmcnt(0)
	v_subrev_f32_e32 v16, s10, v16
	v_subrev_f32_e32 v17, s11, v17
	buffer_store_dword v16, off, s[0:3], 0
	buffer_store_dword v17, off, s[0:3], 0 offset:4
	s_and_saveexec_b32 s30, vcc_lo
	s_cbranch_execnz .LBB104_14
; %bb.11:                               ;   in Loop: Header=BB104_4 Depth=1
	s_or_b32 exec_lo, exec_lo, s30
	s_and_saveexec_b32 s30, s6
	s_cbranch_execnz .LBB104_15
.LBB104_12:                             ;   in Loop: Header=BB104_4 Depth=1
	s_or_b32 exec_lo, exec_lo, s30
	s_and_saveexec_b32 s6, s7
	s_cbranch_execnz .LBB104_16
.LBB104_13:                             ;   in Loop: Header=BB104_4 Depth=1
	s_or_b32 exec_lo, exec_lo, s6
	s_and_saveexec_b32 s6, s8
	s_cbranch_execz .LBB104_3
	s_branch .LBB104_17
.LBB104_14:                             ;   in Loop: Header=BB104_4 Depth=1
	v_add_co_u32 v1, vcc_lo, s24, v1
	v_add_co_ci_u32_e64 v2, null, s25, v2, vcc_lo
	v_subrev_f32_e32 v3, s10, v3
	v_subrev_f32_e32 v4, s11, v4
	global_store_dwordx2 v[1:2], v[3:4], off
	s_or_b32 exec_lo, exec_lo, s30
	s_and_saveexec_b32 s30, s6
	s_cbranch_execz .LBB104_12
.LBB104_15:                             ;   in Loop: Header=BB104_4 Depth=1
	v_add_co_u32 v3, vcc_lo, s24, v5
	v_subrev_f32_e32 v1, s10, v7
	v_subrev_f32_e32 v2, s11, v8
	v_add_co_ci_u32_e64 v4, null, s25, v6, vcc_lo
	global_store_dwordx2 v[3:4], v[1:2], off
	s_or_b32 exec_lo, exec_lo, s30
	s_and_saveexec_b32 s6, s7
	s_cbranch_execz .LBB104_13
.LBB104_16:                             ;   in Loop: Header=BB104_4 Depth=1
	v_add_co_u32 v3, vcc_lo, s24, v9
	v_subrev_f32_e32 v1, s10, v13
	v_subrev_f32_e32 v2, s11, v14
	v_add_co_ci_u32_e64 v4, null, s25, v10, vcc_lo
	global_store_dwordx2 v[3:4], v[1:2], off
	s_or_b32 exec_lo, exec_lo, s6
	s_and_saveexec_b32 s6, s8
	s_cbranch_execz .LBB104_3
.LBB104_17:                             ;   in Loop: Header=BB104_4 Depth=1
	s_clause 0x1
	buffer_load_dword v1, off, s[0:3], 0
	buffer_load_dword v2, off, s[0:3], 0 offset:4
	s_waitcnt vmcnt(0)
	global_store_dwordx2 v[11:12], v[1:2], off
	s_branch .LBB104_3
.LBB104_18:
	s_cbranch_execz .LBB104_20
	s_branch .LBB104_23
.LBB104_19:
.LBB104_20:
	v_cmp_gt_i64_e64 s6, 0x10000, s[16:17]
	v_mov_b32_e32 v2, 0
	v_lshlrev_b32_e32 v1, 2, v0
	s_mov_b32 s8, 0
	s_mov_b32 s9, exec_lo
	s_and_b32 s6, s6, exec_lo
	s_cselect_b32 s7, s17, 0
	s_cselect_b32 s6, s16, 0x10000
	v_cmpx_gt_i64_e64 s[6:7], v[1:2]
	s_cbranch_execz .LBB104_23
; %bb.21:
	s_load_dword s4, s[4:5], 0xf54
	v_mov_b32_e32 v1, v2
	v_lshlrev_b32_e32 v2, 5, v0
	s_waitcnt lgkmcnt(0)
	s_and_b32 s5, s4, 0xffff
	s_add_u32 s4, s12, s14
	s_addc_u32 s9, s13, s15
	v_add_co_u32 v2, s4, s4, v2
	v_add_co_ci_u32_e64 v3, null, s9, 0, s4
	s_lshl_b32 s9, s5, 5
	s_inst_prefetch 0x1
	.p2align	6
.LBB104_22:                             ; =>This Inner Loop Header: Depth=1
	s_clause 0x1
	global_load_dwordx4 v[4:7], v[2:3], off
	global_load_dwordx4 v[8:11], v[2:3], off offset:16
	v_add_co_u32 v0, vcc_lo, v0, s5
	v_add_co_ci_u32_e64 v1, null, 0, v1, vcc_lo
	v_lshlrev_b64 v[12:13], 2, v[0:1]
	v_cmp_le_i64_e32 vcc_lo, s[6:7], v[12:13]
	s_or_b32 s8, vcc_lo, s8
	s_waitcnt vmcnt(1)
	v_subrev_f32_e32 v4, s10, v4
	v_subrev_f32_e32 v5, s11, v5
	;; [unrolled: 1-line block ×4, first 2 shown]
	s_waitcnt vmcnt(0)
	v_subrev_f32_e32 v8, s10, v8
	v_subrev_f32_e32 v9, s11, v9
	;; [unrolled: 1-line block ×4, first 2 shown]
	global_store_dwordx4 v[2:3], v[4:7], off
	global_store_dwordx4 v[2:3], v[8:11], off offset:16
	v_add_co_u32 v2, s4, v2, s9
	v_add_co_ci_u32_e64 v3, null, 0, v3, s4
	buffer_store_dword v10, off, s[0:3], 0
	buffer_store_dword v11, off, s[0:3], 0 offset:4
	s_andn2_b32 exec_lo, exec_lo, s8
	s_cbranch_execnz .LBB104_22
.LBB104_23:
	s_inst_prefetch 0x2
	s_endpgm
	.section	.rodata,"a",@progbits
	.p2align	6, 0x0
	.amdhsa_kernel _ZN2at6native12_GLOBAL__N_125multi_tensor_apply_kernelINS1_28TensorListScalarListMetadataIN3c107complexIfEELi1EEENS1_25BinaryOpScalarListFunctorIS6_Li1ELi1ELi0EEEJSt5minusIS6_EEEEvT_T0_DpT1_
		.amdhsa_group_segment_fixed_size 0
		.amdhsa_private_segment_fixed_size 16
		.amdhsa_kernarg_size 4168
		.amdhsa_user_sgpr_count 8
		.amdhsa_user_sgpr_private_segment_buffer 1
		.amdhsa_user_sgpr_dispatch_ptr 0
		.amdhsa_user_sgpr_queue_ptr 0
		.amdhsa_user_sgpr_kernarg_segment_ptr 1
		.amdhsa_user_sgpr_dispatch_id 0
		.amdhsa_user_sgpr_flat_scratch_init 1
		.amdhsa_user_sgpr_private_segment_size 0
		.amdhsa_wavefront_size32 1
		.amdhsa_uses_dynamic_stack 0
		.amdhsa_system_sgpr_private_segment_wavefront_offset 1
		.amdhsa_system_sgpr_workgroup_id_x 1
		.amdhsa_system_sgpr_workgroup_id_y 0
		.amdhsa_system_sgpr_workgroup_id_z 0
		.amdhsa_system_sgpr_workgroup_info 0
		.amdhsa_system_vgpr_workitem_id 0
		.amdhsa_next_free_vgpr 18
		.amdhsa_next_free_sgpr 31
		.amdhsa_reserve_vcc 1
		.amdhsa_reserve_flat_scratch 1
		.amdhsa_float_round_mode_32 0
		.amdhsa_float_round_mode_16_64 0
		.amdhsa_float_denorm_mode_32 3
		.amdhsa_float_denorm_mode_16_64 3
		.amdhsa_dx10_clamp 1
		.amdhsa_ieee_mode 1
		.amdhsa_fp16_overflow 0
		.amdhsa_workgroup_processor_mode 1
		.amdhsa_memory_ordered 1
		.amdhsa_forward_progress 1
		.amdhsa_shared_vgpr_count 0
		.amdhsa_exception_fp_ieee_invalid_op 0
		.amdhsa_exception_fp_denorm_src 0
		.amdhsa_exception_fp_ieee_div_zero 0
		.amdhsa_exception_fp_ieee_overflow 0
		.amdhsa_exception_fp_ieee_underflow 0
		.amdhsa_exception_fp_ieee_inexact 0
		.amdhsa_exception_int_div_zero 0
	.end_amdhsa_kernel
	.section	.text._ZN2at6native12_GLOBAL__N_125multi_tensor_apply_kernelINS1_28TensorListScalarListMetadataIN3c107complexIfEELi1EEENS1_25BinaryOpScalarListFunctorIS6_Li1ELi1ELi0EEEJSt5minusIS6_EEEEvT_T0_DpT1_,"axG",@progbits,_ZN2at6native12_GLOBAL__N_125multi_tensor_apply_kernelINS1_28TensorListScalarListMetadataIN3c107complexIfEELi1EEENS1_25BinaryOpScalarListFunctorIS6_Li1ELi1ELi0EEEJSt5minusIS6_EEEEvT_T0_DpT1_,comdat
.Lfunc_end104:
	.size	_ZN2at6native12_GLOBAL__N_125multi_tensor_apply_kernelINS1_28TensorListScalarListMetadataIN3c107complexIfEELi1EEENS1_25BinaryOpScalarListFunctorIS6_Li1ELi1ELi0EEEJSt5minusIS6_EEEEvT_T0_DpT1_, .Lfunc_end104-_ZN2at6native12_GLOBAL__N_125multi_tensor_apply_kernelINS1_28TensorListScalarListMetadataIN3c107complexIfEELi1EEENS1_25BinaryOpScalarListFunctorIS6_Li1ELi1ELi0EEEJSt5minusIS6_EEEEvT_T0_DpT1_
                                        ; -- End function
	.set _ZN2at6native12_GLOBAL__N_125multi_tensor_apply_kernelINS1_28TensorListScalarListMetadataIN3c107complexIfEELi1EEENS1_25BinaryOpScalarListFunctorIS6_Li1ELi1ELi0EEEJSt5minusIS6_EEEEvT_T0_DpT1_.num_vgpr, 18
	.set _ZN2at6native12_GLOBAL__N_125multi_tensor_apply_kernelINS1_28TensorListScalarListMetadataIN3c107complexIfEELi1EEENS1_25BinaryOpScalarListFunctorIS6_Li1ELi1ELi0EEEJSt5minusIS6_EEEEvT_T0_DpT1_.num_agpr, 0
	.set _ZN2at6native12_GLOBAL__N_125multi_tensor_apply_kernelINS1_28TensorListScalarListMetadataIN3c107complexIfEELi1EEENS1_25BinaryOpScalarListFunctorIS6_Li1ELi1ELi0EEEJSt5minusIS6_EEEEvT_T0_DpT1_.numbered_sgpr, 31
	.set _ZN2at6native12_GLOBAL__N_125multi_tensor_apply_kernelINS1_28TensorListScalarListMetadataIN3c107complexIfEELi1EEENS1_25BinaryOpScalarListFunctorIS6_Li1ELi1ELi0EEEJSt5minusIS6_EEEEvT_T0_DpT1_.num_named_barrier, 0
	.set _ZN2at6native12_GLOBAL__N_125multi_tensor_apply_kernelINS1_28TensorListScalarListMetadataIN3c107complexIfEELi1EEENS1_25BinaryOpScalarListFunctorIS6_Li1ELi1ELi0EEEJSt5minusIS6_EEEEvT_T0_DpT1_.private_seg_size, 16
	.set _ZN2at6native12_GLOBAL__N_125multi_tensor_apply_kernelINS1_28TensorListScalarListMetadataIN3c107complexIfEELi1EEENS1_25BinaryOpScalarListFunctorIS6_Li1ELi1ELi0EEEJSt5minusIS6_EEEEvT_T0_DpT1_.uses_vcc, 1
	.set _ZN2at6native12_GLOBAL__N_125multi_tensor_apply_kernelINS1_28TensorListScalarListMetadataIN3c107complexIfEELi1EEENS1_25BinaryOpScalarListFunctorIS6_Li1ELi1ELi0EEEJSt5minusIS6_EEEEvT_T0_DpT1_.uses_flat_scratch, 1
	.set _ZN2at6native12_GLOBAL__N_125multi_tensor_apply_kernelINS1_28TensorListScalarListMetadataIN3c107complexIfEELi1EEENS1_25BinaryOpScalarListFunctorIS6_Li1ELi1ELi0EEEJSt5minusIS6_EEEEvT_T0_DpT1_.has_dyn_sized_stack, 0
	.set _ZN2at6native12_GLOBAL__N_125multi_tensor_apply_kernelINS1_28TensorListScalarListMetadataIN3c107complexIfEELi1EEENS1_25BinaryOpScalarListFunctorIS6_Li1ELi1ELi0EEEJSt5minusIS6_EEEEvT_T0_DpT1_.has_recursion, 0
	.set _ZN2at6native12_GLOBAL__N_125multi_tensor_apply_kernelINS1_28TensorListScalarListMetadataIN3c107complexIfEELi1EEENS1_25BinaryOpScalarListFunctorIS6_Li1ELi1ELi0EEEJSt5minusIS6_EEEEvT_T0_DpT1_.has_indirect_call, 0
	.section	.AMDGPU.csdata,"",@progbits
; Kernel info:
; codeLenInByte = 1180
; TotalNumSgprs: 33
; NumVgprs: 18
; ScratchSize: 16
; MemoryBound: 0
; FloatMode: 240
; IeeeMode: 1
; LDSByteSize: 0 bytes/workgroup (compile time only)
; SGPRBlocks: 0
; VGPRBlocks: 2
; NumSGPRsForWavesPerEU: 33
; NumVGPRsForWavesPerEU: 18
; Occupancy: 16
; WaveLimiterHint : 1
; COMPUTE_PGM_RSRC2:SCRATCH_EN: 1
; COMPUTE_PGM_RSRC2:USER_SGPR: 8
; COMPUTE_PGM_RSRC2:TRAP_HANDLER: 0
; COMPUTE_PGM_RSRC2:TGID_X_EN: 1
; COMPUTE_PGM_RSRC2:TGID_Y_EN: 0
; COMPUTE_PGM_RSRC2:TGID_Z_EN: 0
; COMPUTE_PGM_RSRC2:TIDIG_COMP_CNT: 0
	.section	.text._ZN2at6native12_GLOBAL__N_125multi_tensor_apply_kernelINS1_28TensorListScalarListMetadataIbLi1EEENS1_25BinaryOpScalarListFunctorIbLi1ELi1ELi0EEEJSt5minusIbEEEEvT_T0_DpT1_,"axG",@progbits,_ZN2at6native12_GLOBAL__N_125multi_tensor_apply_kernelINS1_28TensorListScalarListMetadataIbLi1EEENS1_25BinaryOpScalarListFunctorIbLi1ELi1ELi0EEEJSt5minusIbEEEEvT_T0_DpT1_,comdat
	.globl	_ZN2at6native12_GLOBAL__N_125multi_tensor_apply_kernelINS1_28TensorListScalarListMetadataIbLi1EEENS1_25BinaryOpScalarListFunctorIbLi1ELi1ELi0EEEJSt5minusIbEEEEvT_T0_DpT1_ ; -- Begin function _ZN2at6native12_GLOBAL__N_125multi_tensor_apply_kernelINS1_28TensorListScalarListMetadataIbLi1EEENS1_25BinaryOpScalarListFunctorIbLi1ELi1ELi0EEEJSt5minusIbEEEEvT_T0_DpT1_
	.p2align	8
	.type	_ZN2at6native12_GLOBAL__N_125multi_tensor_apply_kernelINS1_28TensorListScalarListMetadataIbLi1EEENS1_25BinaryOpScalarListFunctorIbLi1ELi1ELi0EEEJSt5minusIbEEEEvT_T0_DpT1_,@function
_ZN2at6native12_GLOBAL__N_125multi_tensor_apply_kernelINS1_28TensorListScalarListMetadataIbLi1EEENS1_25BinaryOpScalarListFunctorIbLi1ELi1ELi0EEEJSt5minusIbEEEEvT_T0_DpT1_: ; @_ZN2at6native12_GLOBAL__N_125multi_tensor_apply_kernelINS1_28TensorListScalarListMetadataIbLi1EEENS1_25BinaryOpScalarListFunctorIbLi1ELi1ELi0EEEJSt5minusIbEEEEvT_T0_DpT1_
; %bb.0:
	v_mov_b32_e32 v1, s6
	s_mul_i32 s1, s6, 3
	s_mul_hi_u32 s2, s6, 3
	global_load_ubyte v3, v1, s[4:5] offset:1632
	s_waitcnt vmcnt(0)
	v_add_co_u32 v1, s0, s4, v3
	v_add_co_ci_u32_e64 v2, null, s5, 0, s0
	s_add_u32 s0, s4, s6
	s_addc_u32 s3, s5, 0
	s_add_u32 s0, s0, s1
	global_load_ubyte v1, v[1:2], off offset:1536
	v_readfirstlane_b32 s6, v3
	s_addc_u32 s1, s3, s2
	s_load_dword s0, s[0:1], 0x7a0
	s_lshl_b32 s1, s6, 3
	s_clause 0x1
	s_load_dwordx2 s[2:3], s[4:5], s1 offset:0x300
	s_load_dwordx2 s[6:7], s[4:5], s1 offset:0x0
	s_waitcnt lgkmcnt(0)
	s_ashr_i32 s1, s0, 31
	s_lshl_b64 s[8:9], s[0:1], 16
	s_sub_u32 s10, s2, s8
	s_subb_u32 s11, s3, s9
	s_or_b32 s0, s2, s6
	s_and_b32 s0, s0, 3
	s_cmp_eq_u32 s0, 0
	s_waitcnt vmcnt(0)
	v_readfirstlane_b32 s18, v1
	s_cbranch_scc1 .LBB105_21
; %bb.1:
	v_cmp_lt_i64_e64 s0, s[10:11], 1
	s_and_b32 vcc_lo, exec_lo, s0
	s_cbranch_vccnz .LBB105_20
; %bb.2:
	s_load_dword s0, s[4:5], 0xcb4
	v_cmp_gt_i64_e64 s1, 0x10000, s[10:11]
	v_cmp_gt_u64_e64 s2, 0x10000, s[10:11]
	v_add_co_u32 v11, s3, s8, v0
	v_add_co_ci_u32_e64 v12, null, s9, 0, s3
	s_and_b32 s1, s1, exec_lo
	s_cselect_b32 s13, s11, 0
	s_cselect_b32 s12, s10, 0x10000
	s_bitcmp1_b32 s18, 0
	v_add_co_u32 v1, vcc_lo, s6, v11
	s_cselect_b32 s19, -1, 0
	v_add_co_ci_u32_e64 v2, null, s7, v12, vcc_lo
	s_waitcnt lgkmcnt(0)
	s_and_b32 s0, s0, 0xffff
	s_and_b32 s1, s2, exec_lo
	s_mul_i32 s2, s0, 3
	s_cselect_b32 s15, s11, 0
	s_cselect_b32 s14, s10, 0x10000
	s_lshl_b32 s1, s0, 1
	s_lshl_b32 s20, s0, 2
	s_add_u32 s3, s8, s2
	s_addc_u32 s16, s9, 0
	s_add_u32 s3, s6, s3
	v_add_co_u32 v5, s2, s2, v0
	s_addc_u32 s16, s7, s16
	v_add_co_u32 v3, s3, s3, v0
	v_add_co_ci_u32_e64 v6, null, 0, 0, s2
	s_add_u32 s2, s8, s1
	v_add_co_ci_u32_e64 v4, null, s16, 0, s3
	s_addc_u32 s3, s9, 0
	s_add_u32 s2, s6, s2
	v_add_co_u32 v9, s1, s1, v0
	s_addc_u32 s3, s7, s3
	v_add_co_u32 v7, s2, s2, v0
	v_add_co_ci_u32_e64 v10, null, 0, 0, s1
	s_add_u32 s1, s6, s0
	v_add_co_ci_u32_e64 v8, null, s3, 0, s2
	s_addc_u32 s2, s7, 0
	v_add_co_u32 v11, vcc_lo, s1, v11
	v_add_co_u32 v13, s0, v0, s0
	v_add_co_ci_u32_e64 v12, null, s2, v12, vcc_lo
	v_add_co_ci_u32_e64 v14, null, 0, 0, s0
	s_mov_b64 s[16:17], 0
	s_and_b32 s21, s18, 0xff
	s_branch .LBB105_4
.LBB105_3:                              ;   in Loop: Header=BB105_4 Depth=1
	s_or_b32 exec_lo, exec_lo, s0
	s_add_u32 s16, s16, s20
	s_addc_u32 s17, s17, 0
	v_cmp_lt_i64_e64 s0, s[16:17], s[12:13]
	s_and_b32 vcc_lo, exec_lo, s0
	s_cbranch_vccz .LBB105_20
.LBB105_4:                              ; =>This Inner Loop Header: Depth=1
	v_add_co_u32 v15, s0, v0, s16
	v_add_co_ci_u32_e64 v16, null, 0, s17, s0
	s_mov_b32 s22, s19
	v_cmp_gt_u64_e32 vcc_lo, s[14:15], v[15:16]
	s_and_saveexec_b32 s1, vcc_lo
	s_cbranch_execz .LBB105_6
; %bb.5:                                ;   in Loop: Header=BB105_4 Depth=1
	v_add_co_u32 v15, s0, v1, s16
	v_add_co_ci_u32_e64 v16, null, s17, v2, s0
	s_andn2_b32 s2, s19, exec_lo
	global_load_ubyte v15, v[15:16], off
	s_waitcnt vmcnt(0)
	v_cmp_ne_u16_e64 s0, s21, v15
	s_and_b32 s0, s0, exec_lo
	s_or_b32 s22, s2, s0
.LBB105_6:                              ;   in Loop: Header=BB105_4 Depth=1
	s_or_b32 exec_lo, exec_lo, s1
	v_add_co_u32 v15, s0, v13, s16
	v_add_co_ci_u32_e64 v16, null, s17, v14, s0
	s_mov_b32 s23, s19
	v_cmp_gt_u64_e64 s0, s[14:15], v[15:16]
	s_and_saveexec_b32 s2, s0
	s_cbranch_execz .LBB105_8
; %bb.7:                                ;   in Loop: Header=BB105_4 Depth=1
	v_add_co_u32 v15, s1, v11, s16
	v_add_co_ci_u32_e64 v16, null, s17, v12, s1
	s_andn2_b32 s3, s19, exec_lo
	global_load_ubyte v15, v[15:16], off
	s_waitcnt vmcnt(0)
	v_cmp_ne_u16_e64 s1, s21, v15
	s_and_b32 s1, s1, exec_lo
	s_or_b32 s23, s3, s1
.LBB105_8:                              ;   in Loop: Header=BB105_4 Depth=1
	s_or_b32 exec_lo, exec_lo, s2
	v_add_co_u32 v15, s1, v9, s16
	v_add_co_ci_u32_e64 v16, null, s17, v10, s1
	s_mov_b32 s24, s19
	v_cmp_gt_u64_e64 s1, s[14:15], v[15:16]
	s_and_saveexec_b32 s3, s1
	s_cbranch_execz .LBB105_10
; %bb.9:                                ;   in Loop: Header=BB105_4 Depth=1
	v_add_co_u32 v15, s2, v7, s16
	v_add_co_ci_u32_e64 v16, null, s17, v8, s2
	s_andn2_b32 s24, s19, exec_lo
	global_load_ubyte v15, v[15:16], off
	s_waitcnt vmcnt(0)
	v_cmp_ne_u16_e64 s2, s21, v15
	s_and_b32 s2, s2, exec_lo
	s_or_b32 s24, s24, s2
.LBB105_10:                             ;   in Loop: Header=BB105_4 Depth=1
	s_or_b32 exec_lo, exec_lo, s3
	v_add_co_u32 v15, s2, v5, s16
	v_add_co_ci_u32_e64 v16, null, s17, v6, s2
	s_mov_b32 s3, s19
	v_cmp_gt_u64_e64 s2, s[14:15], v[15:16]
	s_and_saveexec_b32 s25, s2
	s_cbranch_execnz .LBB105_15
; %bb.11:                               ;   in Loop: Header=BB105_4 Depth=1
	s_or_b32 exec_lo, exec_lo, s25
	s_and_saveexec_b32 s25, vcc_lo
	s_cbranch_execnz .LBB105_16
.LBB105_12:                             ;   in Loop: Header=BB105_4 Depth=1
	s_or_b32 exec_lo, exec_lo, s25
	s_and_saveexec_b32 s22, s0
	s_cbranch_execnz .LBB105_17
.LBB105_13:                             ;   in Loop: Header=BB105_4 Depth=1
	s_or_b32 exec_lo, exec_lo, s22
	s_and_saveexec_b32 s0, s1
	s_cbranch_execnz .LBB105_18
.LBB105_14:                             ;   in Loop: Header=BB105_4 Depth=1
	s_or_b32 exec_lo, exec_lo, s0
	s_and_saveexec_b32 s0, s2
	s_cbranch_execz .LBB105_3
	s_branch .LBB105_19
.LBB105_15:                             ;   in Loop: Header=BB105_4 Depth=1
	v_add_co_u32 v15, s3, v3, s16
	v_add_co_ci_u32_e64 v16, null, s17, v4, s3
	s_andn2_b32 s26, s19, exec_lo
	global_load_ubyte v15, v[15:16], off
	s_waitcnt vmcnt(0)
	v_cmp_ne_u16_e64 s3, s21, v15
	s_and_b32 s3, s3, exec_lo
	s_or_b32 s3, s26, s3
	s_or_b32 exec_lo, exec_lo, s25
	s_and_saveexec_b32 s25, vcc_lo
	s_cbranch_execz .LBB105_12
.LBB105_16:                             ;   in Loop: Header=BB105_4 Depth=1
	v_add_co_u32 v15, vcc_lo, v1, s16
	v_cndmask_b32_e64 v17, 0, 1, s22
	v_add_co_ci_u32_e64 v16, null, s17, v2, vcc_lo
	global_store_byte v[15:16], v17, off
	s_or_b32 exec_lo, exec_lo, s25
	s_and_saveexec_b32 s22, s0
	s_cbranch_execz .LBB105_13
.LBB105_17:                             ;   in Loop: Header=BB105_4 Depth=1
	v_add_co_u32 v15, vcc_lo, v11, s16
	v_cndmask_b32_e64 v17, 0, 1, s23
	v_add_co_ci_u32_e64 v16, null, s17, v12, vcc_lo
	global_store_byte v[15:16], v17, off
	s_or_b32 exec_lo, exec_lo, s22
	s_and_saveexec_b32 s0, s1
	s_cbranch_execz .LBB105_14
.LBB105_18:                             ;   in Loop: Header=BB105_4 Depth=1
	v_add_co_u32 v15, vcc_lo, v7, s16
	v_cndmask_b32_e64 v17, 0, 1, s24
	v_add_co_ci_u32_e64 v16, null, s17, v8, vcc_lo
	global_store_byte v[15:16], v17, off
	s_or_b32 exec_lo, exec_lo, s0
	s_and_saveexec_b32 s0, s2
	s_cbranch_execz .LBB105_3
.LBB105_19:                             ;   in Loop: Header=BB105_4 Depth=1
	v_add_co_u32 v15, vcc_lo, v3, s16
	v_cndmask_b32_e64 v17, 0, 1, s3
	v_add_co_ci_u32_e64 v16, null, s17, v4, vcc_lo
	global_store_byte v[15:16], v17, off
	s_branch .LBB105_3
.LBB105_20:
	s_cbranch_execz .LBB105_22
	s_branch .LBB105_25
.LBB105_21:
.LBB105_22:
	v_cmp_gt_i64_e64 s0, 0x10000, s[10:11]
	v_mov_b32_e32 v3, 0
	v_lshlrev_b32_e32 v2, 2, v0
	s_mov_b32 s1, 0
	s_and_b32 s0, s0, exec_lo
	s_cselect_b32 s3, s11, 0
	s_cselect_b32 s2, s10, 0x10000
	s_mov_b32 s0, exec_lo
	v_cmpx_gt_i64_e64 s[2:3], v[2:3]
	s_cbranch_execz .LBB105_25
; %bb.23:
	s_load_dword s0, s[4:5], 0xcb4
	v_mov_b32_e32 v1, v3
	v_mov_b32_e32 v4, 0xff
	s_waitcnt lgkmcnt(0)
	s_and_b32 s4, s0, 0xffff
	s_add_u32 s0, s6, s8
	s_addc_u32 s5, s7, s9
	v_add_co_u32 v2, s0, s0, v2
	v_add_co_ci_u32_e64 v3, null, s5, 0, s0
	s_lshl_b32 s5, s4, 2
	s_and_b32 s6, s18, 0xff
	s_inst_prefetch 0x1
	.p2align	6
.LBB105_24:                             ; =>This Inner Loop Header: Depth=1
	global_load_dword v5, v[2:3], off
	s_waitcnt vmcnt(0)
	v_lshrrev_b32_e32 v6, 8, v5
	v_cmp_ne_u16_sdwa s0, s6, v5 src0_sel:DWORD src1_sel:BYTE_3
	v_and_b32_sdwa v7, v5, v4 dst_sel:DWORD dst_unused:UNUSED_PAD src0_sel:WORD_1 src1_sel:DWORD
	v_cndmask_b32_e64 v8, 0, 1, s0
	v_cmp_ne_u16_sdwa s0, s6, v6 src0_sel:DWORD src1_sel:BYTE_0
	v_cmp_ne_u16_e32 vcc_lo, s6, v7
	v_lshlrev_b16 v8, 8, v8
	v_cndmask_b32_e64 v6, 0, 1, s0
	v_cmp_ne_u16_sdwa s0, s6, v5 src0_sel:DWORD src1_sel:BYTE_0
	v_cndmask_b32_e64 v7, 0, 1, vcc_lo
	v_add_co_u32 v0, vcc_lo, v0, s4
	v_lshlrev_b16 v6, 8, v6
	v_cndmask_b32_e64 v5, 0, 1, s0
	v_add_co_ci_u32_e64 v1, null, 0, v1, vcc_lo
	v_or_b32_sdwa v7, v7, v8 dst_sel:WORD_1 dst_unused:UNUSED_PAD src0_sel:DWORD src1_sel:DWORD
	v_or_b32_e32 v8, v5, v6
	v_lshlrev_b64 v[5:6], 2, v[0:1]
	v_or_b32_sdwa v7, v8, v7 dst_sel:DWORD dst_unused:UNUSED_PAD src0_sel:WORD_0 src1_sel:DWORD
	v_cmp_le_i64_e32 vcc_lo, s[2:3], v[5:6]
	global_store_dword v[2:3], v7, off
	v_add_co_u32 v2, s0, v2, s5
	v_add_co_ci_u32_e64 v3, null, 0, v3, s0
	s_or_b32 s1, vcc_lo, s1
	s_andn2_b32 exec_lo, exec_lo, s1
	s_cbranch_execnz .LBB105_24
.LBB105_25:
	s_inst_prefetch 0x2
	s_endpgm
	.section	.rodata,"a",@progbits
	.p2align	6, 0x0
	.amdhsa_kernel _ZN2at6native12_GLOBAL__N_125multi_tensor_apply_kernelINS1_28TensorListScalarListMetadataIbLi1EEENS1_25BinaryOpScalarListFunctorIbLi1ELi1ELi0EEEJSt5minusIbEEEEvT_T0_DpT1_
		.amdhsa_group_segment_fixed_size 0
		.amdhsa_private_segment_fixed_size 0
		.amdhsa_kernarg_size 3496
		.amdhsa_user_sgpr_count 6
		.amdhsa_user_sgpr_private_segment_buffer 1
		.amdhsa_user_sgpr_dispatch_ptr 0
		.amdhsa_user_sgpr_queue_ptr 0
		.amdhsa_user_sgpr_kernarg_segment_ptr 1
		.amdhsa_user_sgpr_dispatch_id 0
		.amdhsa_user_sgpr_flat_scratch_init 0
		.amdhsa_user_sgpr_private_segment_size 0
		.amdhsa_wavefront_size32 1
		.amdhsa_uses_dynamic_stack 0
		.amdhsa_system_sgpr_private_segment_wavefront_offset 0
		.amdhsa_system_sgpr_workgroup_id_x 1
		.amdhsa_system_sgpr_workgroup_id_y 0
		.amdhsa_system_sgpr_workgroup_id_z 0
		.amdhsa_system_sgpr_workgroup_info 0
		.amdhsa_system_vgpr_workitem_id 0
		.amdhsa_next_free_vgpr 18
		.amdhsa_next_free_sgpr 27
		.amdhsa_reserve_vcc 1
		.amdhsa_reserve_flat_scratch 0
		.amdhsa_float_round_mode_32 0
		.amdhsa_float_round_mode_16_64 0
		.amdhsa_float_denorm_mode_32 3
		.amdhsa_float_denorm_mode_16_64 3
		.amdhsa_dx10_clamp 1
		.amdhsa_ieee_mode 1
		.amdhsa_fp16_overflow 0
		.amdhsa_workgroup_processor_mode 1
		.amdhsa_memory_ordered 1
		.amdhsa_forward_progress 1
		.amdhsa_shared_vgpr_count 0
		.amdhsa_exception_fp_ieee_invalid_op 0
		.amdhsa_exception_fp_denorm_src 0
		.amdhsa_exception_fp_ieee_div_zero 0
		.amdhsa_exception_fp_ieee_overflow 0
		.amdhsa_exception_fp_ieee_underflow 0
		.amdhsa_exception_fp_ieee_inexact 0
		.amdhsa_exception_int_div_zero 0
	.end_amdhsa_kernel
	.section	.text._ZN2at6native12_GLOBAL__N_125multi_tensor_apply_kernelINS1_28TensorListScalarListMetadataIbLi1EEENS1_25BinaryOpScalarListFunctorIbLi1ELi1ELi0EEEJSt5minusIbEEEEvT_T0_DpT1_,"axG",@progbits,_ZN2at6native12_GLOBAL__N_125multi_tensor_apply_kernelINS1_28TensorListScalarListMetadataIbLi1EEENS1_25BinaryOpScalarListFunctorIbLi1ELi1ELi0EEEJSt5minusIbEEEEvT_T0_DpT1_,comdat
.Lfunc_end105:
	.size	_ZN2at6native12_GLOBAL__N_125multi_tensor_apply_kernelINS1_28TensorListScalarListMetadataIbLi1EEENS1_25BinaryOpScalarListFunctorIbLi1ELi1ELi0EEEJSt5minusIbEEEEvT_T0_DpT1_, .Lfunc_end105-_ZN2at6native12_GLOBAL__N_125multi_tensor_apply_kernelINS1_28TensorListScalarListMetadataIbLi1EEENS1_25BinaryOpScalarListFunctorIbLi1ELi1ELi0EEEJSt5minusIbEEEEvT_T0_DpT1_
                                        ; -- End function
	.set _ZN2at6native12_GLOBAL__N_125multi_tensor_apply_kernelINS1_28TensorListScalarListMetadataIbLi1EEENS1_25BinaryOpScalarListFunctorIbLi1ELi1ELi0EEEJSt5minusIbEEEEvT_T0_DpT1_.num_vgpr, 18
	.set _ZN2at6native12_GLOBAL__N_125multi_tensor_apply_kernelINS1_28TensorListScalarListMetadataIbLi1EEENS1_25BinaryOpScalarListFunctorIbLi1ELi1ELi0EEEJSt5minusIbEEEEvT_T0_DpT1_.num_agpr, 0
	.set _ZN2at6native12_GLOBAL__N_125multi_tensor_apply_kernelINS1_28TensorListScalarListMetadataIbLi1EEENS1_25BinaryOpScalarListFunctorIbLi1ELi1ELi0EEEJSt5minusIbEEEEvT_T0_DpT1_.numbered_sgpr, 27
	.set _ZN2at6native12_GLOBAL__N_125multi_tensor_apply_kernelINS1_28TensorListScalarListMetadataIbLi1EEENS1_25BinaryOpScalarListFunctorIbLi1ELi1ELi0EEEJSt5minusIbEEEEvT_T0_DpT1_.num_named_barrier, 0
	.set _ZN2at6native12_GLOBAL__N_125multi_tensor_apply_kernelINS1_28TensorListScalarListMetadataIbLi1EEENS1_25BinaryOpScalarListFunctorIbLi1ELi1ELi0EEEJSt5minusIbEEEEvT_T0_DpT1_.private_seg_size, 0
	.set _ZN2at6native12_GLOBAL__N_125multi_tensor_apply_kernelINS1_28TensorListScalarListMetadataIbLi1EEENS1_25BinaryOpScalarListFunctorIbLi1ELi1ELi0EEEJSt5minusIbEEEEvT_T0_DpT1_.uses_vcc, 1
	.set _ZN2at6native12_GLOBAL__N_125multi_tensor_apply_kernelINS1_28TensorListScalarListMetadataIbLi1EEENS1_25BinaryOpScalarListFunctorIbLi1ELi1ELi0EEEJSt5minusIbEEEEvT_T0_DpT1_.uses_flat_scratch, 0
	.set _ZN2at6native12_GLOBAL__N_125multi_tensor_apply_kernelINS1_28TensorListScalarListMetadataIbLi1EEENS1_25BinaryOpScalarListFunctorIbLi1ELi1ELi0EEEJSt5minusIbEEEEvT_T0_DpT1_.has_dyn_sized_stack, 0
	.set _ZN2at6native12_GLOBAL__N_125multi_tensor_apply_kernelINS1_28TensorListScalarListMetadataIbLi1EEENS1_25BinaryOpScalarListFunctorIbLi1ELi1ELi0EEEJSt5minusIbEEEEvT_T0_DpT1_.has_recursion, 0
	.set _ZN2at6native12_GLOBAL__N_125multi_tensor_apply_kernelINS1_28TensorListScalarListMetadataIbLi1EEENS1_25BinaryOpScalarListFunctorIbLi1ELi1ELi0EEEJSt5minusIbEEEEvT_T0_DpT1_.has_indirect_call, 0
	.section	.AMDGPU.csdata,"",@progbits
; Kernel info:
; codeLenInByte = 1408
; TotalNumSgprs: 29
; NumVgprs: 18
; ScratchSize: 0
; MemoryBound: 0
; FloatMode: 240
; IeeeMode: 1
; LDSByteSize: 0 bytes/workgroup (compile time only)
; SGPRBlocks: 0
; VGPRBlocks: 2
; NumSGPRsForWavesPerEU: 29
; NumVGPRsForWavesPerEU: 18
; Occupancy: 16
; WaveLimiterHint : 0
; COMPUTE_PGM_RSRC2:SCRATCH_EN: 0
; COMPUTE_PGM_RSRC2:USER_SGPR: 6
; COMPUTE_PGM_RSRC2:TRAP_HANDLER: 0
; COMPUTE_PGM_RSRC2:TGID_X_EN: 1
; COMPUTE_PGM_RSRC2:TGID_Y_EN: 0
; COMPUTE_PGM_RSRC2:TGID_Z_EN: 0
; COMPUTE_PGM_RSRC2:TIDIG_COMP_CNT: 0
	.section	.text._ZN2at6native12_GLOBAL__N_125multi_tensor_apply_kernelINS1_28TensorListScalarListMetadataIfLi1EEENS1_25BinaryOpScalarListFunctorIN3c104HalfELi1ELi1ELi0EEEJSt5minusIfEEEEvT_T0_DpT1_,"axG",@progbits,_ZN2at6native12_GLOBAL__N_125multi_tensor_apply_kernelINS1_28TensorListScalarListMetadataIfLi1EEENS1_25BinaryOpScalarListFunctorIN3c104HalfELi1ELi1ELi0EEEJSt5minusIfEEEEvT_T0_DpT1_,comdat
	.globl	_ZN2at6native12_GLOBAL__N_125multi_tensor_apply_kernelINS1_28TensorListScalarListMetadataIfLi1EEENS1_25BinaryOpScalarListFunctorIN3c104HalfELi1ELi1ELi0EEEJSt5minusIfEEEEvT_T0_DpT1_ ; -- Begin function _ZN2at6native12_GLOBAL__N_125multi_tensor_apply_kernelINS1_28TensorListScalarListMetadataIfLi1EEENS1_25BinaryOpScalarListFunctorIN3c104HalfELi1ELi1ELi0EEEJSt5minusIfEEEEvT_T0_DpT1_
	.p2align	8
	.type	_ZN2at6native12_GLOBAL__N_125multi_tensor_apply_kernelINS1_28TensorListScalarListMetadataIfLi1EEENS1_25BinaryOpScalarListFunctorIN3c104HalfELi1ELi1ELi0EEEJSt5minusIfEEEEvT_T0_DpT1_,@function
_ZN2at6native12_GLOBAL__N_125multi_tensor_apply_kernelINS1_28TensorListScalarListMetadataIfLi1EEENS1_25BinaryOpScalarListFunctorIN3c104HalfELi1ELi1ELi0EEEJSt5minusIfEEEEvT_T0_DpT1_: ; @_ZN2at6native12_GLOBAL__N_125multi_tensor_apply_kernelINS1_28TensorListScalarListMetadataIfLi1EEENS1_25BinaryOpScalarListFunctorIN3c104HalfELi1ELi1ELi0EEEJSt5minusIfEEEEvT_T0_DpT1_
; %bb.0:
	v_mov_b32_e32 v1, s6
	s_add_u32 s0, s4, s6
	s_mul_i32 s1, s6, 3
	s_mul_hi_u32 s2, s6, 3
	s_addc_u32 s3, s5, 0
	global_load_ubyte v1, v1, s[4:5] offset:1920
	s_add_u32 s0, s0, s1
	s_addc_u32 s1, s3, s2
	s_mov_b32 s13, 0
	s_load_dword s0, s[0:1], 0x8c0
	s_waitcnt vmcnt(0)
	v_readfirstlane_b32 s1, v1
	v_lshlrev_b32_e32 v1, 2, v1
	s_lshl_b32 s8, s1, 3
	v_sub_co_u32 v1, s1, 0, v1
	v_sub_co_ci_u32_e64 v2, null, 0, 0, s1
	s_waitcnt lgkmcnt(0)
	s_ashr_i32 s1, s0, 31
	s_clause 0x1
	s_load_dwordx2 s[2:3], s[4:5], s8 offset:0x300
	s_load_dwordx2 s[6:7], s[4:5], s8 offset:0x0
	s_add_u32 s8, s4, s8
	s_addc_u32 s9, s5, 0
	v_add_co_u32 v1, vcc_lo, s8, v1
	v_add_co_ci_u32_e64 v2, null, s9, v2, vcc_lo
	v_readfirstlane_b32 s8, v1
	v_readfirstlane_b32 s9, v2
	s_load_dword s18, s[8:9], 0x600
	s_lshl_b64 s[8:9], s[0:1], 17
	s_lshl_b64 s[0:1], s[0:1], 16
	s_waitcnt lgkmcnt(0)
	s_and_b32 s12, s6, 7
	s_sub_u32 s10, s2, s0
	s_subb_u32 s11, s3, s1
	s_and_b32 s0, s2, 3
	s_mov_b32 s1, s13
	s_or_b64 s[0:1], s[12:13], s[0:1]
	s_cmp_eq_u64 s[0:1], 0
	s_cbranch_scc1 .LBB106_21
; %bb.1:
	v_cmp_lt_i64_e64 s0, s[10:11], 1
	s_and_b32 vcc_lo, exec_lo, s0
	s_cbranch_vccnz .LBB106_20
; %bb.2:
	s_load_dword s0, s[4:5], 0xdd4
	v_cmp_gt_i64_e64 s1, 0x10000, s[10:11]
	v_cmp_gt_u64_e64 s2, 0x10000, s[10:11]
	v_lshlrev_b32_e32 v1, 1, v0
	s_and_b32 s1, s1, exec_lo
	s_cselect_b32 s13, s11, 0
	s_cselect_b32 s12, s10, 0x10000
	s_waitcnt lgkmcnt(0)
	s_and_b32 s0, s0, 0xffff
	s_and_b32 s1, s2, exec_lo
	v_add_co_u32 v5, s3, v0, s0
	s_cselect_b32 s15, s11, 0
	s_cselect_b32 s14, s10, 0x10000
	s_lshl_b32 s1, s0, 1
	v_lshlrev_b32_e32 v3, 1, v5
	s_mul_i32 s2, s0, 3
	s_lshl_b32 s19, s0, 2
	s_add_u32 s16, s6, s8
	v_add_co_u32 v6, s2, s2, v0
	v_add_co_u32 v9, s1, s1, v0
	s_addc_u32 s17, s7, s9
	v_add_co_ci_u32_e64 v7, null, 0, 0, s2
	v_add_co_u32 v1, s2, s16, v1
	v_add_co_ci_u32_e64 v10, null, 0, 0, s1
	v_add_co_u32 v3, s1, s16, v3
	v_add_co_ci_u32_e64 v2, null, s17, 0, s2
	v_add_co_ci_u32_e64 v8, null, 0, 0, s3
	;; [unrolled: 1-line block ×3, first 2 shown]
	s_lshl_b32 s20, s0, 3
	s_mul_i32 s21, s0, 6
	s_mov_b64 s[16:17], 0
	s_branch .LBB106_4
.LBB106_3:                              ;   in Loop: Header=BB106_4 Depth=1
	s_or_b32 exec_lo, exec_lo, s0
	s_add_u32 s16, s16, s19
	s_addc_u32 s17, s17, 0
	v_add_co_u32 v1, vcc_lo, v1, s20
	v_cmp_lt_i64_e64 s0, s[16:17], s[12:13]
	v_add_co_ci_u32_e64 v2, null, 0, v2, vcc_lo
	v_add_co_u32 v3, vcc_lo, v3, s20
	v_add_co_ci_u32_e64 v4, null, 0, v4, vcc_lo
	s_and_b32 vcc_lo, exec_lo, s0
	s_cbranch_vccz .LBB106_20
.LBB106_4:                              ; =>This Inner Loop Header: Depth=1
	v_add_co_u32 v11, s0, v0, s16
	v_add_co_ci_u32_e64 v12, null, 0, s17, s0
	v_cmp_gt_u64_e32 vcc_lo, s[14:15], v[11:12]
	v_mov_b32_e32 v11, 0
	s_and_saveexec_b32 s0, vcc_lo
	s_cbranch_execz .LBB106_6
; %bb.5:                                ;   in Loop: Header=BB106_4 Depth=1
	global_load_ushort v11, v[1:2], off
	s_waitcnt vmcnt(0)
	v_cvt_f32_f16_e32 v11, v11
.LBB106_6:                              ;   in Loop: Header=BB106_4 Depth=1
	s_or_b32 exec_lo, exec_lo, s0
	v_add_co_u32 v12, s0, v5, s16
	v_add_co_ci_u32_e64 v13, null, s17, v8, s0
	v_cmp_gt_u64_e64 s0, s[14:15], v[12:13]
	v_mov_b32_e32 v12, 0
	v_mov_b32_e32 v13, 0
	s_and_saveexec_b32 s1, s0
	s_cbranch_execz .LBB106_8
; %bb.7:                                ;   in Loop: Header=BB106_4 Depth=1
	global_load_ushort v13, v[3:4], off
	s_waitcnt vmcnt(0)
	v_cvt_f32_f16_e32 v13, v13
.LBB106_8:                              ;   in Loop: Header=BB106_4 Depth=1
	s_or_b32 exec_lo, exec_lo, s1
	v_add_co_u32 v14, s1, v9, s16
	v_add_co_ci_u32_e64 v15, null, s17, v10, s1
	v_cmp_gt_u64_e64 s1, s[14:15], v[14:15]
	s_and_saveexec_b32 s3, s1
	s_cbranch_execz .LBB106_10
; %bb.9:                                ;   in Loop: Header=BB106_4 Depth=1
	v_add_co_u32 v14, s2, v1, s19
	v_add_co_ci_u32_e64 v15, null, 0, v2, s2
	global_load_ushort v12, v[14:15], off
	s_waitcnt vmcnt(0)
	v_cvt_f32_f16_e32 v12, v12
.LBB106_10:                             ;   in Loop: Header=BB106_4 Depth=1
	s_or_b32 exec_lo, exec_lo, s3
	v_add_co_u32 v14, s2, v6, s16
	v_add_co_ci_u32_e64 v15, null, s17, v7, s2
	v_cmp_gt_u64_e64 s2, s[14:15], v[14:15]
	v_mov_b32_e32 v14, 0
	s_and_saveexec_b32 s22, s2
	s_cbranch_execnz .LBB106_15
; %bb.11:                               ;   in Loop: Header=BB106_4 Depth=1
	s_or_b32 exec_lo, exec_lo, s22
	s_and_saveexec_b32 s3, vcc_lo
	s_cbranch_execnz .LBB106_16
.LBB106_12:                             ;   in Loop: Header=BB106_4 Depth=1
	s_or_b32 exec_lo, exec_lo, s3
	s_and_saveexec_b32 s3, s0
	s_cbranch_execnz .LBB106_17
.LBB106_13:                             ;   in Loop: Header=BB106_4 Depth=1
	s_or_b32 exec_lo, exec_lo, s3
	s_and_saveexec_b32 s0, s1
	s_cbranch_execnz .LBB106_18
.LBB106_14:                             ;   in Loop: Header=BB106_4 Depth=1
	s_or_b32 exec_lo, exec_lo, s0
	s_and_saveexec_b32 s0, s2
	s_cbranch_execz .LBB106_3
	s_branch .LBB106_19
.LBB106_15:                             ;   in Loop: Header=BB106_4 Depth=1
	v_add_co_u32 v14, s3, v1, s21
	v_add_co_ci_u32_e64 v15, null, 0, v2, s3
	global_load_ushort v14, v[14:15], off
	s_waitcnt vmcnt(0)
	v_cvt_f32_f16_e32 v14, v14
	s_or_b32 exec_lo, exec_lo, s22
	s_and_saveexec_b32 s3, vcc_lo
	s_cbranch_execz .LBB106_12
.LBB106_16:                             ;   in Loop: Header=BB106_4 Depth=1
	v_subrev_f32_e32 v11, s18, v11
	v_cvt_f16_f32_e32 v11, v11
	global_store_short v[1:2], v11, off
	s_or_b32 exec_lo, exec_lo, s3
	s_and_saveexec_b32 s3, s0
	s_cbranch_execz .LBB106_13
.LBB106_17:                             ;   in Loop: Header=BB106_4 Depth=1
	v_subrev_f32_e32 v11, s18, v13
	v_cvt_f16_f32_e32 v11, v11
	global_store_short v[3:4], v11, off
	s_or_b32 exec_lo, exec_lo, s3
	s_and_saveexec_b32 s0, s1
	s_cbranch_execz .LBB106_14
.LBB106_18:                             ;   in Loop: Header=BB106_4 Depth=1
	v_subrev_f32_e32 v11, s18, v12
	v_cvt_f16_f32_e32 v13, v11
	v_add_co_u32 v11, vcc_lo, v1, s19
	v_add_co_ci_u32_e64 v12, null, 0, v2, vcc_lo
	global_store_short v[11:12], v13, off
	s_or_b32 exec_lo, exec_lo, s0
	s_and_saveexec_b32 s0, s2
	s_cbranch_execz .LBB106_3
.LBB106_19:                             ;   in Loop: Header=BB106_4 Depth=1
	v_subrev_f32_e32 v11, s18, v14
	v_cvt_f16_f32_e32 v13, v11
	v_add_co_u32 v11, vcc_lo, v1, s21
	v_add_co_ci_u32_e64 v12, null, 0, v2, vcc_lo
	global_store_short v[11:12], v13, off
	s_branch .LBB106_3
.LBB106_20:
	s_cbranch_execz .LBB106_22
	s_branch .LBB106_25
.LBB106_21:
.LBB106_22:
	v_cmp_gt_i64_e64 s0, 0x10000, s[10:11]
	v_mov_b32_e32 v2, 0
	v_lshlrev_b32_e32 v1, 2, v0
	s_mov_b32 s1, 0
	s_and_b32 s0, s0, exec_lo
	s_cselect_b32 s3, s11, 0
	s_cselect_b32 s2, s10, 0x10000
	s_mov_b32 s0, exec_lo
	v_cmpx_gt_i64_e64 s[2:3], v[1:2]
	s_cbranch_execz .LBB106_25
; %bb.23:
	s_load_dword s0, s[4:5], 0xdd4
	v_lshlrev_b32_e32 v1, 3, v0
	s_waitcnt lgkmcnt(0)
	s_and_b32 s4, s0, 0xffff
	s_add_u32 s0, s6, s8
	s_addc_u32 s5, s7, s9
	v_add_co_u32 v3, s0, s0, v1
	v_add_co_ci_u32_e64 v4, null, s5, 0, s0
	v_mov_b32_e32 v1, v2
	v_add_co_u32 v2, vcc_lo, v3, 6
	v_add_co_ci_u32_e64 v3, null, 0, v4, vcc_lo
	s_mov_b32 s5, s18
	s_lshl_b32 s6, s4, 3
	s_inst_prefetch 0x1
	.p2align	6
.LBB106_24:                             ; =>This Inner Loop Header: Depth=1
	global_load_dwordx2 v[4:5], v[2:3], off offset:-6
	v_add_co_u32 v0, vcc_lo, v0, s4
	v_add_co_ci_u32_e64 v1, null, 0, v1, vcc_lo
	s_waitcnt vmcnt(0)
	v_cvt_f32_f16_e32 v6, v4
	v_cvt_f32_f16_sdwa v7, v5 dst_sel:DWORD dst_unused:UNUSED_PAD src0_sel:WORD_1
	v_cvt_f32_f16_e32 v5, v5
	v_cvt_f32_f16_sdwa v4, v4 dst_sel:DWORD dst_unused:UNUSED_PAD src0_sel:WORD_1
	v_subrev_f32_e32 v6, s18, v6
	v_subrev_f32_e32 v7, s18, v7
	;; [unrolled: 1-line block ×4, first 2 shown]
	v_cvt_f16_f32_e32 v6, v6
	v_cvt_f16_f32_e32 v7, v7
	;; [unrolled: 1-line block ×4, first 2 shown]
	v_lshlrev_b64 v[4:5], 2, v[0:1]
	v_pack_b32_f16 v7, v8, v7
	v_pack_b32_f16 v6, v6, v9
	v_cmp_le_i64_e32 vcc_lo, s[2:3], v[4:5]
	global_store_dwordx2 v[2:3], v[6:7], off offset:-6
	v_add_co_u32 v2, s0, v2, s6
	v_add_co_ci_u32_e64 v3, null, 0, v3, s0
	s_or_b32 s1, vcc_lo, s1
	s_andn2_b32 exec_lo, exec_lo, s1
	s_cbranch_execnz .LBB106_24
.LBB106_25:
	s_inst_prefetch 0x2
	s_endpgm
	.section	.rodata,"a",@progbits
	.p2align	6, 0x0
	.amdhsa_kernel _ZN2at6native12_GLOBAL__N_125multi_tensor_apply_kernelINS1_28TensorListScalarListMetadataIfLi1EEENS1_25BinaryOpScalarListFunctorIN3c104HalfELi1ELi1ELi0EEEJSt5minusIfEEEEvT_T0_DpT1_
		.amdhsa_group_segment_fixed_size 0
		.amdhsa_private_segment_fixed_size 0
		.amdhsa_kernarg_size 3784
		.amdhsa_user_sgpr_count 6
		.amdhsa_user_sgpr_private_segment_buffer 1
		.amdhsa_user_sgpr_dispatch_ptr 0
		.amdhsa_user_sgpr_queue_ptr 0
		.amdhsa_user_sgpr_kernarg_segment_ptr 1
		.amdhsa_user_sgpr_dispatch_id 0
		.amdhsa_user_sgpr_flat_scratch_init 0
		.amdhsa_user_sgpr_private_segment_size 0
		.amdhsa_wavefront_size32 1
		.amdhsa_uses_dynamic_stack 0
		.amdhsa_system_sgpr_private_segment_wavefront_offset 0
		.amdhsa_system_sgpr_workgroup_id_x 1
		.amdhsa_system_sgpr_workgroup_id_y 0
		.amdhsa_system_sgpr_workgroup_id_z 0
		.amdhsa_system_sgpr_workgroup_info 0
		.amdhsa_system_vgpr_workitem_id 0
		.amdhsa_next_free_vgpr 16
		.amdhsa_next_free_sgpr 23
		.amdhsa_reserve_vcc 1
		.amdhsa_reserve_flat_scratch 0
		.amdhsa_float_round_mode_32 0
		.amdhsa_float_round_mode_16_64 0
		.amdhsa_float_denorm_mode_32 3
		.amdhsa_float_denorm_mode_16_64 3
		.amdhsa_dx10_clamp 1
		.amdhsa_ieee_mode 1
		.amdhsa_fp16_overflow 0
		.amdhsa_workgroup_processor_mode 1
		.amdhsa_memory_ordered 1
		.amdhsa_forward_progress 1
		.amdhsa_shared_vgpr_count 0
		.amdhsa_exception_fp_ieee_invalid_op 0
		.amdhsa_exception_fp_denorm_src 0
		.amdhsa_exception_fp_ieee_div_zero 0
		.amdhsa_exception_fp_ieee_overflow 0
		.amdhsa_exception_fp_ieee_underflow 0
		.amdhsa_exception_fp_ieee_inexact 0
		.amdhsa_exception_int_div_zero 0
	.end_amdhsa_kernel
	.section	.text._ZN2at6native12_GLOBAL__N_125multi_tensor_apply_kernelINS1_28TensorListScalarListMetadataIfLi1EEENS1_25BinaryOpScalarListFunctorIN3c104HalfELi1ELi1ELi0EEEJSt5minusIfEEEEvT_T0_DpT1_,"axG",@progbits,_ZN2at6native12_GLOBAL__N_125multi_tensor_apply_kernelINS1_28TensorListScalarListMetadataIfLi1EEENS1_25BinaryOpScalarListFunctorIN3c104HalfELi1ELi1ELi0EEEJSt5minusIfEEEEvT_T0_DpT1_,comdat
.Lfunc_end106:
	.size	_ZN2at6native12_GLOBAL__N_125multi_tensor_apply_kernelINS1_28TensorListScalarListMetadataIfLi1EEENS1_25BinaryOpScalarListFunctorIN3c104HalfELi1ELi1ELi0EEEJSt5minusIfEEEEvT_T0_DpT1_, .Lfunc_end106-_ZN2at6native12_GLOBAL__N_125multi_tensor_apply_kernelINS1_28TensorListScalarListMetadataIfLi1EEENS1_25BinaryOpScalarListFunctorIN3c104HalfELi1ELi1ELi0EEEJSt5minusIfEEEEvT_T0_DpT1_
                                        ; -- End function
	.set _ZN2at6native12_GLOBAL__N_125multi_tensor_apply_kernelINS1_28TensorListScalarListMetadataIfLi1EEENS1_25BinaryOpScalarListFunctorIN3c104HalfELi1ELi1ELi0EEEJSt5minusIfEEEEvT_T0_DpT1_.num_vgpr, 16
	.set _ZN2at6native12_GLOBAL__N_125multi_tensor_apply_kernelINS1_28TensorListScalarListMetadataIfLi1EEENS1_25BinaryOpScalarListFunctorIN3c104HalfELi1ELi1ELi0EEEJSt5minusIfEEEEvT_T0_DpT1_.num_agpr, 0
	.set _ZN2at6native12_GLOBAL__N_125multi_tensor_apply_kernelINS1_28TensorListScalarListMetadataIfLi1EEENS1_25BinaryOpScalarListFunctorIN3c104HalfELi1ELi1ELi0EEEJSt5minusIfEEEEvT_T0_DpT1_.numbered_sgpr, 23
	.set _ZN2at6native12_GLOBAL__N_125multi_tensor_apply_kernelINS1_28TensorListScalarListMetadataIfLi1EEENS1_25BinaryOpScalarListFunctorIN3c104HalfELi1ELi1ELi0EEEJSt5minusIfEEEEvT_T0_DpT1_.num_named_barrier, 0
	.set _ZN2at6native12_GLOBAL__N_125multi_tensor_apply_kernelINS1_28TensorListScalarListMetadataIfLi1EEENS1_25BinaryOpScalarListFunctorIN3c104HalfELi1ELi1ELi0EEEJSt5minusIfEEEEvT_T0_DpT1_.private_seg_size, 0
	.set _ZN2at6native12_GLOBAL__N_125multi_tensor_apply_kernelINS1_28TensorListScalarListMetadataIfLi1EEENS1_25BinaryOpScalarListFunctorIN3c104HalfELi1ELi1ELi0EEEJSt5minusIfEEEEvT_T0_DpT1_.uses_vcc, 1
	.set _ZN2at6native12_GLOBAL__N_125multi_tensor_apply_kernelINS1_28TensorListScalarListMetadataIfLi1EEENS1_25BinaryOpScalarListFunctorIN3c104HalfELi1ELi1ELi0EEEJSt5minusIfEEEEvT_T0_DpT1_.uses_flat_scratch, 0
	.set _ZN2at6native12_GLOBAL__N_125multi_tensor_apply_kernelINS1_28TensorListScalarListMetadataIfLi1EEENS1_25BinaryOpScalarListFunctorIN3c104HalfELi1ELi1ELi0EEEJSt5minusIfEEEEvT_T0_DpT1_.has_dyn_sized_stack, 0
	.set _ZN2at6native12_GLOBAL__N_125multi_tensor_apply_kernelINS1_28TensorListScalarListMetadataIfLi1EEENS1_25BinaryOpScalarListFunctorIN3c104HalfELi1ELi1ELi0EEEJSt5minusIfEEEEvT_T0_DpT1_.has_recursion, 0
	.set _ZN2at6native12_GLOBAL__N_125multi_tensor_apply_kernelINS1_28TensorListScalarListMetadataIfLi1EEENS1_25BinaryOpScalarListFunctorIN3c104HalfELi1ELi1ELi0EEEJSt5minusIfEEEEvT_T0_DpT1_.has_indirect_call, 0
	.section	.AMDGPU.csdata,"",@progbits
; Kernel info:
; codeLenInByte = 1244
; TotalNumSgprs: 25
; NumVgprs: 16
; ScratchSize: 0
; MemoryBound: 0
; FloatMode: 240
; IeeeMode: 1
; LDSByteSize: 0 bytes/workgroup (compile time only)
; SGPRBlocks: 0
; VGPRBlocks: 1
; NumSGPRsForWavesPerEU: 25
; NumVGPRsForWavesPerEU: 16
; Occupancy: 16
; WaveLimiterHint : 0
; COMPUTE_PGM_RSRC2:SCRATCH_EN: 0
; COMPUTE_PGM_RSRC2:USER_SGPR: 6
; COMPUTE_PGM_RSRC2:TRAP_HANDLER: 0
; COMPUTE_PGM_RSRC2:TGID_X_EN: 1
; COMPUTE_PGM_RSRC2:TGID_Y_EN: 0
; COMPUTE_PGM_RSRC2:TGID_Z_EN: 0
; COMPUTE_PGM_RSRC2:TIDIG_COMP_CNT: 0
	.section	.text._ZN2at6native12_GLOBAL__N_125multi_tensor_apply_kernelINS1_28TensorListScalarListMetadataIfLi1EEENS1_25BinaryOpScalarListFunctorIN3c108BFloat16ELi1ELi1ELi0EEEJSt5minusIfEEEEvT_T0_DpT1_,"axG",@progbits,_ZN2at6native12_GLOBAL__N_125multi_tensor_apply_kernelINS1_28TensorListScalarListMetadataIfLi1EEENS1_25BinaryOpScalarListFunctorIN3c108BFloat16ELi1ELi1ELi0EEEJSt5minusIfEEEEvT_T0_DpT1_,comdat
	.globl	_ZN2at6native12_GLOBAL__N_125multi_tensor_apply_kernelINS1_28TensorListScalarListMetadataIfLi1EEENS1_25BinaryOpScalarListFunctorIN3c108BFloat16ELi1ELi1ELi0EEEJSt5minusIfEEEEvT_T0_DpT1_ ; -- Begin function _ZN2at6native12_GLOBAL__N_125multi_tensor_apply_kernelINS1_28TensorListScalarListMetadataIfLi1EEENS1_25BinaryOpScalarListFunctorIN3c108BFloat16ELi1ELi1ELi0EEEJSt5minusIfEEEEvT_T0_DpT1_
	.p2align	8
	.type	_ZN2at6native12_GLOBAL__N_125multi_tensor_apply_kernelINS1_28TensorListScalarListMetadataIfLi1EEENS1_25BinaryOpScalarListFunctorIN3c108BFloat16ELi1ELi1ELi0EEEJSt5minusIfEEEEvT_T0_DpT1_,@function
_ZN2at6native12_GLOBAL__N_125multi_tensor_apply_kernelINS1_28TensorListScalarListMetadataIfLi1EEENS1_25BinaryOpScalarListFunctorIN3c108BFloat16ELi1ELi1ELi0EEEJSt5minusIfEEEEvT_T0_DpT1_: ; @_ZN2at6native12_GLOBAL__N_125multi_tensor_apply_kernelINS1_28TensorListScalarListMetadataIfLi1EEENS1_25BinaryOpScalarListFunctorIN3c108BFloat16ELi1ELi1ELi0EEEJSt5minusIfEEEEvT_T0_DpT1_
; %bb.0:
	v_mov_b32_e32 v1, s6
	s_add_u32 s0, s4, s6
	s_mul_i32 s1, s6, 3
	s_mul_hi_u32 s2, s6, 3
	s_addc_u32 s3, s5, 0
	global_load_ubyte v1, v1, s[4:5] offset:1920
	s_add_u32 s0, s0, s1
	s_addc_u32 s1, s3, s2
	s_mov_b32 s13, 0
	s_load_dword s0, s[0:1], 0x8c0
	s_waitcnt vmcnt(0)
	v_readfirstlane_b32 s1, v1
	v_lshlrev_b32_e32 v1, 2, v1
	s_lshl_b32 s8, s1, 3
	v_sub_co_u32 v1, s1, 0, v1
	v_sub_co_ci_u32_e64 v2, null, 0, 0, s1
	s_waitcnt lgkmcnt(0)
	s_ashr_i32 s1, s0, 31
	s_clause 0x1
	s_load_dwordx2 s[2:3], s[4:5], s8 offset:0x300
	s_load_dwordx2 s[6:7], s[4:5], s8 offset:0x0
	s_add_u32 s8, s4, s8
	s_addc_u32 s9, s5, 0
	v_add_co_u32 v1, vcc_lo, s8, v1
	v_add_co_ci_u32_e64 v2, null, s9, v2, vcc_lo
	v_readfirstlane_b32 s8, v1
	v_readfirstlane_b32 s9, v2
	s_load_dword s18, s[8:9], 0x600
	s_lshl_b64 s[8:9], s[0:1], 17
	s_lshl_b64 s[0:1], s[0:1], 16
	s_waitcnt lgkmcnt(0)
	s_and_b32 s12, s6, 7
	s_sub_u32 s10, s2, s0
	s_subb_u32 s11, s3, s1
	s_and_b32 s0, s2, 3
	s_mov_b32 s1, s13
	s_or_b64 s[0:1], s[12:13], s[0:1]
	s_cmp_eq_u64 s[0:1], 0
	s_cbranch_scc1 .LBB107_21
; %bb.1:
	v_cmp_lt_i64_e64 s0, s[10:11], 1
	s_and_b32 vcc_lo, exec_lo, s0
	s_cbranch_vccnz .LBB107_20
; %bb.2:
	s_load_dword s0, s[4:5], 0xdd4
	v_cmp_gt_i64_e64 s1, 0x10000, s[10:11]
	v_cmp_gt_u64_e64 s2, 0x10000, s[10:11]
	v_lshlrev_b32_e32 v1, 1, v0
	v_mov_b32_e32 v11, 0x7fc0
	s_and_b32 s1, s1, exec_lo
	s_cselect_b32 s13, s11, 0
	s_cselect_b32 s12, s10, 0x10000
	s_waitcnt lgkmcnt(0)
	s_and_b32 s0, s0, 0xffff
	s_and_b32 s1, s2, exec_lo
	v_add_co_u32 v5, s3, v0, s0
	s_cselect_b32 s15, s11, 0
	s_cselect_b32 s14, s10, 0x10000
	s_lshl_b32 s1, s0, 1
	v_lshlrev_b32_e32 v3, 1, v5
	s_mul_i32 s2, s0, 3
	s_lshl_b32 s19, s0, 2
	s_add_u32 s16, s6, s8
	v_add_co_u32 v6, s2, s2, v0
	v_add_co_u32 v9, s1, s1, v0
	s_addc_u32 s17, s7, s9
	v_add_co_ci_u32_e64 v7, null, 0, 0, s2
	v_add_co_u32 v1, s2, s16, v1
	v_add_co_ci_u32_e64 v10, null, 0, 0, s1
	v_add_co_u32 v3, s1, s16, v3
	v_add_co_ci_u32_e64 v2, null, s17, 0, s2
	v_add_co_ci_u32_e64 v8, null, 0, 0, s3
	v_add_co_ci_u32_e64 v4, null, s17, 0, s1
	s_lshl_b32 s20, s0, 3
	s_mul_i32 s21, s0, 6
	s_mov_b64 s[16:17], 0
	s_branch .LBB107_4
.LBB107_3:                              ;   in Loop: Header=BB107_4 Depth=1
	s_or_b32 exec_lo, exec_lo, s0
	s_add_u32 s16, s16, s19
	s_addc_u32 s17, s17, 0
	v_add_co_u32 v1, vcc_lo, v1, s20
	v_cmp_lt_i64_e64 s0, s[16:17], s[12:13]
	v_add_co_ci_u32_e64 v2, null, 0, v2, vcc_lo
	v_add_co_u32 v3, vcc_lo, v3, s20
	v_add_co_ci_u32_e64 v4, null, 0, v4, vcc_lo
	s_and_b32 vcc_lo, exec_lo, s0
	s_cbranch_vccz .LBB107_20
.LBB107_4:                              ; =>This Inner Loop Header: Depth=1
	v_add_co_u32 v12, s0, v0, s16
	v_add_co_ci_u32_e64 v13, null, 0, s17, s0
	v_cmp_gt_u64_e32 vcc_lo, s[14:15], v[12:13]
	v_mov_b32_e32 v13, 0
	s_and_saveexec_b32 s0, vcc_lo
	s_cbranch_execz .LBB107_6
; %bb.5:                                ;   in Loop: Header=BB107_4 Depth=1
	global_load_ushort v12, v[1:2], off
	s_waitcnt vmcnt(0)
	v_lshlrev_b32_e32 v13, 16, v12
.LBB107_6:                              ;   in Loop: Header=BB107_4 Depth=1
	s_or_b32 exec_lo, exec_lo, s0
	v_add_co_u32 v14, s0, v5, s16
	v_add_co_ci_u32_e64 v15, null, s17, v8, s0
	v_mov_b32_e32 v12, 0
	v_cmp_gt_u64_e64 s0, s[14:15], v[14:15]
	v_mov_b32_e32 v14, 0
	s_and_saveexec_b32 s1, s0
	s_cbranch_execz .LBB107_8
; %bb.7:                                ;   in Loop: Header=BB107_4 Depth=1
	global_load_ushort v14, v[3:4], off
	s_waitcnt vmcnt(0)
	v_lshlrev_b32_e32 v14, 16, v14
.LBB107_8:                              ;   in Loop: Header=BB107_4 Depth=1
	s_or_b32 exec_lo, exec_lo, s1
	v_add_co_u32 v15, s1, v9, s16
	v_add_co_ci_u32_e64 v16, null, s17, v10, s1
	v_cmp_gt_u64_e64 s1, s[14:15], v[15:16]
	s_and_saveexec_b32 s3, s1
	s_cbranch_execz .LBB107_10
; %bb.9:                                ;   in Loop: Header=BB107_4 Depth=1
	v_add_co_u32 v15, s2, v1, s19
	v_add_co_ci_u32_e64 v16, null, 0, v2, s2
	global_load_ushort v12, v[15:16], off
	s_waitcnt vmcnt(0)
	v_lshlrev_b32_e32 v12, 16, v12
.LBB107_10:                             ;   in Loop: Header=BB107_4 Depth=1
	s_or_b32 exec_lo, exec_lo, s3
	v_add_co_u32 v15, s2, v6, s16
	v_add_co_ci_u32_e64 v16, null, s17, v7, s2
	v_cmp_gt_u64_e64 s2, s[14:15], v[15:16]
	v_mov_b32_e32 v15, 0
	s_and_saveexec_b32 s22, s2
	s_cbranch_execnz .LBB107_15
; %bb.11:                               ;   in Loop: Header=BB107_4 Depth=1
	s_or_b32 exec_lo, exec_lo, s22
	s_and_saveexec_b32 s3, vcc_lo
	s_cbranch_execnz .LBB107_16
.LBB107_12:                             ;   in Loop: Header=BB107_4 Depth=1
	s_or_b32 exec_lo, exec_lo, s3
	s_and_saveexec_b32 s3, s0
	s_cbranch_execnz .LBB107_17
.LBB107_13:                             ;   in Loop: Header=BB107_4 Depth=1
	s_or_b32 exec_lo, exec_lo, s3
	s_and_saveexec_b32 s0, s1
	s_cbranch_execnz .LBB107_18
.LBB107_14:                             ;   in Loop: Header=BB107_4 Depth=1
	s_or_b32 exec_lo, exec_lo, s0
	s_and_saveexec_b32 s0, s2
	s_cbranch_execz .LBB107_3
	s_branch .LBB107_19
.LBB107_15:                             ;   in Loop: Header=BB107_4 Depth=1
	v_add_co_u32 v15, s3, v1, s21
	v_add_co_ci_u32_e64 v16, null, 0, v2, s3
	global_load_ushort v15, v[15:16], off
	s_waitcnt vmcnt(0)
	v_lshlrev_b32_e32 v15, 16, v15
	s_or_b32 exec_lo, exec_lo, s22
	s_and_saveexec_b32 s3, vcc_lo
	s_cbranch_execz .LBB107_12
.LBB107_16:                             ;   in Loop: Header=BB107_4 Depth=1
	v_subrev_f32_e32 v13, s18, v13
	v_bfe_u32 v16, v13, 16, 1
	v_cmp_o_f32_e32 vcc_lo, v13, v13
	v_add3_u32 v13, v13, v16, 0x7fff
	v_cndmask_b32_sdwa v13, v11, v13, vcc_lo dst_sel:DWORD dst_unused:UNUSED_PAD src0_sel:DWORD src1_sel:WORD_1
	global_store_short v[1:2], v13, off
	s_or_b32 exec_lo, exec_lo, s3
	s_and_saveexec_b32 s3, s0
	s_cbranch_execz .LBB107_13
.LBB107_17:                             ;   in Loop: Header=BB107_4 Depth=1
	v_subrev_f32_e32 v13, s18, v14
	v_bfe_u32 v14, v13, 16, 1
	v_cmp_o_f32_e32 vcc_lo, v13, v13
	v_add3_u32 v13, v13, v14, 0x7fff
	v_cndmask_b32_sdwa v13, v11, v13, vcc_lo dst_sel:DWORD dst_unused:UNUSED_PAD src0_sel:DWORD src1_sel:WORD_1
	global_store_short v[3:4], v13, off
	s_or_b32 exec_lo, exec_lo, s3
	s_and_saveexec_b32 s0, s1
	s_cbranch_execz .LBB107_14
.LBB107_18:                             ;   in Loop: Header=BB107_4 Depth=1
	v_subrev_f32_e32 v12, s18, v12
	v_bfe_u32 v13, v12, 16, 1
	v_cmp_o_f32_e32 vcc_lo, v12, v12
	v_add3_u32 v12, v12, v13, 0x7fff
	v_cndmask_b32_sdwa v14, v11, v12, vcc_lo dst_sel:DWORD dst_unused:UNUSED_PAD src0_sel:DWORD src1_sel:WORD_1
	v_add_co_u32 v12, vcc_lo, v1, s19
	v_add_co_ci_u32_e64 v13, null, 0, v2, vcc_lo
	global_store_short v[12:13], v14, off
	s_or_b32 exec_lo, exec_lo, s0
	s_and_saveexec_b32 s0, s2
	s_cbranch_execz .LBB107_3
.LBB107_19:                             ;   in Loop: Header=BB107_4 Depth=1
	v_subrev_f32_e32 v12, s18, v15
	v_bfe_u32 v13, v12, 16, 1
	v_cmp_o_f32_e32 vcc_lo, v12, v12
	v_add3_u32 v12, v12, v13, 0x7fff
	v_cndmask_b32_sdwa v14, v11, v12, vcc_lo dst_sel:DWORD dst_unused:UNUSED_PAD src0_sel:DWORD src1_sel:WORD_1
	v_add_co_u32 v12, vcc_lo, v1, s21
	v_add_co_ci_u32_e64 v13, null, 0, v2, vcc_lo
	global_store_short v[12:13], v14, off
	s_branch .LBB107_3
.LBB107_20:
	s_cbranch_execz .LBB107_22
	s_branch .LBB107_25
.LBB107_21:
.LBB107_22:
	v_cmp_gt_i64_e64 s0, 0x10000, s[10:11]
	v_mov_b32_e32 v2, 0
	v_lshlrev_b32_e32 v1, 2, v0
	s_mov_b32 s1, 0
	s_and_b32 s0, s0, exec_lo
	s_cselect_b32 s3, s11, 0
	s_cselect_b32 s2, s10, 0x10000
	s_mov_b32 s0, exec_lo
	v_cmpx_gt_i64_e64 s[2:3], v[1:2]
	s_cbranch_execz .LBB107_25
; %bb.23:
	s_load_dword s0, s[4:5], 0xdd4
	v_mov_b32_e32 v1, v2
	v_lshlrev_b32_e32 v2, 3, v0
	s_waitcnt lgkmcnt(0)
	s_and_b32 s4, s0, 0xffff
	s_add_u32 s0, s6, s8
	s_addc_u32 s5, s7, s9
	v_add_co_u32 v2, s0, s0, v2
	v_add_co_ci_u32_e64 v3, null, s5, 0, s0
	s_lshl_b32 s5, s4, 3
.LBB107_24:                             ; =>This Inner Loop Header: Depth=1
	global_load_dwordx2 v[4:5], v[2:3], off
	v_add_co_u32 v0, vcc_lo, v0, s4
	v_add_co_ci_u32_e64 v1, null, 0, v1, vcc_lo
	s_waitcnt vmcnt(0)
	v_alignbit_b32 v6, v5, v4, 16
	v_lshlrev_b32_e32 v7, 16, v4
	v_and_b32_e32 v4, 0xffff0000, v4
	v_and_b32_e32 v5, 0xffff0000, v5
	;; [unrolled: 1-line block ×3, first 2 shown]
	v_subrev_f32_e32 v7, s18, v7
	v_subrev_f32_e32 v4, s18, v4
	;; [unrolled: 1-line block ×4, first 2 shown]
	v_bfe_u32 v8, v7, 16, 1
	v_bfe_u32 v9, v4, 16, 1
	v_bfe_u32 v10, v5, 16, 1
	v_cmp_o_f32_e32 vcc_lo, v4, v4
	v_bfe_u32 v11, v6, 16, 1
	v_add3_u32 v8, v7, v8, 0x7fff
	v_add3_u32 v9, v4, v9, 0x7fff
	;; [unrolled: 1-line block ×4, first 2 shown]
	v_lshrrev_b32_e32 v8, 16, v8
	v_and_b32_e32 v9, 0xffff0000, v9
	v_and_b32_e32 v10, 0xffff0000, v10
	v_lshrrev_b32_e32 v11, 16, v11
	v_cndmask_b32_e32 v4, 0x7fc00000, v9, vcc_lo
	v_cmp_o_f32_e32 vcc_lo, v7, v7
	v_cndmask_b32_e32 v7, 0x7fc0, v8, vcc_lo
	v_cmp_o_f32_e32 vcc_lo, v5, v5
	v_or_b32_e32 v9, v7, v4
	v_cndmask_b32_e32 v8, 0x7fc00000, v10, vcc_lo
	v_cmp_o_f32_e32 vcc_lo, v6, v6
	v_lshlrev_b64 v[4:5], 2, v[0:1]
	v_cndmask_b32_e32 v6, 0x7fc0, v11, vcc_lo
	v_cmp_le_i64_e32 vcc_lo, s[2:3], v[4:5]
	v_or3_b32 v7, 0, v6, v8
	v_or3_b32 v6, v9, 0, 0
	s_or_b32 s1, vcc_lo, s1
	global_store_dwordx2 v[2:3], v[6:7], off
	v_add_co_u32 v2, s0, v2, s5
	v_add_co_ci_u32_e64 v3, null, 0, v3, s0
	s_andn2_b32 exec_lo, exec_lo, s1
	s_cbranch_execnz .LBB107_24
.LBB107_25:
	s_endpgm
	.section	.rodata,"a",@progbits
	.p2align	6, 0x0
	.amdhsa_kernel _ZN2at6native12_GLOBAL__N_125multi_tensor_apply_kernelINS1_28TensorListScalarListMetadataIfLi1EEENS1_25BinaryOpScalarListFunctorIN3c108BFloat16ELi1ELi1ELi0EEEJSt5minusIfEEEEvT_T0_DpT1_
		.amdhsa_group_segment_fixed_size 0
		.amdhsa_private_segment_fixed_size 0
		.amdhsa_kernarg_size 3784
		.amdhsa_user_sgpr_count 6
		.amdhsa_user_sgpr_private_segment_buffer 1
		.amdhsa_user_sgpr_dispatch_ptr 0
		.amdhsa_user_sgpr_queue_ptr 0
		.amdhsa_user_sgpr_kernarg_segment_ptr 1
		.amdhsa_user_sgpr_dispatch_id 0
		.amdhsa_user_sgpr_flat_scratch_init 0
		.amdhsa_user_sgpr_private_segment_size 0
		.amdhsa_wavefront_size32 1
		.amdhsa_uses_dynamic_stack 0
		.amdhsa_system_sgpr_private_segment_wavefront_offset 0
		.amdhsa_system_sgpr_workgroup_id_x 1
		.amdhsa_system_sgpr_workgroup_id_y 0
		.amdhsa_system_sgpr_workgroup_id_z 0
		.amdhsa_system_sgpr_workgroup_info 0
		.amdhsa_system_vgpr_workitem_id 0
		.amdhsa_next_free_vgpr 17
		.amdhsa_next_free_sgpr 23
		.amdhsa_reserve_vcc 1
		.amdhsa_reserve_flat_scratch 0
		.amdhsa_float_round_mode_32 0
		.amdhsa_float_round_mode_16_64 0
		.amdhsa_float_denorm_mode_32 3
		.amdhsa_float_denorm_mode_16_64 3
		.amdhsa_dx10_clamp 1
		.amdhsa_ieee_mode 1
		.amdhsa_fp16_overflow 0
		.amdhsa_workgroup_processor_mode 1
		.amdhsa_memory_ordered 1
		.amdhsa_forward_progress 1
		.amdhsa_shared_vgpr_count 0
		.amdhsa_exception_fp_ieee_invalid_op 0
		.amdhsa_exception_fp_denorm_src 0
		.amdhsa_exception_fp_ieee_div_zero 0
		.amdhsa_exception_fp_ieee_overflow 0
		.amdhsa_exception_fp_ieee_underflow 0
		.amdhsa_exception_fp_ieee_inexact 0
		.amdhsa_exception_int_div_zero 0
	.end_amdhsa_kernel
	.section	.text._ZN2at6native12_GLOBAL__N_125multi_tensor_apply_kernelINS1_28TensorListScalarListMetadataIfLi1EEENS1_25BinaryOpScalarListFunctorIN3c108BFloat16ELi1ELi1ELi0EEEJSt5minusIfEEEEvT_T0_DpT1_,"axG",@progbits,_ZN2at6native12_GLOBAL__N_125multi_tensor_apply_kernelINS1_28TensorListScalarListMetadataIfLi1EEENS1_25BinaryOpScalarListFunctorIN3c108BFloat16ELi1ELi1ELi0EEEJSt5minusIfEEEEvT_T0_DpT1_,comdat
.Lfunc_end107:
	.size	_ZN2at6native12_GLOBAL__N_125multi_tensor_apply_kernelINS1_28TensorListScalarListMetadataIfLi1EEENS1_25BinaryOpScalarListFunctorIN3c108BFloat16ELi1ELi1ELi0EEEJSt5minusIfEEEEvT_T0_DpT1_, .Lfunc_end107-_ZN2at6native12_GLOBAL__N_125multi_tensor_apply_kernelINS1_28TensorListScalarListMetadataIfLi1EEENS1_25BinaryOpScalarListFunctorIN3c108BFloat16ELi1ELi1ELi0EEEJSt5minusIfEEEEvT_T0_DpT1_
                                        ; -- End function
	.set _ZN2at6native12_GLOBAL__N_125multi_tensor_apply_kernelINS1_28TensorListScalarListMetadataIfLi1EEENS1_25BinaryOpScalarListFunctorIN3c108BFloat16ELi1ELi1ELi0EEEJSt5minusIfEEEEvT_T0_DpT1_.num_vgpr, 17
	.set _ZN2at6native12_GLOBAL__N_125multi_tensor_apply_kernelINS1_28TensorListScalarListMetadataIfLi1EEENS1_25BinaryOpScalarListFunctorIN3c108BFloat16ELi1ELi1ELi0EEEJSt5minusIfEEEEvT_T0_DpT1_.num_agpr, 0
	.set _ZN2at6native12_GLOBAL__N_125multi_tensor_apply_kernelINS1_28TensorListScalarListMetadataIfLi1EEENS1_25BinaryOpScalarListFunctorIN3c108BFloat16ELi1ELi1ELi0EEEJSt5minusIfEEEEvT_T0_DpT1_.numbered_sgpr, 23
	.set _ZN2at6native12_GLOBAL__N_125multi_tensor_apply_kernelINS1_28TensorListScalarListMetadataIfLi1EEENS1_25BinaryOpScalarListFunctorIN3c108BFloat16ELi1ELi1ELi0EEEJSt5minusIfEEEEvT_T0_DpT1_.num_named_barrier, 0
	.set _ZN2at6native12_GLOBAL__N_125multi_tensor_apply_kernelINS1_28TensorListScalarListMetadataIfLi1EEENS1_25BinaryOpScalarListFunctorIN3c108BFloat16ELi1ELi1ELi0EEEJSt5minusIfEEEEvT_T0_DpT1_.private_seg_size, 0
	.set _ZN2at6native12_GLOBAL__N_125multi_tensor_apply_kernelINS1_28TensorListScalarListMetadataIfLi1EEENS1_25BinaryOpScalarListFunctorIN3c108BFloat16ELi1ELi1ELi0EEEJSt5minusIfEEEEvT_T0_DpT1_.uses_vcc, 1
	.set _ZN2at6native12_GLOBAL__N_125multi_tensor_apply_kernelINS1_28TensorListScalarListMetadataIfLi1EEENS1_25BinaryOpScalarListFunctorIN3c108BFloat16ELi1ELi1ELi0EEEJSt5minusIfEEEEvT_T0_DpT1_.uses_flat_scratch, 0
	.set _ZN2at6native12_GLOBAL__N_125multi_tensor_apply_kernelINS1_28TensorListScalarListMetadataIfLi1EEENS1_25BinaryOpScalarListFunctorIN3c108BFloat16ELi1ELi1ELi0EEEJSt5minusIfEEEEvT_T0_DpT1_.has_dyn_sized_stack, 0
	.set _ZN2at6native12_GLOBAL__N_125multi_tensor_apply_kernelINS1_28TensorListScalarListMetadataIfLi1EEENS1_25BinaryOpScalarListFunctorIN3c108BFloat16ELi1ELi1ELi0EEEJSt5minusIfEEEEvT_T0_DpT1_.has_recursion, 0
	.set _ZN2at6native12_GLOBAL__N_125multi_tensor_apply_kernelINS1_28TensorListScalarListMetadataIfLi1EEENS1_25BinaryOpScalarListFunctorIN3c108BFloat16ELi1ELi1ELi0EEEJSt5minusIfEEEEvT_T0_DpT1_.has_indirect_call, 0
	.section	.AMDGPU.csdata,"",@progbits
; Kernel info:
; codeLenInByte = 1460
; TotalNumSgprs: 25
; NumVgprs: 17
; ScratchSize: 0
; MemoryBound: 0
; FloatMode: 240
; IeeeMode: 1
; LDSByteSize: 0 bytes/workgroup (compile time only)
; SGPRBlocks: 0
; VGPRBlocks: 2
; NumSGPRsForWavesPerEU: 25
; NumVGPRsForWavesPerEU: 17
; Occupancy: 16
; WaveLimiterHint : 0
; COMPUTE_PGM_RSRC2:SCRATCH_EN: 0
; COMPUTE_PGM_RSRC2:USER_SGPR: 6
; COMPUTE_PGM_RSRC2:TRAP_HANDLER: 0
; COMPUTE_PGM_RSRC2:TGID_X_EN: 1
; COMPUTE_PGM_RSRC2:TGID_Y_EN: 0
; COMPUTE_PGM_RSRC2:TGID_Z_EN: 0
; COMPUTE_PGM_RSRC2:TIDIG_COMP_CNT: 0
	.section	.text._ZN2at6native12_GLOBAL__N_125multi_tensor_apply_kernelINS1_28TensorListScalarListMetadataIhLi2EEENS1_25BinaryOpScalarListFunctorIhLi2ELi1ELi1EEEJSt5minusIhEEEEvT_T0_DpT1_,"axG",@progbits,_ZN2at6native12_GLOBAL__N_125multi_tensor_apply_kernelINS1_28TensorListScalarListMetadataIhLi2EEENS1_25BinaryOpScalarListFunctorIhLi2ELi1ELi1EEEJSt5minusIhEEEEvT_T0_DpT1_,comdat
	.globl	_ZN2at6native12_GLOBAL__N_125multi_tensor_apply_kernelINS1_28TensorListScalarListMetadataIhLi2EEENS1_25BinaryOpScalarListFunctorIhLi2ELi1ELi1EEEJSt5minusIhEEEEvT_T0_DpT1_ ; -- Begin function _ZN2at6native12_GLOBAL__N_125multi_tensor_apply_kernelINS1_28TensorListScalarListMetadataIhLi2EEENS1_25BinaryOpScalarListFunctorIhLi2ELi1ELi1EEEJSt5minusIhEEEEvT_T0_DpT1_
	.p2align	8
	.type	_ZN2at6native12_GLOBAL__N_125multi_tensor_apply_kernelINS1_28TensorListScalarListMetadataIhLi2EEENS1_25BinaryOpScalarListFunctorIhLi2ELi1ELi1EEEJSt5minusIhEEEEvT_T0_DpT1_,@function
_ZN2at6native12_GLOBAL__N_125multi_tensor_apply_kernelINS1_28TensorListScalarListMetadataIhLi2EEENS1_25BinaryOpScalarListFunctorIhLi2ELi1ELi1EEEJSt5minusIhEEEEvT_T0_DpT1_: ; @_ZN2at6native12_GLOBAL__N_125multi_tensor_apply_kernelINS1_28TensorListScalarListMetadataIhLi2EEENS1_25BinaryOpScalarListFunctorIhLi2ELi1ELi1EEEJSt5minusIhEEEEvT_T0_DpT1_
; %bb.0:
	v_mov_b32_e32 v1, s6
	s_mul_i32 s2, s6, 3
	s_mul_hi_u32 s3, s6, 3
	global_load_ubyte v3, v1, s[4:5] offset:1600
	s_waitcnt vmcnt(0)
	v_add_co_u32 v1, s0, s4, v3
	v_add_co_ci_u32_e64 v2, null, s5, 0, s0
	s_add_u32 s0, s4, s6
	s_addc_u32 s1, s5, 0
	s_add_u32 s0, s0, s2
	global_load_ubyte v4, v[1:2], off offset:1536
	s_addc_u32 s1, s1, s3
	v_readfirstlane_b32 s2, v3
	s_load_dword s0, s[0:1], 0x780
	s_lshl_b32 s1, s2, 3
	s_clause 0x2
	s_load_dwordx2 s[6:7], s[4:5], s1 offset:0x0
	s_load_dwordx2 s[2:3], s[4:5], s1 offset:0x400
	;; [unrolled: 1-line block ×3, first 2 shown]
	s_waitcnt lgkmcnt(0)
	s_ashr_i32 s1, s0, 31
	s_lshl_b64 s[10:11], s[0:1], 16
	s_add_u32 s0, s6, s10
	s_sub_u32 s12, s2, s10
	s_subb_u32 s13, s3, s11
	s_or_b32 s1, s2, s8
	s_or_b32 s0, s1, s0
	s_and_b32 s0, s0, 3
	s_cmp_eq_u32 s0, 0
	s_mov_b32 s0, -1
	s_cbranch_scc1 .LBB108_21
; %bb.1:
	v_cmp_lt_i64_e64 s0, s[12:13], 1
	s_and_b32 vcc_lo, exec_lo, s0
	s_cbranch_vccnz .LBB108_20
; %bb.2:
	s_load_dword s0, s[4:5], 0xc94
	v_cmp_gt_i64_e64 s1, 0x10000, s[12:13]
	v_add_co_u32 v16, s2, s10, v0
	v_add_co_ci_u32_e64 v17, null, s11, 0, s2
	v_cmp_gt_u64_e64 s2, 0x10000, s[12:13]
	s_and_b32 s1, s1, exec_lo
	s_cselect_b32 s15, s13, 0
	s_cselect_b32 s14, s12, 0x10000
	v_add_co_u32 v1, vcc_lo, s6, v16
	v_add_co_ci_u32_e64 v2, null, s7, v17, vcc_lo
	v_add_co_u32 v3, vcc_lo, s8, v16
	v_add_co_ci_u32_e64 v5, null, s9, v17, vcc_lo
	s_waitcnt lgkmcnt(0)
	s_and_b32 s0, s0, 0xffff
	s_and_b32 s1, s2, exec_lo
	s_mul_i32 s2, s0, 3
	s_cselect_b32 s17, s13, 0
	s_cselect_b32 s16, s12, 0x10000
	s_lshl_b32 s1, s0, 1
	s_lshl_b32 s20, s0, 2
	s_add_u32 s3, s10, s2
	s_addc_u32 s18, s11, 0
	v_add_co_u32 v8, s3, s3, v0
	v_add_co_ci_u32_e64 v9, null, s18, 0, s3
	s_add_u32 s3, s10, s1
	s_addc_u32 s18, s11, 0
	v_add_co_u32 v14, s3, s3, v0
	v_add_co_u32 v6, vcc_lo, s6, v8
	v_add_co_ci_u32_e64 v15, null, s18, 0, s3
	v_add_co_ci_u32_e64 v7, null, s7, v9, vcc_lo
	v_add_co_u32 v8, vcc_lo, s8, v8
	v_add_co_ci_u32_e64 v9, null, s9, v9, vcc_lo
	v_add_co_u32 v12, vcc_lo, s6, v14
	;; [unrolled: 2-line block ×4, first 2 shown]
	v_add_co_ci_u32_e64 v21, null, 0, v17, vcc_lo
	v_add_co_u32 v10, s2, s2, v0
	v_add_co_u32 v18, vcc_lo, s6, v20
	v_add_co_u32 v16, s1, s1, v0
	v_add_co_ci_u32_e64 v19, null, s7, v21, vcc_lo
	v_add_co_u32 v20, vcc_lo, s8, v20
	v_add_co_u32 v22, s0, v0, s0
	v_add_co_ci_u32_e64 v11, null, 0, 0, s2
	v_add_co_ci_u32_e64 v17, null, 0, 0, s1
	v_add_co_ci_u32_e64 v21, null, s9, v21, vcc_lo
	v_add_co_ci_u32_e64 v23, null, 0, 0, s0
	s_mov_b64 s[18:19], 0
	s_branch .LBB108_4
.LBB108_3:                              ;   in Loop: Header=BB108_4 Depth=1
	s_or_b32 exec_lo, exec_lo, s0
	s_add_u32 s18, s18, s20
	s_addc_u32 s19, s19, 0
	v_cmp_lt_i64_e64 s0, s[18:19], s[14:15]
	s_and_b32 vcc_lo, exec_lo, s0
	s_cbranch_vccz .LBB108_20
.LBB108_4:                              ; =>This Inner Loop Header: Depth=1
	s_waitcnt vmcnt(0)
	v_add_co_u32 v24, s0, v0, s18
	v_add_co_ci_u32_e64 v25, null, 0, s19, s0
	v_cmp_gt_u64_e32 vcc_lo, s[16:17], v[24:25]
	v_mov_b32_e32 v25, 0
	s_and_saveexec_b32 s1, vcc_lo
	s_cbranch_execz .LBB108_6
; %bb.5:                                ;   in Loop: Header=BB108_4 Depth=1
	v_add_co_u32 v24, s0, v1, s18
	v_add_co_ci_u32_e64 v25, null, s19, v2, s0
	global_load_ubyte v25, v[24:25], off
.LBB108_6:                              ;   in Loop: Header=BB108_4 Depth=1
	s_or_b32 exec_lo, exec_lo, s1
	v_add_co_u32 v26, s0, v22, s18
	v_add_co_ci_u32_e64 v27, null, s19, v23, s0
	v_mov_b32_e32 v24, 0
	v_cmp_gt_u64_e64 s0, s[16:17], v[26:27]
	v_mov_b32_e32 v26, 0
	s_and_saveexec_b32 s2, s0
	s_cbranch_execz .LBB108_8
; %bb.7:                                ;   in Loop: Header=BB108_4 Depth=1
	v_add_co_u32 v26, s1, v18, s18
	v_add_co_ci_u32_e64 v27, null, s19, v19, s1
	global_load_ubyte v26, v[26:27], off
.LBB108_8:                              ;   in Loop: Header=BB108_4 Depth=1
	s_or_b32 exec_lo, exec_lo, s2
	v_add_co_u32 v27, s1, v16, s18
	v_add_co_ci_u32_e64 v28, null, s19, v17, s1
	v_cmp_gt_u64_e64 s1, s[16:17], v[27:28]
	s_and_saveexec_b32 s3, s1
	s_cbranch_execz .LBB108_10
; %bb.9:                                ;   in Loop: Header=BB108_4 Depth=1
	v_add_co_u32 v27, s2, v12, s18
	v_add_co_ci_u32_e64 v28, null, s19, v13, s2
	global_load_ubyte v24, v[27:28], off
.LBB108_10:                             ;   in Loop: Header=BB108_4 Depth=1
	s_or_b32 exec_lo, exec_lo, s3
	v_add_co_u32 v27, s2, v10, s18
	v_add_co_ci_u32_e64 v28, null, s19, v11, s2
	v_cmp_gt_u64_e64 s2, s[16:17], v[27:28]
	v_mov_b32_e32 v27, 0
	s_and_saveexec_b32 s21, s2
	s_cbranch_execnz .LBB108_15
; %bb.11:                               ;   in Loop: Header=BB108_4 Depth=1
	s_or_b32 exec_lo, exec_lo, s21
	s_and_saveexec_b32 s3, vcc_lo
	s_cbranch_execnz .LBB108_16
.LBB108_12:                             ;   in Loop: Header=BB108_4 Depth=1
	s_or_b32 exec_lo, exec_lo, s3
	s_and_saveexec_b32 s3, s0
	s_cbranch_execnz .LBB108_17
.LBB108_13:                             ;   in Loop: Header=BB108_4 Depth=1
	s_or_b32 exec_lo, exec_lo, s3
	s_and_saveexec_b32 s0, s1
	s_cbranch_execnz .LBB108_18
.LBB108_14:                             ;   in Loop: Header=BB108_4 Depth=1
	s_or_b32 exec_lo, exec_lo, s0
	s_and_saveexec_b32 s0, s2
	s_cbranch_execz .LBB108_3
	s_branch .LBB108_19
.LBB108_15:                             ;   in Loop: Header=BB108_4 Depth=1
	v_add_co_u32 v27, s3, v6, s18
	v_add_co_ci_u32_e64 v28, null, s19, v7, s3
	global_load_ubyte v27, v[27:28], off
	s_or_b32 exec_lo, exec_lo, s21
	s_and_saveexec_b32 s3, vcc_lo
	s_cbranch_execz .LBB108_12
.LBB108_16:                             ;   in Loop: Header=BB108_4 Depth=1
	v_add_co_u32 v28, vcc_lo, v3, s18
	s_waitcnt vmcnt(0)
	v_sub_nc_u16 v25, v25, v4
	v_add_co_ci_u32_e64 v29, null, s19, v5, vcc_lo
	global_store_byte v[28:29], v25, off
	s_or_b32 exec_lo, exec_lo, s3
	s_and_saveexec_b32 s3, s0
	s_cbranch_execz .LBB108_13
.LBB108_17:                             ;   in Loop: Header=BB108_4 Depth=1
	s_waitcnt vmcnt(0)
	v_add_co_u32 v25, vcc_lo, v20, s18
	v_sub_nc_u16 v28, v26, v4
	v_add_co_ci_u32_e64 v26, null, s19, v21, vcc_lo
	global_store_byte v[25:26], v28, off
	s_or_b32 exec_lo, exec_lo, s3
	s_and_saveexec_b32 s0, s1
	s_cbranch_execz .LBB108_14
.LBB108_18:                             ;   in Loop: Header=BB108_4 Depth=1
	s_waitcnt vmcnt(0)
	v_sub_nc_u16 v26, v24, v4
	v_add_co_u32 v24, vcc_lo, v14, s18
	v_add_co_ci_u32_e64 v25, null, s19, v15, vcc_lo
	global_store_byte v[24:25], v26, off
	s_or_b32 exec_lo, exec_lo, s0
	s_and_saveexec_b32 s0, s2
	s_cbranch_execz .LBB108_3
.LBB108_19:                             ;   in Loop: Header=BB108_4 Depth=1
	s_waitcnt vmcnt(0)
	v_add_co_u32 v24, vcc_lo, v8, s18
	v_sub_nc_u16 v26, v27, v4
	v_add_co_ci_u32_e64 v25, null, s19, v9, vcc_lo
	global_store_byte v[24:25], v26, off
	s_branch .LBB108_3
.LBB108_20:
	s_mov_b32 s0, 0
.LBB108_21:
	s_andn2_b32 vcc_lo, exec_lo, s0
	s_cbranch_vccnz .LBB108_25
; %bb.22:
	v_cmp_gt_i64_e64 s0, 0x10000, s[12:13]
	v_mov_b32_e32 v3, 0
	v_lshlrev_b32_e32 v2, 2, v0
	s_mov_b32 s1, 0
	s_and_b32 s0, s0, exec_lo
	s_cselect_b32 s3, s13, 0
	s_cselect_b32 s2, s12, 0x10000
	s_mov_b32 s0, exec_lo
	v_cmpx_gt_i64_e64 s[2:3], v[2:3]
	s_cbranch_execz .LBB108_25
; %bb.23:
	s_load_dword s0, s[4:5], 0xc94
	v_add_co_u32 v2, s4, s10, v2
	v_mov_b32_e32 v1, v3
	v_add_co_ci_u32_e64 v3, null, s11, 0, s4
	s_waitcnt lgkmcnt(0)
	s_and_b32 s4, s0, 0xffff
	s_lshl_b32 s5, s4, 2
	s_inst_prefetch 0x1
	.p2align	6
.LBB108_24:                             ; =>This Inner Loop Header: Depth=1
	v_add_co_u32 v5, vcc_lo, s6, v2
	v_add_co_ci_u32_e64 v6, null, s7, v3, vcc_lo
	v_add_co_u32 v0, vcc_lo, v0, s4
	v_add_co_ci_u32_e64 v1, null, 0, v1, vcc_lo
	global_load_dword v6, v[5:6], off
	v_add_co_u32 v5, vcc_lo, s8, v2
	v_lshlrev_b64 v[7:8], 2, v[0:1]
	v_add_co_u32 v2, s0, v2, s5
	s_waitcnt vmcnt(0)
	v_lshrrev_b32_e32 v9, 8, v6
	v_lshrrev_b32_e32 v10, 24, v6
	;; [unrolled: 1-line block ×3, first 2 shown]
	v_sub_nc_u16 v12, v6, v4
	v_add_co_ci_u32_e64 v6, null, s9, v3, vcc_lo
	v_sub_nc_u16 v9, v9, v4
	v_sub_nc_u16 v10, v10, v4
	;; [unrolled: 1-line block ×3, first 2 shown]
	v_cmp_le_i64_e32 vcc_lo, s[2:3], v[7:8]
	v_add_co_ci_u32_e64 v3, null, 0, v3, s0
	v_lshlrev_b16 v9, 8, v9
	v_lshlrev_b16 v10, 8, v10
	s_or_b32 s1, vcc_lo, s1
	v_or_b32_sdwa v9, v12, v9 dst_sel:DWORD dst_unused:UNUSED_PAD src0_sel:BYTE_0 src1_sel:DWORD
	v_or_b32_sdwa v10, v11, v10 dst_sel:WORD_1 dst_unused:UNUSED_PAD src0_sel:BYTE_0 src1_sel:DWORD
	v_or_b32_sdwa v7, v9, v10 dst_sel:DWORD dst_unused:UNUSED_PAD src0_sel:WORD_0 src1_sel:DWORD
	global_store_dword v[5:6], v7, off
	s_andn2_b32 exec_lo, exec_lo, s1
	s_cbranch_execnz .LBB108_24
.LBB108_25:
	s_inst_prefetch 0x2
	s_endpgm
	.section	.rodata,"a",@progbits
	.p2align	6, 0x0
	.amdhsa_kernel _ZN2at6native12_GLOBAL__N_125multi_tensor_apply_kernelINS1_28TensorListScalarListMetadataIhLi2EEENS1_25BinaryOpScalarListFunctorIhLi2ELi1ELi1EEEJSt5minusIhEEEEvT_T0_DpT1_
		.amdhsa_group_segment_fixed_size 0
		.amdhsa_private_segment_fixed_size 0
		.amdhsa_kernarg_size 3464
		.amdhsa_user_sgpr_count 6
		.amdhsa_user_sgpr_private_segment_buffer 1
		.amdhsa_user_sgpr_dispatch_ptr 0
		.amdhsa_user_sgpr_queue_ptr 0
		.amdhsa_user_sgpr_kernarg_segment_ptr 1
		.amdhsa_user_sgpr_dispatch_id 0
		.amdhsa_user_sgpr_flat_scratch_init 0
		.amdhsa_user_sgpr_private_segment_size 0
		.amdhsa_wavefront_size32 1
		.amdhsa_uses_dynamic_stack 0
		.amdhsa_system_sgpr_private_segment_wavefront_offset 0
		.amdhsa_system_sgpr_workgroup_id_x 1
		.amdhsa_system_sgpr_workgroup_id_y 0
		.amdhsa_system_sgpr_workgroup_id_z 0
		.amdhsa_system_sgpr_workgroup_info 0
		.amdhsa_system_vgpr_workitem_id 0
		.amdhsa_next_free_vgpr 30
		.amdhsa_next_free_sgpr 22
		.amdhsa_reserve_vcc 1
		.amdhsa_reserve_flat_scratch 0
		.amdhsa_float_round_mode_32 0
		.amdhsa_float_round_mode_16_64 0
		.amdhsa_float_denorm_mode_32 3
		.amdhsa_float_denorm_mode_16_64 3
		.amdhsa_dx10_clamp 1
		.amdhsa_ieee_mode 1
		.amdhsa_fp16_overflow 0
		.amdhsa_workgroup_processor_mode 1
		.amdhsa_memory_ordered 1
		.amdhsa_forward_progress 1
		.amdhsa_shared_vgpr_count 0
		.amdhsa_exception_fp_ieee_invalid_op 0
		.amdhsa_exception_fp_denorm_src 0
		.amdhsa_exception_fp_ieee_div_zero 0
		.amdhsa_exception_fp_ieee_overflow 0
		.amdhsa_exception_fp_ieee_underflow 0
		.amdhsa_exception_fp_ieee_inexact 0
		.amdhsa_exception_int_div_zero 0
	.end_amdhsa_kernel
	.section	.text._ZN2at6native12_GLOBAL__N_125multi_tensor_apply_kernelINS1_28TensorListScalarListMetadataIhLi2EEENS1_25BinaryOpScalarListFunctorIhLi2ELi1ELi1EEEJSt5minusIhEEEEvT_T0_DpT1_,"axG",@progbits,_ZN2at6native12_GLOBAL__N_125multi_tensor_apply_kernelINS1_28TensorListScalarListMetadataIhLi2EEENS1_25BinaryOpScalarListFunctorIhLi2ELi1ELi1EEEJSt5minusIhEEEEvT_T0_DpT1_,comdat
.Lfunc_end108:
	.size	_ZN2at6native12_GLOBAL__N_125multi_tensor_apply_kernelINS1_28TensorListScalarListMetadataIhLi2EEENS1_25BinaryOpScalarListFunctorIhLi2ELi1ELi1EEEJSt5minusIhEEEEvT_T0_DpT1_, .Lfunc_end108-_ZN2at6native12_GLOBAL__N_125multi_tensor_apply_kernelINS1_28TensorListScalarListMetadataIhLi2EEENS1_25BinaryOpScalarListFunctorIhLi2ELi1ELi1EEEJSt5minusIhEEEEvT_T0_DpT1_
                                        ; -- End function
	.set _ZN2at6native12_GLOBAL__N_125multi_tensor_apply_kernelINS1_28TensorListScalarListMetadataIhLi2EEENS1_25BinaryOpScalarListFunctorIhLi2ELi1ELi1EEEJSt5minusIhEEEEvT_T0_DpT1_.num_vgpr, 30
	.set _ZN2at6native12_GLOBAL__N_125multi_tensor_apply_kernelINS1_28TensorListScalarListMetadataIhLi2EEENS1_25BinaryOpScalarListFunctorIhLi2ELi1ELi1EEEJSt5minusIhEEEEvT_T0_DpT1_.num_agpr, 0
	.set _ZN2at6native12_GLOBAL__N_125multi_tensor_apply_kernelINS1_28TensorListScalarListMetadataIhLi2EEENS1_25BinaryOpScalarListFunctorIhLi2ELi1ELi1EEEJSt5minusIhEEEEvT_T0_DpT1_.numbered_sgpr, 22
	.set _ZN2at6native12_GLOBAL__N_125multi_tensor_apply_kernelINS1_28TensorListScalarListMetadataIhLi2EEENS1_25BinaryOpScalarListFunctorIhLi2ELi1ELi1EEEJSt5minusIhEEEEvT_T0_DpT1_.num_named_barrier, 0
	.set _ZN2at6native12_GLOBAL__N_125multi_tensor_apply_kernelINS1_28TensorListScalarListMetadataIhLi2EEENS1_25BinaryOpScalarListFunctorIhLi2ELi1ELi1EEEJSt5minusIhEEEEvT_T0_DpT1_.private_seg_size, 0
	.set _ZN2at6native12_GLOBAL__N_125multi_tensor_apply_kernelINS1_28TensorListScalarListMetadataIhLi2EEENS1_25BinaryOpScalarListFunctorIhLi2ELi1ELi1EEEJSt5minusIhEEEEvT_T0_DpT1_.uses_vcc, 1
	.set _ZN2at6native12_GLOBAL__N_125multi_tensor_apply_kernelINS1_28TensorListScalarListMetadataIhLi2EEENS1_25BinaryOpScalarListFunctorIhLi2ELi1ELi1EEEJSt5minusIhEEEEvT_T0_DpT1_.uses_flat_scratch, 0
	.set _ZN2at6native12_GLOBAL__N_125multi_tensor_apply_kernelINS1_28TensorListScalarListMetadataIhLi2EEENS1_25BinaryOpScalarListFunctorIhLi2ELi1ELi1EEEJSt5minusIhEEEEvT_T0_DpT1_.has_dyn_sized_stack, 0
	.set _ZN2at6native12_GLOBAL__N_125multi_tensor_apply_kernelINS1_28TensorListScalarListMetadataIhLi2EEENS1_25BinaryOpScalarListFunctorIhLi2ELi1ELi1EEEJSt5minusIhEEEEvT_T0_DpT1_.has_recursion, 0
	.set _ZN2at6native12_GLOBAL__N_125multi_tensor_apply_kernelINS1_28TensorListScalarListMetadataIhLi2EEENS1_25BinaryOpScalarListFunctorIhLi2ELi1ELi1EEEJSt5minusIhEEEEvT_T0_DpT1_.has_indirect_call, 0
	.section	.AMDGPU.csdata,"",@progbits
; Kernel info:
; codeLenInByte = 1416
; TotalNumSgprs: 24
; NumVgprs: 30
; ScratchSize: 0
; MemoryBound: 0
; FloatMode: 240
; IeeeMode: 1
; LDSByteSize: 0 bytes/workgroup (compile time only)
; SGPRBlocks: 0
; VGPRBlocks: 3
; NumSGPRsForWavesPerEU: 24
; NumVGPRsForWavesPerEU: 30
; Occupancy: 16
; WaveLimiterHint : 0
; COMPUTE_PGM_RSRC2:SCRATCH_EN: 0
; COMPUTE_PGM_RSRC2:USER_SGPR: 6
; COMPUTE_PGM_RSRC2:TRAP_HANDLER: 0
; COMPUTE_PGM_RSRC2:TGID_X_EN: 1
; COMPUTE_PGM_RSRC2:TGID_Y_EN: 0
; COMPUTE_PGM_RSRC2:TGID_Z_EN: 0
; COMPUTE_PGM_RSRC2:TIDIG_COMP_CNT: 0
	.section	.text._ZN2at6native12_GLOBAL__N_125multi_tensor_apply_kernelINS1_28TensorListScalarListMetadataIaLi2EEENS1_25BinaryOpScalarListFunctorIaLi2ELi1ELi1EEEJSt5minusIaEEEEvT_T0_DpT1_,"axG",@progbits,_ZN2at6native12_GLOBAL__N_125multi_tensor_apply_kernelINS1_28TensorListScalarListMetadataIaLi2EEENS1_25BinaryOpScalarListFunctorIaLi2ELi1ELi1EEEJSt5minusIaEEEEvT_T0_DpT1_,comdat
	.globl	_ZN2at6native12_GLOBAL__N_125multi_tensor_apply_kernelINS1_28TensorListScalarListMetadataIaLi2EEENS1_25BinaryOpScalarListFunctorIaLi2ELi1ELi1EEEJSt5minusIaEEEEvT_T0_DpT1_ ; -- Begin function _ZN2at6native12_GLOBAL__N_125multi_tensor_apply_kernelINS1_28TensorListScalarListMetadataIaLi2EEENS1_25BinaryOpScalarListFunctorIaLi2ELi1ELi1EEEJSt5minusIaEEEEvT_T0_DpT1_
	.p2align	8
	.type	_ZN2at6native12_GLOBAL__N_125multi_tensor_apply_kernelINS1_28TensorListScalarListMetadataIaLi2EEENS1_25BinaryOpScalarListFunctorIaLi2ELi1ELi1EEEJSt5minusIaEEEEvT_T0_DpT1_,@function
_ZN2at6native12_GLOBAL__N_125multi_tensor_apply_kernelINS1_28TensorListScalarListMetadataIaLi2EEENS1_25BinaryOpScalarListFunctorIaLi2ELi1ELi1EEEJSt5minusIaEEEEvT_T0_DpT1_: ; @_ZN2at6native12_GLOBAL__N_125multi_tensor_apply_kernelINS1_28TensorListScalarListMetadataIaLi2EEENS1_25BinaryOpScalarListFunctorIaLi2ELi1ELi1EEEJSt5minusIaEEEEvT_T0_DpT1_
; %bb.0:
	v_mov_b32_e32 v1, s6
	s_mul_i32 s2, s6, 3
	s_mul_hi_u32 s3, s6, 3
	global_load_ubyte v3, v1, s[4:5] offset:1600
	s_waitcnt vmcnt(0)
	v_add_co_u32 v1, s0, s4, v3
	v_add_co_ci_u32_e64 v2, null, s5, 0, s0
	s_add_u32 s0, s4, s6
	s_addc_u32 s1, s5, 0
	s_add_u32 s0, s0, s2
	global_load_ubyte v4, v[1:2], off offset:1536
	s_addc_u32 s1, s1, s3
	v_readfirstlane_b32 s2, v3
	s_load_dword s0, s[0:1], 0x780
	s_lshl_b32 s1, s2, 3
	s_clause 0x2
	s_load_dwordx2 s[6:7], s[4:5], s1 offset:0x0
	s_load_dwordx2 s[2:3], s[4:5], s1 offset:0x400
	;; [unrolled: 1-line block ×3, first 2 shown]
	s_waitcnt lgkmcnt(0)
	s_ashr_i32 s1, s0, 31
	s_lshl_b64 s[10:11], s[0:1], 16
	s_add_u32 s0, s6, s10
	s_sub_u32 s12, s2, s10
	s_subb_u32 s13, s3, s11
	s_or_b32 s1, s2, s8
	s_or_b32 s0, s1, s0
	s_and_b32 s0, s0, 3
	s_cmp_eq_u32 s0, 0
	s_mov_b32 s0, -1
	s_cbranch_scc1 .LBB109_21
; %bb.1:
	v_cmp_lt_i64_e64 s0, s[12:13], 1
	s_and_b32 vcc_lo, exec_lo, s0
	s_cbranch_vccnz .LBB109_20
; %bb.2:
	s_load_dword s0, s[4:5], 0xc94
	v_cmp_gt_i64_e64 s1, 0x10000, s[12:13]
	v_add_co_u32 v16, s2, s10, v0
	v_add_co_ci_u32_e64 v17, null, s11, 0, s2
	v_cmp_gt_u64_e64 s2, 0x10000, s[12:13]
	s_and_b32 s1, s1, exec_lo
	s_cselect_b32 s15, s13, 0
	s_cselect_b32 s14, s12, 0x10000
	v_add_co_u32 v1, vcc_lo, s6, v16
	v_add_co_ci_u32_e64 v2, null, s7, v17, vcc_lo
	v_add_co_u32 v3, vcc_lo, s8, v16
	v_add_co_ci_u32_e64 v5, null, s9, v17, vcc_lo
	s_waitcnt lgkmcnt(0)
	s_and_b32 s0, s0, 0xffff
	s_and_b32 s1, s2, exec_lo
	s_mul_i32 s2, s0, 3
	s_cselect_b32 s17, s13, 0
	s_cselect_b32 s16, s12, 0x10000
	s_lshl_b32 s1, s0, 1
	s_lshl_b32 s20, s0, 2
	s_add_u32 s3, s10, s2
	s_addc_u32 s18, s11, 0
	v_add_co_u32 v8, s3, s3, v0
	v_add_co_ci_u32_e64 v9, null, s18, 0, s3
	s_add_u32 s3, s10, s1
	s_addc_u32 s18, s11, 0
	v_add_co_u32 v14, s3, s3, v0
	v_add_co_u32 v6, vcc_lo, s6, v8
	v_add_co_ci_u32_e64 v15, null, s18, 0, s3
	v_add_co_ci_u32_e64 v7, null, s7, v9, vcc_lo
	v_add_co_u32 v8, vcc_lo, s8, v8
	v_add_co_ci_u32_e64 v9, null, s9, v9, vcc_lo
	v_add_co_u32 v12, vcc_lo, s6, v14
	;; [unrolled: 2-line block ×4, first 2 shown]
	v_add_co_ci_u32_e64 v21, null, 0, v17, vcc_lo
	v_add_co_u32 v10, s2, s2, v0
	v_add_co_u32 v18, vcc_lo, s6, v20
	v_add_co_u32 v16, s1, s1, v0
	v_add_co_ci_u32_e64 v19, null, s7, v21, vcc_lo
	v_add_co_u32 v20, vcc_lo, s8, v20
	v_add_co_u32 v22, s0, v0, s0
	v_add_co_ci_u32_e64 v11, null, 0, 0, s2
	v_add_co_ci_u32_e64 v17, null, 0, 0, s1
	v_add_co_ci_u32_e64 v21, null, s9, v21, vcc_lo
	v_add_co_ci_u32_e64 v23, null, 0, 0, s0
	s_mov_b64 s[18:19], 0
	s_branch .LBB109_4
.LBB109_3:                              ;   in Loop: Header=BB109_4 Depth=1
	s_or_b32 exec_lo, exec_lo, s0
	s_add_u32 s18, s18, s20
	s_addc_u32 s19, s19, 0
	v_cmp_lt_i64_e64 s0, s[18:19], s[14:15]
	s_and_b32 vcc_lo, exec_lo, s0
	s_cbranch_vccz .LBB109_20
.LBB109_4:                              ; =>This Inner Loop Header: Depth=1
	s_waitcnt vmcnt(0)
	v_add_co_u32 v24, s0, v0, s18
	v_add_co_ci_u32_e64 v25, null, 0, s19, s0
	v_cmp_gt_u64_e32 vcc_lo, s[16:17], v[24:25]
	v_mov_b32_e32 v25, 0
	s_and_saveexec_b32 s1, vcc_lo
	s_cbranch_execz .LBB109_6
; %bb.5:                                ;   in Loop: Header=BB109_4 Depth=1
	v_add_co_u32 v24, s0, v1, s18
	v_add_co_ci_u32_e64 v25, null, s19, v2, s0
	global_load_ubyte v25, v[24:25], off
.LBB109_6:                              ;   in Loop: Header=BB109_4 Depth=1
	s_or_b32 exec_lo, exec_lo, s1
	v_add_co_u32 v26, s0, v22, s18
	v_add_co_ci_u32_e64 v27, null, s19, v23, s0
	v_mov_b32_e32 v24, 0
	v_cmp_gt_u64_e64 s0, s[16:17], v[26:27]
	v_mov_b32_e32 v26, 0
	s_and_saveexec_b32 s2, s0
	s_cbranch_execz .LBB109_8
; %bb.7:                                ;   in Loop: Header=BB109_4 Depth=1
	v_add_co_u32 v26, s1, v18, s18
	v_add_co_ci_u32_e64 v27, null, s19, v19, s1
	global_load_ubyte v26, v[26:27], off
.LBB109_8:                              ;   in Loop: Header=BB109_4 Depth=1
	s_or_b32 exec_lo, exec_lo, s2
	v_add_co_u32 v27, s1, v16, s18
	v_add_co_ci_u32_e64 v28, null, s19, v17, s1
	v_cmp_gt_u64_e64 s1, s[16:17], v[27:28]
	s_and_saveexec_b32 s3, s1
	s_cbranch_execz .LBB109_10
; %bb.9:                                ;   in Loop: Header=BB109_4 Depth=1
	v_add_co_u32 v27, s2, v12, s18
	v_add_co_ci_u32_e64 v28, null, s19, v13, s2
	global_load_ubyte v24, v[27:28], off
.LBB109_10:                             ;   in Loop: Header=BB109_4 Depth=1
	s_or_b32 exec_lo, exec_lo, s3
	v_add_co_u32 v27, s2, v10, s18
	v_add_co_ci_u32_e64 v28, null, s19, v11, s2
	v_cmp_gt_u64_e64 s2, s[16:17], v[27:28]
	v_mov_b32_e32 v27, 0
	s_and_saveexec_b32 s21, s2
	s_cbranch_execnz .LBB109_15
; %bb.11:                               ;   in Loop: Header=BB109_4 Depth=1
	s_or_b32 exec_lo, exec_lo, s21
	s_and_saveexec_b32 s3, vcc_lo
	s_cbranch_execnz .LBB109_16
.LBB109_12:                             ;   in Loop: Header=BB109_4 Depth=1
	s_or_b32 exec_lo, exec_lo, s3
	s_and_saveexec_b32 s3, s0
	s_cbranch_execnz .LBB109_17
.LBB109_13:                             ;   in Loop: Header=BB109_4 Depth=1
	s_or_b32 exec_lo, exec_lo, s3
	s_and_saveexec_b32 s0, s1
	s_cbranch_execnz .LBB109_18
.LBB109_14:                             ;   in Loop: Header=BB109_4 Depth=1
	s_or_b32 exec_lo, exec_lo, s0
	s_and_saveexec_b32 s0, s2
	s_cbranch_execz .LBB109_3
	s_branch .LBB109_19
.LBB109_15:                             ;   in Loop: Header=BB109_4 Depth=1
	v_add_co_u32 v27, s3, v6, s18
	v_add_co_ci_u32_e64 v28, null, s19, v7, s3
	global_load_ubyte v27, v[27:28], off
	s_or_b32 exec_lo, exec_lo, s21
	s_and_saveexec_b32 s3, vcc_lo
	s_cbranch_execz .LBB109_12
.LBB109_16:                             ;   in Loop: Header=BB109_4 Depth=1
	v_add_co_u32 v28, vcc_lo, v3, s18
	s_waitcnt vmcnt(0)
	v_sub_nc_u16 v25, v25, v4
	v_add_co_ci_u32_e64 v29, null, s19, v5, vcc_lo
	global_store_byte v[28:29], v25, off
	s_or_b32 exec_lo, exec_lo, s3
	s_and_saveexec_b32 s3, s0
	s_cbranch_execz .LBB109_13
.LBB109_17:                             ;   in Loop: Header=BB109_4 Depth=1
	s_waitcnt vmcnt(0)
	v_add_co_u32 v25, vcc_lo, v20, s18
	v_sub_nc_u16 v28, v26, v4
	v_add_co_ci_u32_e64 v26, null, s19, v21, vcc_lo
	global_store_byte v[25:26], v28, off
	s_or_b32 exec_lo, exec_lo, s3
	s_and_saveexec_b32 s0, s1
	s_cbranch_execz .LBB109_14
.LBB109_18:                             ;   in Loop: Header=BB109_4 Depth=1
	s_waitcnt vmcnt(0)
	v_sub_nc_u16 v26, v24, v4
	v_add_co_u32 v24, vcc_lo, v14, s18
	v_add_co_ci_u32_e64 v25, null, s19, v15, vcc_lo
	global_store_byte v[24:25], v26, off
	s_or_b32 exec_lo, exec_lo, s0
	s_and_saveexec_b32 s0, s2
	s_cbranch_execz .LBB109_3
.LBB109_19:                             ;   in Loop: Header=BB109_4 Depth=1
	s_waitcnt vmcnt(0)
	v_add_co_u32 v24, vcc_lo, v8, s18
	v_sub_nc_u16 v26, v27, v4
	v_add_co_ci_u32_e64 v25, null, s19, v9, vcc_lo
	global_store_byte v[24:25], v26, off
	s_branch .LBB109_3
.LBB109_20:
	s_mov_b32 s0, 0
.LBB109_21:
	s_andn2_b32 vcc_lo, exec_lo, s0
	s_cbranch_vccnz .LBB109_25
; %bb.22:
	v_cmp_gt_i64_e64 s0, 0x10000, s[12:13]
	v_mov_b32_e32 v3, 0
	v_lshlrev_b32_e32 v2, 2, v0
	s_mov_b32 s1, 0
	s_and_b32 s0, s0, exec_lo
	s_cselect_b32 s3, s13, 0
	s_cselect_b32 s2, s12, 0x10000
	s_mov_b32 s0, exec_lo
	v_cmpx_gt_i64_e64 s[2:3], v[2:3]
	s_cbranch_execz .LBB109_25
; %bb.23:
	s_load_dword s0, s[4:5], 0xc94
	v_add_co_u32 v2, s4, s10, v2
	v_mov_b32_e32 v1, v3
	v_add_co_ci_u32_e64 v3, null, s11, 0, s4
	s_waitcnt lgkmcnt(0)
	s_and_b32 s4, s0, 0xffff
	s_lshl_b32 s5, s4, 2
	s_inst_prefetch 0x1
	.p2align	6
.LBB109_24:                             ; =>This Inner Loop Header: Depth=1
	v_add_co_u32 v5, vcc_lo, s6, v2
	v_add_co_ci_u32_e64 v6, null, s7, v3, vcc_lo
	v_add_co_u32 v0, vcc_lo, v0, s4
	v_add_co_ci_u32_e64 v1, null, 0, v1, vcc_lo
	global_load_dword v6, v[5:6], off
	v_add_co_u32 v5, vcc_lo, s8, v2
	v_lshlrev_b64 v[7:8], 2, v[0:1]
	v_add_co_u32 v2, s0, v2, s5
	s_waitcnt vmcnt(0)
	v_lshrrev_b32_e32 v9, 8, v6
	v_lshrrev_b32_e32 v10, 24, v6
	;; [unrolled: 1-line block ×3, first 2 shown]
	v_sub_nc_u16 v12, v6, v4
	v_add_co_ci_u32_e64 v6, null, s9, v3, vcc_lo
	v_sub_nc_u16 v9, v9, v4
	v_sub_nc_u16 v10, v10, v4
	;; [unrolled: 1-line block ×3, first 2 shown]
	v_cmp_le_i64_e32 vcc_lo, s[2:3], v[7:8]
	v_add_co_ci_u32_e64 v3, null, 0, v3, s0
	v_lshlrev_b16 v9, 8, v9
	v_lshlrev_b16 v10, 8, v10
	s_or_b32 s1, vcc_lo, s1
	v_or_b32_sdwa v9, v12, v9 dst_sel:DWORD dst_unused:UNUSED_PAD src0_sel:BYTE_0 src1_sel:DWORD
	v_or_b32_sdwa v10, v11, v10 dst_sel:WORD_1 dst_unused:UNUSED_PAD src0_sel:BYTE_0 src1_sel:DWORD
	v_or_b32_sdwa v7, v9, v10 dst_sel:DWORD dst_unused:UNUSED_PAD src0_sel:WORD_0 src1_sel:DWORD
	global_store_dword v[5:6], v7, off
	s_andn2_b32 exec_lo, exec_lo, s1
	s_cbranch_execnz .LBB109_24
.LBB109_25:
	s_inst_prefetch 0x2
	s_endpgm
	.section	.rodata,"a",@progbits
	.p2align	6, 0x0
	.amdhsa_kernel _ZN2at6native12_GLOBAL__N_125multi_tensor_apply_kernelINS1_28TensorListScalarListMetadataIaLi2EEENS1_25BinaryOpScalarListFunctorIaLi2ELi1ELi1EEEJSt5minusIaEEEEvT_T0_DpT1_
		.amdhsa_group_segment_fixed_size 0
		.amdhsa_private_segment_fixed_size 0
		.amdhsa_kernarg_size 3464
		.amdhsa_user_sgpr_count 6
		.amdhsa_user_sgpr_private_segment_buffer 1
		.amdhsa_user_sgpr_dispatch_ptr 0
		.amdhsa_user_sgpr_queue_ptr 0
		.amdhsa_user_sgpr_kernarg_segment_ptr 1
		.amdhsa_user_sgpr_dispatch_id 0
		.amdhsa_user_sgpr_flat_scratch_init 0
		.amdhsa_user_sgpr_private_segment_size 0
		.amdhsa_wavefront_size32 1
		.amdhsa_uses_dynamic_stack 0
		.amdhsa_system_sgpr_private_segment_wavefront_offset 0
		.amdhsa_system_sgpr_workgroup_id_x 1
		.amdhsa_system_sgpr_workgroup_id_y 0
		.amdhsa_system_sgpr_workgroup_id_z 0
		.amdhsa_system_sgpr_workgroup_info 0
		.amdhsa_system_vgpr_workitem_id 0
		.amdhsa_next_free_vgpr 30
		.amdhsa_next_free_sgpr 22
		.amdhsa_reserve_vcc 1
		.amdhsa_reserve_flat_scratch 0
		.amdhsa_float_round_mode_32 0
		.amdhsa_float_round_mode_16_64 0
		.amdhsa_float_denorm_mode_32 3
		.amdhsa_float_denorm_mode_16_64 3
		.amdhsa_dx10_clamp 1
		.amdhsa_ieee_mode 1
		.amdhsa_fp16_overflow 0
		.amdhsa_workgroup_processor_mode 1
		.amdhsa_memory_ordered 1
		.amdhsa_forward_progress 1
		.amdhsa_shared_vgpr_count 0
		.amdhsa_exception_fp_ieee_invalid_op 0
		.amdhsa_exception_fp_denorm_src 0
		.amdhsa_exception_fp_ieee_div_zero 0
		.amdhsa_exception_fp_ieee_overflow 0
		.amdhsa_exception_fp_ieee_underflow 0
		.amdhsa_exception_fp_ieee_inexact 0
		.amdhsa_exception_int_div_zero 0
	.end_amdhsa_kernel
	.section	.text._ZN2at6native12_GLOBAL__N_125multi_tensor_apply_kernelINS1_28TensorListScalarListMetadataIaLi2EEENS1_25BinaryOpScalarListFunctorIaLi2ELi1ELi1EEEJSt5minusIaEEEEvT_T0_DpT1_,"axG",@progbits,_ZN2at6native12_GLOBAL__N_125multi_tensor_apply_kernelINS1_28TensorListScalarListMetadataIaLi2EEENS1_25BinaryOpScalarListFunctorIaLi2ELi1ELi1EEEJSt5minusIaEEEEvT_T0_DpT1_,comdat
.Lfunc_end109:
	.size	_ZN2at6native12_GLOBAL__N_125multi_tensor_apply_kernelINS1_28TensorListScalarListMetadataIaLi2EEENS1_25BinaryOpScalarListFunctorIaLi2ELi1ELi1EEEJSt5minusIaEEEEvT_T0_DpT1_, .Lfunc_end109-_ZN2at6native12_GLOBAL__N_125multi_tensor_apply_kernelINS1_28TensorListScalarListMetadataIaLi2EEENS1_25BinaryOpScalarListFunctorIaLi2ELi1ELi1EEEJSt5minusIaEEEEvT_T0_DpT1_
                                        ; -- End function
	.set _ZN2at6native12_GLOBAL__N_125multi_tensor_apply_kernelINS1_28TensorListScalarListMetadataIaLi2EEENS1_25BinaryOpScalarListFunctorIaLi2ELi1ELi1EEEJSt5minusIaEEEEvT_T0_DpT1_.num_vgpr, 30
	.set _ZN2at6native12_GLOBAL__N_125multi_tensor_apply_kernelINS1_28TensorListScalarListMetadataIaLi2EEENS1_25BinaryOpScalarListFunctorIaLi2ELi1ELi1EEEJSt5minusIaEEEEvT_T0_DpT1_.num_agpr, 0
	.set _ZN2at6native12_GLOBAL__N_125multi_tensor_apply_kernelINS1_28TensorListScalarListMetadataIaLi2EEENS1_25BinaryOpScalarListFunctorIaLi2ELi1ELi1EEEJSt5minusIaEEEEvT_T0_DpT1_.numbered_sgpr, 22
	.set _ZN2at6native12_GLOBAL__N_125multi_tensor_apply_kernelINS1_28TensorListScalarListMetadataIaLi2EEENS1_25BinaryOpScalarListFunctorIaLi2ELi1ELi1EEEJSt5minusIaEEEEvT_T0_DpT1_.num_named_barrier, 0
	.set _ZN2at6native12_GLOBAL__N_125multi_tensor_apply_kernelINS1_28TensorListScalarListMetadataIaLi2EEENS1_25BinaryOpScalarListFunctorIaLi2ELi1ELi1EEEJSt5minusIaEEEEvT_T0_DpT1_.private_seg_size, 0
	.set _ZN2at6native12_GLOBAL__N_125multi_tensor_apply_kernelINS1_28TensorListScalarListMetadataIaLi2EEENS1_25BinaryOpScalarListFunctorIaLi2ELi1ELi1EEEJSt5minusIaEEEEvT_T0_DpT1_.uses_vcc, 1
	.set _ZN2at6native12_GLOBAL__N_125multi_tensor_apply_kernelINS1_28TensorListScalarListMetadataIaLi2EEENS1_25BinaryOpScalarListFunctorIaLi2ELi1ELi1EEEJSt5minusIaEEEEvT_T0_DpT1_.uses_flat_scratch, 0
	.set _ZN2at6native12_GLOBAL__N_125multi_tensor_apply_kernelINS1_28TensorListScalarListMetadataIaLi2EEENS1_25BinaryOpScalarListFunctorIaLi2ELi1ELi1EEEJSt5minusIaEEEEvT_T0_DpT1_.has_dyn_sized_stack, 0
	.set _ZN2at6native12_GLOBAL__N_125multi_tensor_apply_kernelINS1_28TensorListScalarListMetadataIaLi2EEENS1_25BinaryOpScalarListFunctorIaLi2ELi1ELi1EEEJSt5minusIaEEEEvT_T0_DpT1_.has_recursion, 0
	.set _ZN2at6native12_GLOBAL__N_125multi_tensor_apply_kernelINS1_28TensorListScalarListMetadataIaLi2EEENS1_25BinaryOpScalarListFunctorIaLi2ELi1ELi1EEEJSt5minusIaEEEEvT_T0_DpT1_.has_indirect_call, 0
	.section	.AMDGPU.csdata,"",@progbits
; Kernel info:
; codeLenInByte = 1416
; TotalNumSgprs: 24
; NumVgprs: 30
; ScratchSize: 0
; MemoryBound: 0
; FloatMode: 240
; IeeeMode: 1
; LDSByteSize: 0 bytes/workgroup (compile time only)
; SGPRBlocks: 0
; VGPRBlocks: 3
; NumSGPRsForWavesPerEU: 24
; NumVGPRsForWavesPerEU: 30
; Occupancy: 16
; WaveLimiterHint : 0
; COMPUTE_PGM_RSRC2:SCRATCH_EN: 0
; COMPUTE_PGM_RSRC2:USER_SGPR: 6
; COMPUTE_PGM_RSRC2:TRAP_HANDLER: 0
; COMPUTE_PGM_RSRC2:TGID_X_EN: 1
; COMPUTE_PGM_RSRC2:TGID_Y_EN: 0
; COMPUTE_PGM_RSRC2:TGID_Z_EN: 0
; COMPUTE_PGM_RSRC2:TIDIG_COMP_CNT: 0
	.section	.text._ZN2at6native12_GLOBAL__N_125multi_tensor_apply_kernelINS1_28TensorListScalarListMetadataIiLi2EEENS1_25BinaryOpScalarListFunctorIiLi2ELi1ELi1EEEJSt5minusIiEEEEvT_T0_DpT1_,"axG",@progbits,_ZN2at6native12_GLOBAL__N_125multi_tensor_apply_kernelINS1_28TensorListScalarListMetadataIiLi2EEENS1_25BinaryOpScalarListFunctorIiLi2ELi1ELi1EEEJSt5minusIiEEEEvT_T0_DpT1_,comdat
	.globl	_ZN2at6native12_GLOBAL__N_125multi_tensor_apply_kernelINS1_28TensorListScalarListMetadataIiLi2EEENS1_25BinaryOpScalarListFunctorIiLi2ELi1ELi1EEEJSt5minusIiEEEEvT_T0_DpT1_ ; -- Begin function _ZN2at6native12_GLOBAL__N_125multi_tensor_apply_kernelINS1_28TensorListScalarListMetadataIiLi2EEENS1_25BinaryOpScalarListFunctorIiLi2ELi1ELi1EEEJSt5minusIiEEEEvT_T0_DpT1_
	.p2align	8
	.type	_ZN2at6native12_GLOBAL__N_125multi_tensor_apply_kernelINS1_28TensorListScalarListMetadataIiLi2EEENS1_25BinaryOpScalarListFunctorIiLi2ELi1ELi1EEEJSt5minusIiEEEEvT_T0_DpT1_,@function
_ZN2at6native12_GLOBAL__N_125multi_tensor_apply_kernelINS1_28TensorListScalarListMetadataIiLi2EEENS1_25BinaryOpScalarListFunctorIiLi2ELi1ELi1EEEJSt5minusIiEEEEvT_T0_DpT1_: ; @_ZN2at6native12_GLOBAL__N_125multi_tensor_apply_kernelINS1_28TensorListScalarListMetadataIiLi2EEENS1_25BinaryOpScalarListFunctorIiLi2ELi1ELi1EEEJSt5minusIiEEEEvT_T0_DpT1_
; %bb.0:
	v_mov_b32_e32 v1, s6
	s_add_u32 s0, s4, s6
	s_mul_hi_u32 s1, s6, 3
	s_mul_i32 s6, s6, 3
	s_addc_u32 s2, s5, 0
	global_load_ubyte v1, v1, s[4:5] offset:1792
	s_add_u32 s0, s0, s6
	s_addc_u32 s1, s2, s1
	s_mov_b32 s15, 0
	s_load_dword s0, s[0:1], 0x840
	s_mov_b32 s17, s15
	s_waitcnt vmcnt(0)
	v_readfirstlane_b32 s1, v1
	v_lshlrev_b32_e32 v1, 2, v1
	s_lshl_b32 s10, s1, 3
	v_sub_co_u32 v1, s1, 0, v1
	v_sub_co_ci_u32_e64 v2, null, 0, 0, s1
	s_waitcnt lgkmcnt(0)
	s_ashr_i32 s1, s0, 31
	s_clause 0x2
	s_load_dwordx2 s[2:3], s[4:5], s10 offset:0x400
	s_load_dwordx2 s[6:7], s[4:5], s10 offset:0x0
	;; [unrolled: 1-line block ×3, first 2 shown]
	s_add_u32 s10, s4, s10
	s_addc_u32 s11, s5, 0
	v_add_co_u32 v1, vcc_lo, s10, v1
	v_add_co_ci_u32_e64 v2, null, s11, v2, vcc_lo
	v_readfirstlane_b32 s10, v1
	v_readfirstlane_b32 s11, v2
	s_load_dword s20, s[10:11], 0x600
	s_lshl_b64 s[10:11], s[0:1], 18
	s_lshl_b64 s[0:1], s[0:1], 16
	s_waitcnt lgkmcnt(0)
	s_add_u32 s12, s6, s10
	s_and_b32 s16, s8, 15
	s_and_b32 s14, s12, 15
	s_sub_u32 s12, s2, s0
	s_subb_u32 s13, s3, s1
	s_and_b32 s0, s2, 3
	s_mov_b32 s1, s15
	s_or_b64 s[0:1], s[16:17], s[0:1]
	s_or_b64 s[0:1], s[0:1], s[14:15]
	s_cmp_eq_u64 s[0:1], 0
	s_mov_b32 s0, -1
	s_cbranch_scc1 .LBB110_21
; %bb.1:
	v_cmp_lt_i64_e64 s0, s[12:13], 1
	s_and_b32 vcc_lo, exec_lo, s0
	s_cbranch_vccnz .LBB110_20
; %bb.2:
	s_load_dword s0, s[4:5], 0xd54
	v_cmp_gt_i64_e64 s1, 0x10000, s[12:13]
	v_lshlrev_b32_e32 v9, 2, v0
	v_cmp_gt_u64_e64 s2, 0x10000, s[12:13]
	v_mov_b32_e32 v10, 0
	s_mov_b64 s[18:19], 0
	s_and_b32 s1, s1, exec_lo
	v_add_co_u32 v3, s1, s8, v9
	v_add_co_u32 v1, s3, s6, v9
	s_cselect_b32 s15, s13, 0
	s_cselect_b32 s14, s12, 0x10000
	v_add_co_ci_u32_e64 v4, null, s9, 0, s1
	v_add_co_ci_u32_e64 v2, null, s7, 0, s3
	s_waitcnt lgkmcnt(0)
	s_and_b32 s0, s0, 0xffff
	s_and_b32 s1, s2, exec_lo
	s_cselect_b32 s17, s13, 0
	s_cselect_b32 s16, s12, 0x10000
	s_mul_i32 s2, s0, 3
	s_lshl_b32 s3, s0, 3
	v_mad_u64_u32 v[7:8], null, s0, 12, v[9:10]
	v_add_co_u32 v14, s3, s3, v9
	v_add_co_u32 v9, s2, s2, v0
	v_add_co_ci_u32_e64 v10, null, 0, 0, s2
	v_add_co_u32 v13, s2, v0, s0
	s_lshl_b32 s1, s0, 1
	v_add_co_u32 v5, vcc_lo, s6, v7
	v_lshlrev_b32_e32 v21, 2, v13
	v_add_co_ci_u32_e64 v15, null, 0, 0, s3
	v_add_co_ci_u32_e64 v6, null, s7, v8, vcc_lo
	v_add_co_u32 v7, vcc_lo, s8, v7
	v_add_co_u32 v17, s1, s1, v0
	v_add_co_ci_u32_e64 v8, null, s9, v8, vcc_lo
	v_add_co_u32 v11, vcc_lo, s6, v14
	v_add_co_ci_u32_e64 v18, null, 0, 0, s1
	v_add_co_u32 v19, s1, s6, v21
	v_add_co_ci_u32_e64 v12, null, s7, v15, vcc_lo
	v_add_co_u32 v14, vcc_lo, s8, v14
	v_add_co_ci_u32_e64 v20, null, s7, 0, s1
	v_add_co_u32 v21, s1, s8, v21
	v_add_co_ci_u32_e64 v15, null, s9, v15, vcc_lo
	v_add_co_ci_u32_e64 v16, null, 0, 0, s2
	v_add_co_ci_u32_e64 v22, null, s9, 0, s1
	s_lshl_b32 s21, s0, 2
	s_lshl_b32 s22, s0, 4
	s_branch .LBB110_4
.LBB110_3:                              ;   in Loop: Header=BB110_4 Depth=1
	s_or_b32 exec_lo, exec_lo, s0
	v_add_co_u32 v1, vcc_lo, v1, s22
	v_add_co_ci_u32_e64 v2, null, 0, v2, vcc_lo
	v_add_co_u32 v3, vcc_lo, v3, s22
	v_add_co_ci_u32_e64 v4, null, 0, v4, vcc_lo
	;; [unrolled: 2-line block ×4, first 2 shown]
	v_add_co_u32 v11, vcc_lo, v11, s22
	s_add_u32 s18, s18, s21
	v_add_co_ci_u32_e64 v12, null, 0, v12, vcc_lo
	v_add_co_u32 v14, vcc_lo, v14, s22
	s_addc_u32 s19, s19, 0
	v_add_co_ci_u32_e64 v15, null, 0, v15, vcc_lo
	v_add_co_u32 v19, vcc_lo, v19, s22
	v_cmp_lt_i64_e64 s0, s[18:19], s[14:15]
	v_add_co_ci_u32_e64 v20, null, 0, v20, vcc_lo
	v_add_co_u32 v21, vcc_lo, v21, s22
	v_add_co_ci_u32_e64 v22, null, 0, v22, vcc_lo
	s_and_b32 vcc_lo, exec_lo, s0
	s_cbranch_vccz .LBB110_20
.LBB110_4:                              ; =>This Inner Loop Header: Depth=1
	s_waitcnt vmcnt(0)
	v_add_co_u32 v23, s0, v0, s18
	v_add_co_ci_u32_e64 v24, null, 0, s19, s0
	v_cmp_gt_u64_e32 vcc_lo, s[16:17], v[23:24]
	v_mov_b32_e32 v24, 0
	s_and_saveexec_b32 s1, vcc_lo
	s_cbranch_execz .LBB110_6
; %bb.5:                                ;   in Loop: Header=BB110_4 Depth=1
	v_add_co_u32 v23, s0, v1, s10
	v_add_co_ci_u32_e64 v24, null, s11, v2, s0
	global_load_dword v24, v[23:24], off
.LBB110_6:                              ;   in Loop: Header=BB110_4 Depth=1
	s_or_b32 exec_lo, exec_lo, s1
	v_add_co_u32 v25, s0, v13, s18
	v_add_co_ci_u32_e64 v26, null, s19, v16, s0
	v_mov_b32_e32 v23, 0
	v_cmp_gt_u64_e64 s0, s[16:17], v[25:26]
	v_mov_b32_e32 v25, 0
	s_and_saveexec_b32 s2, s0
	s_cbranch_execz .LBB110_8
; %bb.7:                                ;   in Loop: Header=BB110_4 Depth=1
	v_add_co_u32 v25, s1, v19, s10
	v_add_co_ci_u32_e64 v26, null, s11, v20, s1
	global_load_dword v25, v[25:26], off
.LBB110_8:                              ;   in Loop: Header=BB110_4 Depth=1
	s_or_b32 exec_lo, exec_lo, s2
	v_add_co_u32 v26, s1, v17, s18
	v_add_co_ci_u32_e64 v27, null, s19, v18, s1
	v_cmp_gt_u64_e64 s1, s[16:17], v[26:27]
	s_and_saveexec_b32 s3, s1
	s_cbranch_execz .LBB110_10
; %bb.9:                                ;   in Loop: Header=BB110_4 Depth=1
	v_add_co_u32 v26, s2, v11, s10
	v_add_co_ci_u32_e64 v27, null, s11, v12, s2
	global_load_dword v23, v[26:27], off
.LBB110_10:                             ;   in Loop: Header=BB110_4 Depth=1
	s_or_b32 exec_lo, exec_lo, s3
	v_add_co_u32 v26, s2, v9, s18
	v_add_co_ci_u32_e64 v27, null, s19, v10, s2
	v_cmp_gt_u64_e64 s2, s[16:17], v[26:27]
	v_mov_b32_e32 v26, 0
	s_and_saveexec_b32 s23, s2
	s_cbranch_execnz .LBB110_15
; %bb.11:                               ;   in Loop: Header=BB110_4 Depth=1
	s_or_b32 exec_lo, exec_lo, s23
	s_and_saveexec_b32 s3, vcc_lo
	s_cbranch_execnz .LBB110_16
.LBB110_12:                             ;   in Loop: Header=BB110_4 Depth=1
	s_or_b32 exec_lo, exec_lo, s3
	s_and_saveexec_b32 s3, s0
	s_cbranch_execnz .LBB110_17
.LBB110_13:                             ;   in Loop: Header=BB110_4 Depth=1
	s_or_b32 exec_lo, exec_lo, s3
	s_and_saveexec_b32 s0, s1
	s_cbranch_execnz .LBB110_18
.LBB110_14:                             ;   in Loop: Header=BB110_4 Depth=1
	s_or_b32 exec_lo, exec_lo, s0
	s_and_saveexec_b32 s0, s2
	s_cbranch_execz .LBB110_3
	s_branch .LBB110_19
.LBB110_15:                             ;   in Loop: Header=BB110_4 Depth=1
	v_add_co_u32 v26, s3, v5, s10
	v_add_co_ci_u32_e64 v27, null, s11, v6, s3
	global_load_dword v26, v[26:27], off
	s_or_b32 exec_lo, exec_lo, s23
	s_and_saveexec_b32 s3, vcc_lo
	s_cbranch_execz .LBB110_12
.LBB110_16:                             ;   in Loop: Header=BB110_4 Depth=1
	v_add_co_u32 v27, vcc_lo, v3, s10
	s_waitcnt vmcnt(0)
	v_subrev_nc_u32_e32 v24, s20, v24
	v_add_co_ci_u32_e64 v28, null, s11, v4, vcc_lo
	global_store_dword v[27:28], v24, off
	s_or_b32 exec_lo, exec_lo, s3
	s_and_saveexec_b32 s3, s0
	s_cbranch_execz .LBB110_13
.LBB110_17:                             ;   in Loop: Header=BB110_4 Depth=1
	s_waitcnt vmcnt(0)
	v_add_co_u32 v24, vcc_lo, v21, s10
	v_subrev_nc_u32_e32 v27, s20, v25
	v_add_co_ci_u32_e64 v25, null, s11, v22, vcc_lo
	global_store_dword v[24:25], v27, off
	s_or_b32 exec_lo, exec_lo, s3
	s_and_saveexec_b32 s0, s1
	s_cbranch_execz .LBB110_14
.LBB110_18:                             ;   in Loop: Header=BB110_4 Depth=1
	s_waitcnt vmcnt(0)
	v_subrev_nc_u32_e32 v25, s20, v23
	v_add_co_u32 v23, vcc_lo, v14, s10
	v_add_co_ci_u32_e64 v24, null, s11, v15, vcc_lo
	global_store_dword v[23:24], v25, off
	s_or_b32 exec_lo, exec_lo, s0
	s_and_saveexec_b32 s0, s2
	s_cbranch_execz .LBB110_3
.LBB110_19:                             ;   in Loop: Header=BB110_4 Depth=1
	s_waitcnt vmcnt(0)
	v_add_co_u32 v23, vcc_lo, v7, s10
	v_subrev_nc_u32_e32 v25, s20, v26
	v_add_co_ci_u32_e64 v24, null, s11, v8, vcc_lo
	global_store_dword v[23:24], v25, off
	s_branch .LBB110_3
.LBB110_20:
	s_mov_b32 s0, 0
.LBB110_21:
	s_andn2_b32 vcc_lo, exec_lo, s0
	s_cbranch_vccnz .LBB110_25
; %bb.22:
	v_cmp_gt_i64_e64 s0, 0x10000, s[12:13]
	v_mov_b32_e32 v2, 0
	v_lshlrev_b32_e32 v1, 2, v0
	s_mov_b32 s1, 0
	s_and_b32 s0, s0, exec_lo
	s_cselect_b32 s3, s13, 0
	s_cselect_b32 s2, s12, 0x10000
	s_mov_b32 s0, exec_lo
	v_cmpx_gt_i64_e64 s[2:3], v[1:2]
	s_cbranch_execz .LBB110_25
; %bb.23:
	s_load_dword s0, s[4:5], 0xd54
	v_lshlrev_b32_e32 v3, 4, v0
	v_mov_b32_e32 v1, v2
	v_add_co_u32 v2, s4, s10, v3
	v_add_co_ci_u32_e64 v3, null, s11, 0, s4
	s_waitcnt lgkmcnt(0)
	s_and_b32 s4, s0, 0xffff
	s_lshl_b32 s5, s4, 4
	.p2align	6
.LBB110_24:                             ; =>This Inner Loop Header: Depth=1
	v_add_co_u32 v4, vcc_lo, s6, v2
	v_add_co_ci_u32_e64 v5, null, s7, v3, vcc_lo
	v_add_co_u32 v0, vcc_lo, v0, s4
	v_add_co_ci_u32_e64 v1, null, 0, v1, vcc_lo
	global_load_dwordx4 v[4:7], v[4:5], off
	v_add_co_u32 v8, vcc_lo, s8, v2
	v_lshlrev_b64 v[10:11], 2, v[0:1]
	v_add_co_ci_u32_e64 v9, null, s9, v3, vcc_lo
	v_add_co_u32 v2, vcc_lo, v2, s5
	v_add_co_ci_u32_e64 v3, null, 0, v3, vcc_lo
	v_cmp_le_i64_e64 s0, s[2:3], v[10:11]
	s_or_b32 s1, s0, s1
	s_waitcnt vmcnt(0)
	v_subrev_nc_u32_e32 v4, s20, v4
	v_subrev_nc_u32_e32 v5, s20, v5
	;; [unrolled: 1-line block ×4, first 2 shown]
	global_store_dwordx4 v[8:9], v[4:7], off
	s_andn2_b32 exec_lo, exec_lo, s1
	s_cbranch_execnz .LBB110_24
.LBB110_25:
	s_endpgm
	.section	.rodata,"a",@progbits
	.p2align	6, 0x0
	.amdhsa_kernel _ZN2at6native12_GLOBAL__N_125multi_tensor_apply_kernelINS1_28TensorListScalarListMetadataIiLi2EEENS1_25BinaryOpScalarListFunctorIiLi2ELi1ELi1EEEJSt5minusIiEEEEvT_T0_DpT1_
		.amdhsa_group_segment_fixed_size 0
		.amdhsa_private_segment_fixed_size 0
		.amdhsa_kernarg_size 3656
		.amdhsa_user_sgpr_count 6
		.amdhsa_user_sgpr_private_segment_buffer 1
		.amdhsa_user_sgpr_dispatch_ptr 0
		.amdhsa_user_sgpr_queue_ptr 0
		.amdhsa_user_sgpr_kernarg_segment_ptr 1
		.amdhsa_user_sgpr_dispatch_id 0
		.amdhsa_user_sgpr_flat_scratch_init 0
		.amdhsa_user_sgpr_private_segment_size 0
		.amdhsa_wavefront_size32 1
		.amdhsa_uses_dynamic_stack 0
		.amdhsa_system_sgpr_private_segment_wavefront_offset 0
		.amdhsa_system_sgpr_workgroup_id_x 1
		.amdhsa_system_sgpr_workgroup_id_y 0
		.amdhsa_system_sgpr_workgroup_id_z 0
		.amdhsa_system_sgpr_workgroup_info 0
		.amdhsa_system_vgpr_workitem_id 0
		.amdhsa_next_free_vgpr 29
		.amdhsa_next_free_sgpr 24
		.amdhsa_reserve_vcc 1
		.amdhsa_reserve_flat_scratch 0
		.amdhsa_float_round_mode_32 0
		.amdhsa_float_round_mode_16_64 0
		.amdhsa_float_denorm_mode_32 3
		.amdhsa_float_denorm_mode_16_64 3
		.amdhsa_dx10_clamp 1
		.amdhsa_ieee_mode 1
		.amdhsa_fp16_overflow 0
		.amdhsa_workgroup_processor_mode 1
		.amdhsa_memory_ordered 1
		.amdhsa_forward_progress 1
		.amdhsa_shared_vgpr_count 0
		.amdhsa_exception_fp_ieee_invalid_op 0
		.amdhsa_exception_fp_denorm_src 0
		.amdhsa_exception_fp_ieee_div_zero 0
		.amdhsa_exception_fp_ieee_overflow 0
		.amdhsa_exception_fp_ieee_underflow 0
		.amdhsa_exception_fp_ieee_inexact 0
		.amdhsa_exception_int_div_zero 0
	.end_amdhsa_kernel
	.section	.text._ZN2at6native12_GLOBAL__N_125multi_tensor_apply_kernelINS1_28TensorListScalarListMetadataIiLi2EEENS1_25BinaryOpScalarListFunctorIiLi2ELi1ELi1EEEJSt5minusIiEEEEvT_T0_DpT1_,"axG",@progbits,_ZN2at6native12_GLOBAL__N_125multi_tensor_apply_kernelINS1_28TensorListScalarListMetadataIiLi2EEENS1_25BinaryOpScalarListFunctorIiLi2ELi1ELi1EEEJSt5minusIiEEEEvT_T0_DpT1_,comdat
.Lfunc_end110:
	.size	_ZN2at6native12_GLOBAL__N_125multi_tensor_apply_kernelINS1_28TensorListScalarListMetadataIiLi2EEENS1_25BinaryOpScalarListFunctorIiLi2ELi1ELi1EEEJSt5minusIiEEEEvT_T0_DpT1_, .Lfunc_end110-_ZN2at6native12_GLOBAL__N_125multi_tensor_apply_kernelINS1_28TensorListScalarListMetadataIiLi2EEENS1_25BinaryOpScalarListFunctorIiLi2ELi1ELi1EEEJSt5minusIiEEEEvT_T0_DpT1_
                                        ; -- End function
	.set _ZN2at6native12_GLOBAL__N_125multi_tensor_apply_kernelINS1_28TensorListScalarListMetadataIiLi2EEENS1_25BinaryOpScalarListFunctorIiLi2ELi1ELi1EEEJSt5minusIiEEEEvT_T0_DpT1_.num_vgpr, 29
	.set _ZN2at6native12_GLOBAL__N_125multi_tensor_apply_kernelINS1_28TensorListScalarListMetadataIiLi2EEENS1_25BinaryOpScalarListFunctorIiLi2ELi1ELi1EEEJSt5minusIiEEEEvT_T0_DpT1_.num_agpr, 0
	.set _ZN2at6native12_GLOBAL__N_125multi_tensor_apply_kernelINS1_28TensorListScalarListMetadataIiLi2EEENS1_25BinaryOpScalarListFunctorIiLi2ELi1ELi1EEEJSt5minusIiEEEEvT_T0_DpT1_.numbered_sgpr, 24
	.set _ZN2at6native12_GLOBAL__N_125multi_tensor_apply_kernelINS1_28TensorListScalarListMetadataIiLi2EEENS1_25BinaryOpScalarListFunctorIiLi2ELi1ELi1EEEJSt5minusIiEEEEvT_T0_DpT1_.num_named_barrier, 0
	.set _ZN2at6native12_GLOBAL__N_125multi_tensor_apply_kernelINS1_28TensorListScalarListMetadataIiLi2EEENS1_25BinaryOpScalarListFunctorIiLi2ELi1ELi1EEEJSt5minusIiEEEEvT_T0_DpT1_.private_seg_size, 0
	.set _ZN2at6native12_GLOBAL__N_125multi_tensor_apply_kernelINS1_28TensorListScalarListMetadataIiLi2EEENS1_25BinaryOpScalarListFunctorIiLi2ELi1ELi1EEEJSt5minusIiEEEEvT_T0_DpT1_.uses_vcc, 1
	.set _ZN2at6native12_GLOBAL__N_125multi_tensor_apply_kernelINS1_28TensorListScalarListMetadataIiLi2EEENS1_25BinaryOpScalarListFunctorIiLi2ELi1ELi1EEEJSt5minusIiEEEEvT_T0_DpT1_.uses_flat_scratch, 0
	.set _ZN2at6native12_GLOBAL__N_125multi_tensor_apply_kernelINS1_28TensorListScalarListMetadataIiLi2EEENS1_25BinaryOpScalarListFunctorIiLi2ELi1ELi1EEEJSt5minusIiEEEEvT_T0_DpT1_.has_dyn_sized_stack, 0
	.set _ZN2at6native12_GLOBAL__N_125multi_tensor_apply_kernelINS1_28TensorListScalarListMetadataIiLi2EEENS1_25BinaryOpScalarListFunctorIiLi2ELi1ELi1EEEJSt5minusIiEEEEvT_T0_DpT1_.has_recursion, 0
	.set _ZN2at6native12_GLOBAL__N_125multi_tensor_apply_kernelINS1_28TensorListScalarListMetadataIiLi2EEENS1_25BinaryOpScalarListFunctorIiLi2ELi1ELi1EEEJSt5minusIiEEEEvT_T0_DpT1_.has_indirect_call, 0
	.section	.AMDGPU.csdata,"",@progbits
; Kernel info:
; codeLenInByte = 1476
; TotalNumSgprs: 26
; NumVgprs: 29
; ScratchSize: 0
; MemoryBound: 0
; FloatMode: 240
; IeeeMode: 1
; LDSByteSize: 0 bytes/workgroup (compile time only)
; SGPRBlocks: 0
; VGPRBlocks: 3
; NumSGPRsForWavesPerEU: 26
; NumVGPRsForWavesPerEU: 29
; Occupancy: 16
; WaveLimiterHint : 0
; COMPUTE_PGM_RSRC2:SCRATCH_EN: 0
; COMPUTE_PGM_RSRC2:USER_SGPR: 6
; COMPUTE_PGM_RSRC2:TRAP_HANDLER: 0
; COMPUTE_PGM_RSRC2:TGID_X_EN: 1
; COMPUTE_PGM_RSRC2:TGID_Y_EN: 0
; COMPUTE_PGM_RSRC2:TGID_Z_EN: 0
; COMPUTE_PGM_RSRC2:TIDIG_COMP_CNT: 0
	.section	.text._ZN2at6native12_GLOBAL__N_125multi_tensor_apply_kernelINS1_28TensorListScalarListMetadataIlLi2EEENS1_25BinaryOpScalarListFunctorIlLi2ELi1ELi1EEEJSt5minusIlEEEEvT_T0_DpT1_,"axG",@progbits,_ZN2at6native12_GLOBAL__N_125multi_tensor_apply_kernelINS1_28TensorListScalarListMetadataIlLi2EEENS1_25BinaryOpScalarListFunctorIlLi2ELi1ELi1EEEJSt5minusIlEEEEvT_T0_DpT1_,comdat
	.globl	_ZN2at6native12_GLOBAL__N_125multi_tensor_apply_kernelINS1_28TensorListScalarListMetadataIlLi2EEENS1_25BinaryOpScalarListFunctorIlLi2ELi1ELi1EEEJSt5minusIlEEEEvT_T0_DpT1_ ; -- Begin function _ZN2at6native12_GLOBAL__N_125multi_tensor_apply_kernelINS1_28TensorListScalarListMetadataIlLi2EEENS1_25BinaryOpScalarListFunctorIlLi2ELi1ELi1EEEJSt5minusIlEEEEvT_T0_DpT1_
	.p2align	8
	.type	_ZN2at6native12_GLOBAL__N_125multi_tensor_apply_kernelINS1_28TensorListScalarListMetadataIlLi2EEENS1_25BinaryOpScalarListFunctorIlLi2ELi1ELi1EEEJSt5minusIlEEEEvT_T0_DpT1_,@function
_ZN2at6native12_GLOBAL__N_125multi_tensor_apply_kernelINS1_28TensorListScalarListMetadataIlLi2EEENS1_25BinaryOpScalarListFunctorIlLi2ELi1ELi1EEEJSt5minusIlEEEEvT_T0_DpT1_: ; @_ZN2at6native12_GLOBAL__N_125multi_tensor_apply_kernelINS1_28TensorListScalarListMetadataIlLi2EEENS1_25BinaryOpScalarListFunctorIlLi2ELi1ELi1EEEJSt5minusIlEEEEvT_T0_DpT1_
; %bb.0:
	v_mov_b32_e32 v1, 0x800
	s_add_u32 s0, s4, s6
	s_addc_u32 s1, s5, 0
	s_mov_b32 s7, 0
	s_mov_b32 s19, s7
	global_load_ubyte v1, v1, s[0:1]
	s_lshl_b64 s[0:1], s[6:7], 2
	s_add_u32 s0, s4, s0
	s_addc_u32 s1, s5, s1
	s_load_dword s0, s[0:1], 0x940
	s_waitcnt vmcnt(0)
	v_readfirstlane_b32 s1, v1
	s_lshl_b32 s1, s1, 3
	s_clause 0x3
	s_load_dwordx2 s[8:9], s[4:5], s1 offset:0x0
	s_load_dwordx2 s[10:11], s[4:5], s1 offset:0x600
	;; [unrolled: 1-line block ×4, first 2 shown]
	s_waitcnt lgkmcnt(0)
	s_ashr_i32 s1, s0, 31
	s_lshl_b64 s[14:15], s[0:1], 19
	s_lshl_b64 s[0:1], s[0:1], 16
	s_add_u32 s6, s8, s14
	s_and_b32 s18, s12, 31
	s_and_b32 s6, s6, 31
	s_sub_u32 s16, s2, s0
	s_subb_u32 s17, s3, s1
	s_and_b32 s0, s2, 3
	s_mov_b32 s1, s7
	s_or_b64 s[0:1], s[18:19], s[0:1]
	s_or_b64 s[0:1], s[0:1], s[6:7]
	s_cmp_eq_u64 s[0:1], 0
	s_mov_b32 s0, -1
	s_cbranch_scc1 .LBB111_21
; %bb.1:
	v_cmp_lt_i64_e64 s0, s[16:17], 1
	s_and_b32 vcc_lo, exec_lo, s0
	s_cbranch_vccnz .LBB111_20
; %bb.2:
	s_load_dword s0, s[4:5], 0xe54
	v_cmp_gt_i64_e64 s1, 0x10000, s[16:17]
	v_lshlrev_b32_e32 v1, 3, v0
	v_mov_b32_e32 v2, 0
	v_cmp_gt_u64_e64 s2, 0x10000, s[16:17]
	s_mov_b64 s[20:21], 0
	s_and_b32 s1, s1, exec_lo
	s_cselect_b32 s7, s17, 0
	s_cselect_b32 s6, s16, 0x10000
	v_add_co_u32 v11, s1, s12, v1
	v_add_co_u32 v9, s3, s8, v1
	v_add_co_ci_u32_e64 v12, null, s13, 0, s1
	v_add_co_ci_u32_e64 v10, null, s9, 0, s3
	s_waitcnt lgkmcnt(0)
	s_and_b32 s0, s0, 0xffff
	s_and_b32 s1, s2, exec_lo
	v_mad_u64_u32 v[2:3], null, s0, 24, v[1:2]
	s_cselect_b32 s19, s17, 0
	s_cselect_b32 s18, s16, 0x10000
	s_mul_i32 s2, s0, 3
	s_lshl_b32 s3, s0, 4
	v_add_co_u32 v17, s2, s2, v0
	v_add_co_u32 v13, vcc_lo, s8, v2
	v_add_co_u32 v1, s3, s3, v1
	v_add_co_ci_u32_e64 v14, null, s9, v3, vcc_lo
	v_add_co_u32 v15, vcc_lo, s12, v2
	v_add_co_ci_u32_e64 v2, null, 0, 0, s3
	v_add_co_ci_u32_e64 v18, null, 0, 0, s2
	v_add_co_u32 v21, s2, v0, s0
	v_add_co_ci_u32_e64 v16, null, s13, v3, vcc_lo
	v_add_co_u32 v19, vcc_lo, s8, v1
	v_add_co_ci_u32_e64 v20, null, s9, v2, vcc_lo
	v_add_co_u32 v22, vcc_lo, s12, v1
	v_lshlrev_b32_e32 v1, 3, v21
	s_lshl_b32 s1, s0, 1
	v_add_co_ci_u32_e64 v23, null, s13, v2, vcc_lo
	v_add_co_u32 v25, s1, s1, v0
	v_add_co_ci_u32_e64 v26, null, 0, 0, s1
	v_add_co_u32 v27, s1, s8, v1
	v_add_co_ci_u32_e64 v28, null, s9, 0, s1
	;; [unrolled: 2-line block ×3, first 2 shown]
	v_add_co_ci_u32_e64 v30, null, s13, 0, s1
	s_lshl_b32 s22, s0, 2
	s_lshl_b32 s23, s0, 5
	s_branch .LBB111_4
.LBB111_3:                              ;   in Loop: Header=BB111_4 Depth=1
	s_or_b32 exec_lo, exec_lo, s0
	v_add_co_u32 v9, vcc_lo, v9, s23
	v_add_co_ci_u32_e64 v10, null, 0, v10, vcc_lo
	v_add_co_u32 v11, vcc_lo, v11, s23
	v_add_co_ci_u32_e64 v12, null, 0, v12, vcc_lo
	;; [unrolled: 2-line block ×4, first 2 shown]
	v_add_co_u32 v19, vcc_lo, v19, s23
	s_add_u32 s20, s20, s22
	v_add_co_ci_u32_e64 v20, null, 0, v20, vcc_lo
	v_add_co_u32 v22, vcc_lo, v22, s23
	s_addc_u32 s21, s21, 0
	v_add_co_ci_u32_e64 v23, null, 0, v23, vcc_lo
	v_add_co_u32 v27, vcc_lo, v27, s23
	v_cmp_lt_i64_e64 s0, s[20:21], s[6:7]
	v_add_co_ci_u32_e64 v28, null, 0, v28, vcc_lo
	v_add_co_u32 v29, vcc_lo, v29, s23
	v_add_co_ci_u32_e64 v30, null, 0, v30, vcc_lo
	s_and_b32 vcc_lo, exec_lo, s0
	s_cbranch_vccz .LBB111_20
.LBB111_4:                              ; =>This Inner Loop Header: Depth=1
	s_waitcnt vmcnt(0)
	v_add_co_u32 v3, s0, v0, s20
	v_add_co_ci_u32_e64 v4, null, 0, s21, s0
	v_mov_b32_e32 v1, 0
	v_mov_b32_e32 v5, 0
	;; [unrolled: 1-line block ×3, first 2 shown]
	v_cmp_gt_u64_e32 vcc_lo, s[18:19], v[3:4]
	v_mov_b32_e32 v6, 0
	s_and_saveexec_b32 s1, vcc_lo
	s_cbranch_execz .LBB111_6
; %bb.5:                                ;   in Loop: Header=BB111_4 Depth=1
	v_add_co_u32 v3, s0, v9, s14
	v_add_co_ci_u32_e64 v4, null, s15, v10, s0
	global_load_dwordx2 v[5:6], v[3:4], off
.LBB111_6:                              ;   in Loop: Header=BB111_4 Depth=1
	s_or_b32 exec_lo, exec_lo, s1
	v_add_co_u32 v3, s0, v21, s20
	v_add_co_ci_u32_e64 v4, null, s21, v24, s0
	v_cmp_gt_u64_e64 s0, s[18:19], v[3:4]
	s_and_saveexec_b32 s2, s0
	s_cbranch_execz .LBB111_8
; %bb.7:                                ;   in Loop: Header=BB111_4 Depth=1
	v_add_co_u32 v1, s1, v27, s14
	v_add_co_ci_u32_e64 v2, null, s15, v28, s1
	global_load_dwordx2 v[1:2], v[1:2], off
.LBB111_8:                              ;   in Loop: Header=BB111_4 Depth=1
	s_or_b32 exec_lo, exec_lo, s2
	v_add_co_u32 v7, s1, v25, s20
	v_add_co_ci_u32_e64 v8, null, s21, v26, s1
	v_mov_b32_e32 v3, 0
	v_mov_b32_e32 v4, 0
	v_cmp_gt_u64_e64 s1, s[18:19], v[7:8]
	v_mov_b32_e32 v7, 0
	v_mov_b32_e32 v8, 0
	s_and_saveexec_b32 s3, s1
	s_cbranch_execz .LBB111_10
; %bb.9:                                ;   in Loop: Header=BB111_4 Depth=1
	v_add_co_u32 v7, s2, v19, s14
	v_add_co_ci_u32_e64 v8, null, s15, v20, s2
	global_load_dwordx2 v[7:8], v[7:8], off
.LBB111_10:                             ;   in Loop: Header=BB111_4 Depth=1
	s_or_b32 exec_lo, exec_lo, s3
	v_add_co_u32 v31, s2, v17, s20
	v_add_co_ci_u32_e64 v32, null, s21, v18, s2
	v_cmp_gt_u64_e64 s2, s[18:19], v[31:32]
	s_and_saveexec_b32 s24, s2
	s_cbranch_execnz .LBB111_15
; %bb.11:                               ;   in Loop: Header=BB111_4 Depth=1
	s_or_b32 exec_lo, exec_lo, s24
	s_and_saveexec_b32 s3, vcc_lo
	s_cbranch_execnz .LBB111_16
.LBB111_12:                             ;   in Loop: Header=BB111_4 Depth=1
	s_or_b32 exec_lo, exec_lo, s3
	s_and_saveexec_b32 s3, s0
	s_cbranch_execnz .LBB111_17
.LBB111_13:                             ;   in Loop: Header=BB111_4 Depth=1
	s_or_b32 exec_lo, exec_lo, s3
	s_and_saveexec_b32 s0, s1
	s_cbranch_execnz .LBB111_18
.LBB111_14:                             ;   in Loop: Header=BB111_4 Depth=1
	s_or_b32 exec_lo, exec_lo, s0
	s_and_saveexec_b32 s0, s2
	s_cbranch_execz .LBB111_3
	s_branch .LBB111_19
.LBB111_15:                             ;   in Loop: Header=BB111_4 Depth=1
	v_add_co_u32 v3, s3, v13, s14
	v_add_co_ci_u32_e64 v4, null, s15, v14, s3
	global_load_dwordx2 v[3:4], v[3:4], off
	s_or_b32 exec_lo, exec_lo, s24
	s_and_saveexec_b32 s3, vcc_lo
	s_cbranch_execz .LBB111_12
.LBB111_16:                             ;   in Loop: Header=BB111_4 Depth=1
	s_waitcnt vmcnt(0)
	v_sub_co_u32 v5, vcc_lo, v5, s10
	v_subrev_co_ci_u32_e64 v6, null, s11, v6, vcc_lo
	v_add_co_u32 v31, vcc_lo, v11, s14
	v_add_co_ci_u32_e64 v32, null, s15, v12, vcc_lo
	global_store_dwordx2 v[31:32], v[5:6], off
	s_or_b32 exec_lo, exec_lo, s3
	s_and_saveexec_b32 s3, s0
	s_cbranch_execz .LBB111_13
.LBB111_17:                             ;   in Loop: Header=BB111_4 Depth=1
	s_waitcnt vmcnt(0)
	v_sub_co_u32 v1, vcc_lo, v1, s10
	v_subrev_co_ci_u32_e64 v2, null, s11, v2, vcc_lo
	v_add_co_u32 v5, vcc_lo, v29, s14
	v_add_co_ci_u32_e64 v6, null, s15, v30, vcc_lo
	global_store_dwordx2 v[5:6], v[1:2], off
	s_or_b32 exec_lo, exec_lo, s3
	s_and_saveexec_b32 s0, s1
	s_cbranch_execz .LBB111_14
.LBB111_18:                             ;   in Loop: Header=BB111_4 Depth=1
	s_waitcnt vmcnt(0)
	v_sub_co_u32 v1, vcc_lo, v7, s10
	v_subrev_co_ci_u32_e64 v2, null, s11, v8, vcc_lo
	v_add_co_u32 v5, vcc_lo, v22, s14
	v_add_co_ci_u32_e64 v6, null, s15, v23, vcc_lo
	global_store_dwordx2 v[5:6], v[1:2], off
	s_or_b32 exec_lo, exec_lo, s0
	s_and_saveexec_b32 s0, s2
	s_cbranch_execz .LBB111_3
.LBB111_19:                             ;   in Loop: Header=BB111_4 Depth=1
	s_waitcnt vmcnt(0)
	v_sub_co_u32 v1, vcc_lo, v3, s10
	v_subrev_co_ci_u32_e64 v2, null, s11, v4, vcc_lo
	v_add_co_u32 v3, vcc_lo, v15, s14
	v_add_co_ci_u32_e64 v4, null, s15, v16, vcc_lo
	global_store_dwordx2 v[3:4], v[1:2], off
	s_branch .LBB111_3
.LBB111_20:
	s_mov_b32 s0, 0
.LBB111_21:
	s_andn2_b32 vcc_lo, exec_lo, s0
	s_cbranch_vccnz .LBB111_25
; %bb.22:
	v_cmp_gt_i64_e64 s0, 0x10000, s[16:17]
	s_waitcnt vmcnt(0)
	v_mov_b32_e32 v2, 0
	v_lshlrev_b32_e32 v1, 2, v0
	s_mov_b32 s6, 0
	s_and_b32 s0, s0, exec_lo
	s_cselect_b32 s3, s17, 0
	s_cselect_b32 s2, s16, 0x10000
	s_mov_b32 s0, exec_lo
	v_cmpx_gt_i64_e64 s[2:3], v[1:2]
	s_cbranch_execz .LBB111_25
; %bb.23:
	s_load_dword s0, s[4:5], 0xe54
	v_lshlrev_b32_e32 v3, 5, v0
	v_mov_b32_e32 v1, v2
	v_add_co_u32 v2, s1, s14, v3
	v_add_co_ci_u32_e64 v3, null, s15, 0, s1
	s_waitcnt lgkmcnt(0)
	s_and_b32 s4, s0, 0xffff
	s_lshl_b32 s5, s4, 5
	s_inst_prefetch 0x1
	.p2align	6
.LBB111_24:                             ; =>This Inner Loop Header: Depth=1
	v_add_co_u32 v8, vcc_lo, s8, v2
	v_add_co_ci_u32_e64 v9, null, s9, v3, vcc_lo
	v_add_co_u32 v0, vcc_lo, v0, s4
	v_add_co_ci_u32_e64 v1, null, 0, v1, vcc_lo
	s_clause 0x1
	global_load_dwordx4 v[4:7], v[8:9], off
	global_load_dwordx4 v[8:11], v[8:9], off offset:16
	v_add_co_u32 v12, vcc_lo, s12, v2
	v_lshlrev_b64 v[14:15], 2, v[0:1]
	v_add_co_ci_u32_e64 v13, null, s13, v3, vcc_lo
	v_add_co_u32 v2, vcc_lo, v2, s5
	v_add_co_ci_u32_e64 v3, null, 0, v3, vcc_lo
	v_cmp_le_i64_e64 s0, s[2:3], v[14:15]
	s_or_b32 s6, s0, s6
	s_waitcnt vmcnt(1)
	v_sub_co_u32 v4, s1, v4, s10
	v_subrev_co_ci_u32_e64 v5, null, s11, v5, s1
	v_sub_co_u32 v6, s1, v6, s10
	v_subrev_co_ci_u32_e64 v7, null, s11, v7, s1
	s_waitcnt vmcnt(0)
	v_sub_co_u32 v8, s1, v8, s10
	v_subrev_co_ci_u32_e64 v9, null, s11, v9, s1
	v_sub_co_u32 v10, s1, v10, s10
	v_subrev_co_ci_u32_e64 v11, null, s11, v11, s1
	global_store_dwordx4 v[12:13], v[4:7], off
	global_store_dwordx4 v[12:13], v[8:11], off offset:16
	s_andn2_b32 exec_lo, exec_lo, s6
	s_cbranch_execnz .LBB111_24
.LBB111_25:
	s_inst_prefetch 0x2
	s_endpgm
	.section	.rodata,"a",@progbits
	.p2align	6, 0x0
	.amdhsa_kernel _ZN2at6native12_GLOBAL__N_125multi_tensor_apply_kernelINS1_28TensorListScalarListMetadataIlLi2EEENS1_25BinaryOpScalarListFunctorIlLi2ELi1ELi1EEEJSt5minusIlEEEEvT_T0_DpT1_
		.amdhsa_group_segment_fixed_size 0
		.amdhsa_private_segment_fixed_size 0
		.amdhsa_kernarg_size 3912
		.amdhsa_user_sgpr_count 6
		.amdhsa_user_sgpr_private_segment_buffer 1
		.amdhsa_user_sgpr_dispatch_ptr 0
		.amdhsa_user_sgpr_queue_ptr 0
		.amdhsa_user_sgpr_kernarg_segment_ptr 1
		.amdhsa_user_sgpr_dispatch_id 0
		.amdhsa_user_sgpr_flat_scratch_init 0
		.amdhsa_user_sgpr_private_segment_size 0
		.amdhsa_wavefront_size32 1
		.amdhsa_uses_dynamic_stack 0
		.amdhsa_system_sgpr_private_segment_wavefront_offset 0
		.amdhsa_system_sgpr_workgroup_id_x 1
		.amdhsa_system_sgpr_workgroup_id_y 0
		.amdhsa_system_sgpr_workgroup_id_z 0
		.amdhsa_system_sgpr_workgroup_info 0
		.amdhsa_system_vgpr_workitem_id 0
		.amdhsa_next_free_vgpr 33
		.amdhsa_next_free_sgpr 25
		.amdhsa_reserve_vcc 1
		.amdhsa_reserve_flat_scratch 0
		.amdhsa_float_round_mode_32 0
		.amdhsa_float_round_mode_16_64 0
		.amdhsa_float_denorm_mode_32 3
		.amdhsa_float_denorm_mode_16_64 3
		.amdhsa_dx10_clamp 1
		.amdhsa_ieee_mode 1
		.amdhsa_fp16_overflow 0
		.amdhsa_workgroup_processor_mode 1
		.amdhsa_memory_ordered 1
		.amdhsa_forward_progress 1
		.amdhsa_shared_vgpr_count 0
		.amdhsa_exception_fp_ieee_invalid_op 0
		.amdhsa_exception_fp_denorm_src 0
		.amdhsa_exception_fp_ieee_div_zero 0
		.amdhsa_exception_fp_ieee_overflow 0
		.amdhsa_exception_fp_ieee_underflow 0
		.amdhsa_exception_fp_ieee_inexact 0
		.amdhsa_exception_int_div_zero 0
	.end_amdhsa_kernel
	.section	.text._ZN2at6native12_GLOBAL__N_125multi_tensor_apply_kernelINS1_28TensorListScalarListMetadataIlLi2EEENS1_25BinaryOpScalarListFunctorIlLi2ELi1ELi1EEEJSt5minusIlEEEEvT_T0_DpT1_,"axG",@progbits,_ZN2at6native12_GLOBAL__N_125multi_tensor_apply_kernelINS1_28TensorListScalarListMetadataIlLi2EEENS1_25BinaryOpScalarListFunctorIlLi2ELi1ELi1EEEJSt5minusIlEEEEvT_T0_DpT1_,comdat
.Lfunc_end111:
	.size	_ZN2at6native12_GLOBAL__N_125multi_tensor_apply_kernelINS1_28TensorListScalarListMetadataIlLi2EEENS1_25BinaryOpScalarListFunctorIlLi2ELi1ELi1EEEJSt5minusIlEEEEvT_T0_DpT1_, .Lfunc_end111-_ZN2at6native12_GLOBAL__N_125multi_tensor_apply_kernelINS1_28TensorListScalarListMetadataIlLi2EEENS1_25BinaryOpScalarListFunctorIlLi2ELi1ELi1EEEJSt5minusIlEEEEvT_T0_DpT1_
                                        ; -- End function
	.set _ZN2at6native12_GLOBAL__N_125multi_tensor_apply_kernelINS1_28TensorListScalarListMetadataIlLi2EEENS1_25BinaryOpScalarListFunctorIlLi2ELi1ELi1EEEJSt5minusIlEEEEvT_T0_DpT1_.num_vgpr, 33
	.set _ZN2at6native12_GLOBAL__N_125multi_tensor_apply_kernelINS1_28TensorListScalarListMetadataIlLi2EEENS1_25BinaryOpScalarListFunctorIlLi2ELi1ELi1EEEJSt5minusIlEEEEvT_T0_DpT1_.num_agpr, 0
	.set _ZN2at6native12_GLOBAL__N_125multi_tensor_apply_kernelINS1_28TensorListScalarListMetadataIlLi2EEENS1_25BinaryOpScalarListFunctorIlLi2ELi1ELi1EEEJSt5minusIlEEEEvT_T0_DpT1_.numbered_sgpr, 25
	.set _ZN2at6native12_GLOBAL__N_125multi_tensor_apply_kernelINS1_28TensorListScalarListMetadataIlLi2EEENS1_25BinaryOpScalarListFunctorIlLi2ELi1ELi1EEEJSt5minusIlEEEEvT_T0_DpT1_.num_named_barrier, 0
	.set _ZN2at6native12_GLOBAL__N_125multi_tensor_apply_kernelINS1_28TensorListScalarListMetadataIlLi2EEENS1_25BinaryOpScalarListFunctorIlLi2ELi1ELi1EEEJSt5minusIlEEEEvT_T0_DpT1_.private_seg_size, 0
	.set _ZN2at6native12_GLOBAL__N_125multi_tensor_apply_kernelINS1_28TensorListScalarListMetadataIlLi2EEENS1_25BinaryOpScalarListFunctorIlLi2ELi1ELi1EEEJSt5minusIlEEEEvT_T0_DpT1_.uses_vcc, 1
	.set _ZN2at6native12_GLOBAL__N_125multi_tensor_apply_kernelINS1_28TensorListScalarListMetadataIlLi2EEENS1_25BinaryOpScalarListFunctorIlLi2ELi1ELi1EEEJSt5minusIlEEEEvT_T0_DpT1_.uses_flat_scratch, 0
	.set _ZN2at6native12_GLOBAL__N_125multi_tensor_apply_kernelINS1_28TensorListScalarListMetadataIlLi2EEENS1_25BinaryOpScalarListFunctorIlLi2ELi1ELi1EEEJSt5minusIlEEEEvT_T0_DpT1_.has_dyn_sized_stack, 0
	.set _ZN2at6native12_GLOBAL__N_125multi_tensor_apply_kernelINS1_28TensorListScalarListMetadataIlLi2EEENS1_25BinaryOpScalarListFunctorIlLi2ELi1ELi1EEEJSt5minusIlEEEEvT_T0_DpT1_.has_recursion, 0
	.set _ZN2at6native12_GLOBAL__N_125multi_tensor_apply_kernelINS1_28TensorListScalarListMetadataIlLi2EEENS1_25BinaryOpScalarListFunctorIlLi2ELi1ELi1EEEJSt5minusIlEEEEvT_T0_DpT1_.has_indirect_call, 0
	.section	.AMDGPU.csdata,"",@progbits
; Kernel info:
; codeLenInByte = 1552
; TotalNumSgprs: 27
; NumVgprs: 33
; ScratchSize: 0
; MemoryBound: 0
; FloatMode: 240
; IeeeMode: 1
; LDSByteSize: 0 bytes/workgroup (compile time only)
; SGPRBlocks: 0
; VGPRBlocks: 4
; NumSGPRsForWavesPerEU: 27
; NumVGPRsForWavesPerEU: 33
; Occupancy: 16
; WaveLimiterHint : 1
; COMPUTE_PGM_RSRC2:SCRATCH_EN: 0
; COMPUTE_PGM_RSRC2:USER_SGPR: 6
; COMPUTE_PGM_RSRC2:TRAP_HANDLER: 0
; COMPUTE_PGM_RSRC2:TGID_X_EN: 1
; COMPUTE_PGM_RSRC2:TGID_Y_EN: 0
; COMPUTE_PGM_RSRC2:TGID_Z_EN: 0
; COMPUTE_PGM_RSRC2:TIDIG_COMP_CNT: 0
	.section	.text._ZN2at6native12_GLOBAL__N_125multi_tensor_apply_kernelINS1_28TensorListScalarListMetadataIsLi2EEENS1_25BinaryOpScalarListFunctorIsLi2ELi1ELi1EEEJSt5minusIsEEEEvT_T0_DpT1_,"axG",@progbits,_ZN2at6native12_GLOBAL__N_125multi_tensor_apply_kernelINS1_28TensorListScalarListMetadataIsLi2EEENS1_25BinaryOpScalarListFunctorIsLi2ELi1ELi1EEEJSt5minusIsEEEEvT_T0_DpT1_,comdat
	.globl	_ZN2at6native12_GLOBAL__N_125multi_tensor_apply_kernelINS1_28TensorListScalarListMetadataIsLi2EEENS1_25BinaryOpScalarListFunctorIsLi2ELi1ELi1EEEJSt5minusIsEEEEvT_T0_DpT1_ ; -- Begin function _ZN2at6native12_GLOBAL__N_125multi_tensor_apply_kernelINS1_28TensorListScalarListMetadataIsLi2EEENS1_25BinaryOpScalarListFunctorIsLi2ELi1ELi1EEEJSt5minusIsEEEEvT_T0_DpT1_
	.p2align	8
	.type	_ZN2at6native12_GLOBAL__N_125multi_tensor_apply_kernelINS1_28TensorListScalarListMetadataIsLi2EEENS1_25BinaryOpScalarListFunctorIsLi2ELi1ELi1EEEJSt5minusIsEEEEvT_T0_DpT1_,@function
_ZN2at6native12_GLOBAL__N_125multi_tensor_apply_kernelINS1_28TensorListScalarListMetadataIsLi2EEENS1_25BinaryOpScalarListFunctorIsLi2ELi1ELi1EEEJSt5minusIsEEEEvT_T0_DpT1_: ; @_ZN2at6native12_GLOBAL__N_125multi_tensor_apply_kernelINS1_28TensorListScalarListMetadataIsLi2EEENS1_25BinaryOpScalarListFunctorIsLi2ELi1ELi1EEEJSt5minusIsEEEEvT_T0_DpT1_
; %bb.0:
	v_mov_b32_e32 v1, s6
	s_add_u32 s0, s4, s6
	s_mul_hi_u32 s1, s6, 3
	s_mul_i32 s6, s6, 3
	s_addc_u32 s2, s5, 0
	global_load_ubyte v1, v1, s[4:5] offset:1664
	s_add_u32 s0, s0, s6
	s_addc_u32 s1, s2, s1
	s_mov_b32 s15, 0
	s_load_dword s0, s[0:1], 0x7c0
	s_mov_b32 s17, s15
	s_waitcnt vmcnt(0)
	v_readfirstlane_b32 s1, v1
	v_mul_lo_u32 v2, v1, -6
	v_mul_hi_i32 v3, v1, -6
	s_lshl_b32 s8, s1, 3
	s_waitcnt lgkmcnt(0)
	s_ashr_i32 s1, s0, 31
	s_add_u32 s6, s4, s8
	s_addc_u32 s7, s5, 0
	v_add_co_u32 v1, vcc_lo, s6, v2
	v_add_co_ci_u32_e64 v2, null, s7, v3, vcc_lo
	s_load_dwordx2 s[2:3], s[4:5], s8 offset:0x400
	s_lshl_b64 s[10:11], s[0:1], 17
	s_lshl_b64 s[0:1], s[0:1], 16
	global_load_ushort v3, v[1:2], off offset:1536
	s_clause 0x1
	s_load_dwordx2 s[6:7], s[4:5], s8 offset:0x0
	s_load_dwordx2 s[8:9], s[4:5], s8 offset:0x200
	s_waitcnt lgkmcnt(0)
	s_add_u32 s12, s6, s10
	s_and_b32 s16, s8, 7
	s_and_b32 s14, s12, 7
	s_sub_u32 s12, s2, s0
	s_subb_u32 s13, s3, s1
	s_and_b32 s0, s2, 3
	s_mov_b32 s1, s15
	s_or_b64 s[0:1], s[16:17], s[0:1]
	s_or_b64 s[0:1], s[0:1], s[14:15]
	s_cmp_eq_u64 s[0:1], 0
	s_mov_b32 s0, -1
	s_cbranch_scc1 .LBB112_21
; %bb.1:
	v_cmp_lt_i64_e64 s0, s[12:13], 1
	s_and_b32 vcc_lo, exec_lo, s0
	s_cbranch_vccnz .LBB112_20
; %bb.2:
	s_load_dword s0, s[4:5], 0xcd4
	v_cmp_gt_i64_e64 s1, 0x10000, s[12:13]
	v_lshlrev_b32_e32 v10, 1, v0
	v_cmp_gt_u64_e64 s2, 0x10000, s[12:13]
	v_mov_b32_e32 v11, 0
	s_mov_b64 s[18:19], 0
	s_and_b32 s1, s1, exec_lo
	v_add_co_u32 v1, s3, s6, v10
	s_cselect_b32 s15, s13, 0
	s_cselect_b32 s14, s12, 0x10000
	v_add_co_ci_u32_e64 v2, null, s7, 0, s3
	v_add_co_u32 v4, s3, s8, v10
	v_add_co_ci_u32_e64 v5, null, s9, 0, s3
	s_waitcnt lgkmcnt(0)
	s_and_b32 s0, s0, 0xffff
	s_and_b32 s1, s2, exec_lo
	s_cselect_b32 s17, s13, 0
	s_cselect_b32 s16, s12, 0x10000
	s_mul_i32 s2, s0, 3
	s_lshl_b32 s20, s0, 2
	v_mad_u64_u32 v[8:9], null, s0, 6, v[10:11]
	v_add_co_u32 v15, s3, s20, v10
	v_add_co_u32 v10, s2, s2, v0
	v_add_co_ci_u32_e64 v11, null, 0, 0, s2
	v_add_co_u32 v14, s2, v0, s0
	s_lshl_b32 s1, s0, 1
	v_add_co_u32 v6, vcc_lo, s6, v8
	v_lshlrev_b32_e32 v22, 1, v14
	v_add_co_ci_u32_e64 v16, null, 0, 0, s3
	v_add_co_ci_u32_e64 v7, null, s7, v9, vcc_lo
	v_add_co_u32 v8, vcc_lo, s8, v8
	v_add_co_u32 v18, s1, s1, v0
	v_add_co_ci_u32_e64 v9, null, s9, v9, vcc_lo
	v_add_co_u32 v12, vcc_lo, s6, v15
	v_add_co_ci_u32_e64 v19, null, 0, 0, s1
	v_add_co_u32 v20, s1, s6, v22
	v_add_co_ci_u32_e64 v13, null, s7, v16, vcc_lo
	v_add_co_u32 v15, vcc_lo, s8, v15
	v_add_co_ci_u32_e64 v21, null, s7, 0, s1
	v_add_co_u32 v22, s1, s8, v22
	v_add_co_ci_u32_e64 v16, null, s9, v16, vcc_lo
	v_add_co_ci_u32_e64 v17, null, 0, 0, s2
	v_add_co_ci_u32_e64 v23, null, s9, 0, s1
	s_lshl_b32 s21, s0, 3
	s_branch .LBB112_4
.LBB112_3:                              ;   in Loop: Header=BB112_4 Depth=1
	s_or_b32 exec_lo, exec_lo, s0
	v_add_co_u32 v1, vcc_lo, v1, s21
	v_add_co_ci_u32_e64 v2, null, 0, v2, vcc_lo
	v_add_co_u32 v4, vcc_lo, v4, s21
	v_add_co_ci_u32_e64 v5, null, 0, v5, vcc_lo
	;; [unrolled: 2-line block ×4, first 2 shown]
	v_add_co_u32 v12, vcc_lo, v12, s21
	s_add_u32 s18, s18, s20
	v_add_co_ci_u32_e64 v13, null, 0, v13, vcc_lo
	v_add_co_u32 v15, vcc_lo, v15, s21
	s_addc_u32 s19, s19, 0
	v_add_co_ci_u32_e64 v16, null, 0, v16, vcc_lo
	v_add_co_u32 v20, vcc_lo, v20, s21
	v_cmp_lt_i64_e64 s0, s[18:19], s[14:15]
	v_add_co_ci_u32_e64 v21, null, 0, v21, vcc_lo
	v_add_co_u32 v22, vcc_lo, v22, s21
	v_add_co_ci_u32_e64 v23, null, 0, v23, vcc_lo
	s_and_b32 vcc_lo, exec_lo, s0
	s_cbranch_vccz .LBB112_20
.LBB112_4:                              ; =>This Inner Loop Header: Depth=1
	s_waitcnt vmcnt(0)
	v_add_co_u32 v24, s0, v0, s18
	v_add_co_ci_u32_e64 v25, null, 0, s19, s0
	v_cmp_gt_u64_e32 vcc_lo, s[16:17], v[24:25]
	v_mov_b32_e32 v25, 0
	s_and_saveexec_b32 s1, vcc_lo
	s_cbranch_execz .LBB112_6
; %bb.5:                                ;   in Loop: Header=BB112_4 Depth=1
	v_add_co_u32 v24, s0, v1, s10
	v_add_co_ci_u32_e64 v25, null, s11, v2, s0
	global_load_ushort v25, v[24:25], off
.LBB112_6:                              ;   in Loop: Header=BB112_4 Depth=1
	s_or_b32 exec_lo, exec_lo, s1
	v_add_co_u32 v26, s0, v14, s18
	v_add_co_ci_u32_e64 v27, null, s19, v17, s0
	v_mov_b32_e32 v24, 0
	v_cmp_gt_u64_e64 s0, s[16:17], v[26:27]
	v_mov_b32_e32 v26, 0
	s_and_saveexec_b32 s2, s0
	s_cbranch_execz .LBB112_8
; %bb.7:                                ;   in Loop: Header=BB112_4 Depth=1
	v_add_co_u32 v26, s1, v20, s10
	v_add_co_ci_u32_e64 v27, null, s11, v21, s1
	global_load_ushort v26, v[26:27], off
.LBB112_8:                              ;   in Loop: Header=BB112_4 Depth=1
	s_or_b32 exec_lo, exec_lo, s2
	v_add_co_u32 v27, s1, v18, s18
	v_add_co_ci_u32_e64 v28, null, s19, v19, s1
	v_cmp_gt_u64_e64 s1, s[16:17], v[27:28]
	s_and_saveexec_b32 s3, s1
	s_cbranch_execz .LBB112_10
; %bb.9:                                ;   in Loop: Header=BB112_4 Depth=1
	v_add_co_u32 v27, s2, v12, s10
	v_add_co_ci_u32_e64 v28, null, s11, v13, s2
	global_load_ushort v24, v[27:28], off
.LBB112_10:                             ;   in Loop: Header=BB112_4 Depth=1
	s_or_b32 exec_lo, exec_lo, s3
	v_add_co_u32 v27, s2, v10, s18
	v_add_co_ci_u32_e64 v28, null, s19, v11, s2
	v_cmp_gt_u64_e64 s2, s[16:17], v[27:28]
	v_mov_b32_e32 v27, 0
	s_and_saveexec_b32 s22, s2
	s_cbranch_execnz .LBB112_15
; %bb.11:                               ;   in Loop: Header=BB112_4 Depth=1
	s_or_b32 exec_lo, exec_lo, s22
	s_and_saveexec_b32 s3, vcc_lo
	s_cbranch_execnz .LBB112_16
.LBB112_12:                             ;   in Loop: Header=BB112_4 Depth=1
	s_or_b32 exec_lo, exec_lo, s3
	s_and_saveexec_b32 s3, s0
	s_cbranch_execnz .LBB112_17
.LBB112_13:                             ;   in Loop: Header=BB112_4 Depth=1
	s_or_b32 exec_lo, exec_lo, s3
	s_and_saveexec_b32 s0, s1
	s_cbranch_execnz .LBB112_18
.LBB112_14:                             ;   in Loop: Header=BB112_4 Depth=1
	s_or_b32 exec_lo, exec_lo, s0
	s_and_saveexec_b32 s0, s2
	s_cbranch_execz .LBB112_3
	s_branch .LBB112_19
.LBB112_15:                             ;   in Loop: Header=BB112_4 Depth=1
	v_add_co_u32 v27, s3, v6, s10
	v_add_co_ci_u32_e64 v28, null, s11, v7, s3
	global_load_ushort v27, v[27:28], off
	s_or_b32 exec_lo, exec_lo, s22
	s_and_saveexec_b32 s3, vcc_lo
	s_cbranch_execz .LBB112_12
.LBB112_16:                             ;   in Loop: Header=BB112_4 Depth=1
	v_add_co_u32 v28, vcc_lo, v4, s10
	s_waitcnt vmcnt(0)
	v_sub_nc_u16 v25, v25, v3
	v_add_co_ci_u32_e64 v29, null, s11, v5, vcc_lo
	global_store_short v[28:29], v25, off
	s_or_b32 exec_lo, exec_lo, s3
	s_and_saveexec_b32 s3, s0
	s_cbranch_execz .LBB112_13
.LBB112_17:                             ;   in Loop: Header=BB112_4 Depth=1
	s_waitcnt vmcnt(0)
	v_add_co_u32 v25, vcc_lo, v22, s10
	v_sub_nc_u16 v28, v26, v3
	v_add_co_ci_u32_e64 v26, null, s11, v23, vcc_lo
	global_store_short v[25:26], v28, off
	s_or_b32 exec_lo, exec_lo, s3
	s_and_saveexec_b32 s0, s1
	s_cbranch_execz .LBB112_14
.LBB112_18:                             ;   in Loop: Header=BB112_4 Depth=1
	s_waitcnt vmcnt(0)
	v_sub_nc_u16 v26, v24, v3
	v_add_co_u32 v24, vcc_lo, v15, s10
	v_add_co_ci_u32_e64 v25, null, s11, v16, vcc_lo
	global_store_short v[24:25], v26, off
	s_or_b32 exec_lo, exec_lo, s0
	s_and_saveexec_b32 s0, s2
	s_cbranch_execz .LBB112_3
.LBB112_19:                             ;   in Loop: Header=BB112_4 Depth=1
	s_waitcnt vmcnt(0)
	v_add_co_u32 v24, vcc_lo, v8, s10
	v_sub_nc_u16 v26, v27, v3
	v_add_co_ci_u32_e64 v25, null, s11, v9, vcc_lo
	global_store_short v[24:25], v26, off
	s_branch .LBB112_3
.LBB112_20:
	s_mov_b32 s0, 0
.LBB112_21:
	s_andn2_b32 vcc_lo, exec_lo, s0
	s_cbranch_vccnz .LBB112_25
; %bb.22:
	v_cmp_gt_i64_e64 s0, 0x10000, s[12:13]
	v_mov_b32_e32 v2, 0
	v_lshlrev_b32_e32 v1, 2, v0
	s_mov_b32 s1, 0
	s_and_b32 s0, s0, exec_lo
	s_cselect_b32 s3, s13, 0
	s_cselect_b32 s2, s12, 0x10000
	s_mov_b32 s0, exec_lo
	v_cmpx_gt_i64_e64 s[2:3], v[1:2]
	s_cbranch_execz .LBB112_25
; %bb.23:
	s_load_dword s0, s[4:5], 0xcd4
	v_lshlrev_b32_e32 v4, 3, v0
	v_mov_b32_e32 v1, v2
	v_add_co_u32 v2, s4, s10, v4
	v_add_co_ci_u32_e64 v4, null, s11, 0, s4
	s_waitcnt lgkmcnt(0)
	s_and_b32 s4, s0, 0xffff
	s_lshl_b32 s5, s4, 3
	s_inst_prefetch 0x1
	.p2align	6
.LBB112_24:                             ; =>This Inner Loop Header: Depth=1
	v_add_co_u32 v5, vcc_lo, s6, v2
	v_add_co_ci_u32_e64 v6, null, s7, v4, vcc_lo
	v_add_co_u32 v0, vcc_lo, v0, s4
	v_add_co_ci_u32_e64 v1, null, 0, v1, vcc_lo
	global_load_dwordx2 v[5:6], v[5:6], off
	v_add_co_u32 v7, vcc_lo, s8, v2
	v_lshlrev_b64 v[9:10], 2, v[0:1]
	v_add_co_ci_u32_e64 v8, null, s9, v4, vcc_lo
	v_add_co_u32 v2, vcc_lo, v2, s5
	v_add_co_ci_u32_e64 v4, null, 0, v4, vcc_lo
	v_cmp_le_i64_e64 s0, s[2:3], v[9:10]
	s_or_b32 s1, s0, s1
	s_waitcnt vmcnt(0)
	v_lshrrev_b32_e32 v11, 16, v6
	v_lshrrev_b32_e32 v12, 16, v5
	v_sub_nc_u16 v5, v5, v3
	v_sub_nc_u16 v6, v6, v3
	;; [unrolled: 1-line block ×4, first 2 shown]
	v_perm_b32 v6, v11, v6, 0x5040100
	v_perm_b32 v5, v12, v5, 0x5040100
	global_store_dwordx2 v[7:8], v[5:6], off
	s_andn2_b32 exec_lo, exec_lo, s1
	s_cbranch_execnz .LBB112_24
.LBB112_25:
	s_inst_prefetch 0x2
	s_endpgm
	.section	.rodata,"a",@progbits
	.p2align	6, 0x0
	.amdhsa_kernel _ZN2at6native12_GLOBAL__N_125multi_tensor_apply_kernelINS1_28TensorListScalarListMetadataIsLi2EEENS1_25BinaryOpScalarListFunctorIsLi2ELi1ELi1EEEJSt5minusIsEEEEvT_T0_DpT1_
		.amdhsa_group_segment_fixed_size 0
		.amdhsa_private_segment_fixed_size 0
		.amdhsa_kernarg_size 3528
		.amdhsa_user_sgpr_count 6
		.amdhsa_user_sgpr_private_segment_buffer 1
		.amdhsa_user_sgpr_dispatch_ptr 0
		.amdhsa_user_sgpr_queue_ptr 0
		.amdhsa_user_sgpr_kernarg_segment_ptr 1
		.amdhsa_user_sgpr_dispatch_id 0
		.amdhsa_user_sgpr_flat_scratch_init 0
		.amdhsa_user_sgpr_private_segment_size 0
		.amdhsa_wavefront_size32 1
		.amdhsa_uses_dynamic_stack 0
		.amdhsa_system_sgpr_private_segment_wavefront_offset 0
		.amdhsa_system_sgpr_workgroup_id_x 1
		.amdhsa_system_sgpr_workgroup_id_y 0
		.amdhsa_system_sgpr_workgroup_id_z 0
		.amdhsa_system_sgpr_workgroup_info 0
		.amdhsa_system_vgpr_workitem_id 0
		.amdhsa_next_free_vgpr 30
		.amdhsa_next_free_sgpr 23
		.amdhsa_reserve_vcc 1
		.amdhsa_reserve_flat_scratch 0
		.amdhsa_float_round_mode_32 0
		.amdhsa_float_round_mode_16_64 0
		.amdhsa_float_denorm_mode_32 3
		.amdhsa_float_denorm_mode_16_64 3
		.amdhsa_dx10_clamp 1
		.amdhsa_ieee_mode 1
		.amdhsa_fp16_overflow 0
		.amdhsa_workgroup_processor_mode 1
		.amdhsa_memory_ordered 1
		.amdhsa_forward_progress 1
		.amdhsa_shared_vgpr_count 0
		.amdhsa_exception_fp_ieee_invalid_op 0
		.amdhsa_exception_fp_denorm_src 0
		.amdhsa_exception_fp_ieee_div_zero 0
		.amdhsa_exception_fp_ieee_overflow 0
		.amdhsa_exception_fp_ieee_underflow 0
		.amdhsa_exception_fp_ieee_inexact 0
		.amdhsa_exception_int_div_zero 0
	.end_amdhsa_kernel
	.section	.text._ZN2at6native12_GLOBAL__N_125multi_tensor_apply_kernelINS1_28TensorListScalarListMetadataIsLi2EEENS1_25BinaryOpScalarListFunctorIsLi2ELi1ELi1EEEJSt5minusIsEEEEvT_T0_DpT1_,"axG",@progbits,_ZN2at6native12_GLOBAL__N_125multi_tensor_apply_kernelINS1_28TensorListScalarListMetadataIsLi2EEENS1_25BinaryOpScalarListFunctorIsLi2ELi1ELi1EEEJSt5minusIsEEEEvT_T0_DpT1_,comdat
.Lfunc_end112:
	.size	_ZN2at6native12_GLOBAL__N_125multi_tensor_apply_kernelINS1_28TensorListScalarListMetadataIsLi2EEENS1_25BinaryOpScalarListFunctorIsLi2ELi1ELi1EEEJSt5minusIsEEEEvT_T0_DpT1_, .Lfunc_end112-_ZN2at6native12_GLOBAL__N_125multi_tensor_apply_kernelINS1_28TensorListScalarListMetadataIsLi2EEENS1_25BinaryOpScalarListFunctorIsLi2ELi1ELi1EEEJSt5minusIsEEEEvT_T0_DpT1_
                                        ; -- End function
	.set _ZN2at6native12_GLOBAL__N_125multi_tensor_apply_kernelINS1_28TensorListScalarListMetadataIsLi2EEENS1_25BinaryOpScalarListFunctorIsLi2ELi1ELi1EEEJSt5minusIsEEEEvT_T0_DpT1_.num_vgpr, 30
	.set _ZN2at6native12_GLOBAL__N_125multi_tensor_apply_kernelINS1_28TensorListScalarListMetadataIsLi2EEENS1_25BinaryOpScalarListFunctorIsLi2ELi1ELi1EEEJSt5minusIsEEEEvT_T0_DpT1_.num_agpr, 0
	.set _ZN2at6native12_GLOBAL__N_125multi_tensor_apply_kernelINS1_28TensorListScalarListMetadataIsLi2EEENS1_25BinaryOpScalarListFunctorIsLi2ELi1ELi1EEEJSt5minusIsEEEEvT_T0_DpT1_.numbered_sgpr, 23
	.set _ZN2at6native12_GLOBAL__N_125multi_tensor_apply_kernelINS1_28TensorListScalarListMetadataIsLi2EEENS1_25BinaryOpScalarListFunctorIsLi2ELi1ELi1EEEJSt5minusIsEEEEvT_T0_DpT1_.num_named_barrier, 0
	.set _ZN2at6native12_GLOBAL__N_125multi_tensor_apply_kernelINS1_28TensorListScalarListMetadataIsLi2EEENS1_25BinaryOpScalarListFunctorIsLi2ELi1ELi1EEEJSt5minusIsEEEEvT_T0_DpT1_.private_seg_size, 0
	.set _ZN2at6native12_GLOBAL__N_125multi_tensor_apply_kernelINS1_28TensorListScalarListMetadataIsLi2EEENS1_25BinaryOpScalarListFunctorIsLi2ELi1ELi1EEEJSt5minusIsEEEEvT_T0_DpT1_.uses_vcc, 1
	.set _ZN2at6native12_GLOBAL__N_125multi_tensor_apply_kernelINS1_28TensorListScalarListMetadataIsLi2EEENS1_25BinaryOpScalarListFunctorIsLi2ELi1ELi1EEEJSt5minusIsEEEEvT_T0_DpT1_.uses_flat_scratch, 0
	.set _ZN2at6native12_GLOBAL__N_125multi_tensor_apply_kernelINS1_28TensorListScalarListMetadataIsLi2EEENS1_25BinaryOpScalarListFunctorIsLi2ELi1ELi1EEEJSt5minusIsEEEEvT_T0_DpT1_.has_dyn_sized_stack, 0
	.set _ZN2at6native12_GLOBAL__N_125multi_tensor_apply_kernelINS1_28TensorListScalarListMetadataIsLi2EEENS1_25BinaryOpScalarListFunctorIsLi2ELi1ELi1EEEJSt5minusIsEEEEvT_T0_DpT1_.has_recursion, 0
	.set _ZN2at6native12_GLOBAL__N_125multi_tensor_apply_kernelINS1_28TensorListScalarListMetadataIsLi2EEENS1_25BinaryOpScalarListFunctorIsLi2ELi1ELi1EEEJSt5minusIsEEEEvT_T0_DpT1_.has_indirect_call, 0
	.section	.AMDGPU.csdata,"",@progbits
; Kernel info:
; codeLenInByte = 1528
; TotalNumSgprs: 25
; NumVgprs: 30
; ScratchSize: 0
; MemoryBound: 0
; FloatMode: 240
; IeeeMode: 1
; LDSByteSize: 0 bytes/workgroup (compile time only)
; SGPRBlocks: 0
; VGPRBlocks: 3
; NumSGPRsForWavesPerEU: 25
; NumVGPRsForWavesPerEU: 30
; Occupancy: 16
; WaveLimiterHint : 0
; COMPUTE_PGM_RSRC2:SCRATCH_EN: 0
; COMPUTE_PGM_RSRC2:USER_SGPR: 6
; COMPUTE_PGM_RSRC2:TRAP_HANDLER: 0
; COMPUTE_PGM_RSRC2:TGID_X_EN: 1
; COMPUTE_PGM_RSRC2:TGID_Y_EN: 0
; COMPUTE_PGM_RSRC2:TGID_Z_EN: 0
; COMPUTE_PGM_RSRC2:TIDIG_COMP_CNT: 0
	.section	.text._ZN2at6native12_GLOBAL__N_125multi_tensor_apply_kernelINS1_28TensorListScalarListMetadataIdLi2EEENS1_25BinaryOpScalarListFunctorIdLi2ELi1ELi1EEEJSt5minusIdEEEEvT_T0_DpT1_,"axG",@progbits,_ZN2at6native12_GLOBAL__N_125multi_tensor_apply_kernelINS1_28TensorListScalarListMetadataIdLi2EEENS1_25BinaryOpScalarListFunctorIdLi2ELi1ELi1EEEJSt5minusIdEEEEvT_T0_DpT1_,comdat
	.globl	_ZN2at6native12_GLOBAL__N_125multi_tensor_apply_kernelINS1_28TensorListScalarListMetadataIdLi2EEENS1_25BinaryOpScalarListFunctorIdLi2ELi1ELi1EEEJSt5minusIdEEEEvT_T0_DpT1_ ; -- Begin function _ZN2at6native12_GLOBAL__N_125multi_tensor_apply_kernelINS1_28TensorListScalarListMetadataIdLi2EEENS1_25BinaryOpScalarListFunctorIdLi2ELi1ELi1EEEJSt5minusIdEEEEvT_T0_DpT1_
	.p2align	8
	.type	_ZN2at6native12_GLOBAL__N_125multi_tensor_apply_kernelINS1_28TensorListScalarListMetadataIdLi2EEENS1_25BinaryOpScalarListFunctorIdLi2ELi1ELi1EEEJSt5minusIdEEEEvT_T0_DpT1_,@function
_ZN2at6native12_GLOBAL__N_125multi_tensor_apply_kernelINS1_28TensorListScalarListMetadataIdLi2EEENS1_25BinaryOpScalarListFunctorIdLi2ELi1ELi1EEEJSt5minusIdEEEEvT_T0_DpT1_: ; @_ZN2at6native12_GLOBAL__N_125multi_tensor_apply_kernelINS1_28TensorListScalarListMetadataIdLi2EEENS1_25BinaryOpScalarListFunctorIdLi2ELi1ELi1EEEJSt5minusIdEEEEvT_T0_DpT1_
; %bb.0:
	v_mov_b32_e32 v1, 0x800
	s_add_u32 s0, s4, s6
	s_addc_u32 s1, s5, 0
	s_mov_b32 s7, 0
	s_mov_b32 s19, s7
	global_load_ubyte v1, v1, s[0:1]
	s_lshl_b64 s[0:1], s[6:7], 2
	s_add_u32 s0, s4, s0
	s_addc_u32 s1, s5, s1
	s_load_dword s0, s[0:1], 0x940
	s_waitcnt vmcnt(0)
	v_readfirstlane_b32 s1, v1
	s_lshl_b32 s1, s1, 3
	s_clause 0x3
	s_load_dwordx2 s[8:9], s[4:5], s1 offset:0x0
	s_load_dwordx2 s[10:11], s[4:5], s1 offset:0x600
	;; [unrolled: 1-line block ×4, first 2 shown]
	s_waitcnt lgkmcnt(0)
	s_ashr_i32 s1, s0, 31
	s_lshl_b64 s[14:15], s[0:1], 19
	s_lshl_b64 s[0:1], s[0:1], 16
	s_add_u32 s6, s8, s14
	s_and_b32 s18, s12, 31
	s_and_b32 s6, s6, 31
	s_sub_u32 s16, s2, s0
	s_subb_u32 s17, s3, s1
	s_and_b32 s0, s2, 3
	s_mov_b32 s1, s7
	s_or_b64 s[0:1], s[18:19], s[0:1]
	s_or_b64 s[0:1], s[0:1], s[6:7]
	s_cmp_eq_u64 s[0:1], 0
	s_mov_b32 s0, -1
	s_cbranch_scc1 .LBB113_21
; %bb.1:
	v_cmp_lt_i64_e64 s0, s[16:17], 1
	s_and_b32 vcc_lo, exec_lo, s0
	s_cbranch_vccnz .LBB113_20
; %bb.2:
	s_load_dword s0, s[4:5], 0xe54
	v_cmp_gt_i64_e64 s1, 0x10000, s[16:17]
	v_lshlrev_b32_e32 v1, 3, v0
	v_mov_b32_e32 v2, 0
	v_cmp_gt_u64_e64 s2, 0x10000, s[16:17]
	s_mov_b64 s[20:21], 0
	s_and_b32 s1, s1, exec_lo
	s_cselect_b32 s7, s17, 0
	s_cselect_b32 s6, s16, 0x10000
	v_add_co_u32 v11, s1, s12, v1
	v_add_co_u32 v9, s3, s8, v1
	v_add_co_ci_u32_e64 v12, null, s13, 0, s1
	v_add_co_ci_u32_e64 v10, null, s9, 0, s3
	s_waitcnt lgkmcnt(0)
	s_and_b32 s0, s0, 0xffff
	s_and_b32 s1, s2, exec_lo
	v_mad_u64_u32 v[2:3], null, s0, 24, v[1:2]
	s_cselect_b32 s19, s17, 0
	s_cselect_b32 s18, s16, 0x10000
	s_mul_i32 s2, s0, 3
	s_lshl_b32 s3, s0, 4
	v_add_co_u32 v17, s2, s2, v0
	v_add_co_u32 v13, vcc_lo, s8, v2
	v_add_co_u32 v1, s3, s3, v1
	v_add_co_ci_u32_e64 v14, null, s9, v3, vcc_lo
	v_add_co_u32 v15, vcc_lo, s12, v2
	v_add_co_ci_u32_e64 v2, null, 0, 0, s3
	v_add_co_ci_u32_e64 v18, null, 0, 0, s2
	v_add_co_u32 v21, s2, v0, s0
	v_add_co_ci_u32_e64 v16, null, s13, v3, vcc_lo
	v_add_co_u32 v19, vcc_lo, s8, v1
	v_add_co_ci_u32_e64 v20, null, s9, v2, vcc_lo
	v_add_co_u32 v22, vcc_lo, s12, v1
	v_lshlrev_b32_e32 v1, 3, v21
	s_lshl_b32 s1, s0, 1
	v_add_co_ci_u32_e64 v23, null, s13, v2, vcc_lo
	v_add_co_u32 v25, s1, s1, v0
	v_add_co_ci_u32_e64 v26, null, 0, 0, s1
	v_add_co_u32 v27, s1, s8, v1
	v_add_co_ci_u32_e64 v28, null, s9, 0, s1
	;; [unrolled: 2-line block ×3, first 2 shown]
	v_add_co_ci_u32_e64 v30, null, s13, 0, s1
	s_lshl_b32 s22, s0, 2
	s_lshl_b32 s23, s0, 5
	s_branch .LBB113_4
.LBB113_3:                              ;   in Loop: Header=BB113_4 Depth=1
	s_or_b32 exec_lo, exec_lo, s0
	v_add_co_u32 v9, vcc_lo, v9, s23
	v_add_co_ci_u32_e64 v10, null, 0, v10, vcc_lo
	v_add_co_u32 v11, vcc_lo, v11, s23
	v_add_co_ci_u32_e64 v12, null, 0, v12, vcc_lo
	;; [unrolled: 2-line block ×4, first 2 shown]
	v_add_co_u32 v19, vcc_lo, v19, s23
	s_add_u32 s20, s20, s22
	v_add_co_ci_u32_e64 v20, null, 0, v20, vcc_lo
	v_add_co_u32 v22, vcc_lo, v22, s23
	s_addc_u32 s21, s21, 0
	v_add_co_ci_u32_e64 v23, null, 0, v23, vcc_lo
	v_add_co_u32 v27, vcc_lo, v27, s23
	v_cmp_lt_i64_e64 s0, s[20:21], s[6:7]
	v_add_co_ci_u32_e64 v28, null, 0, v28, vcc_lo
	v_add_co_u32 v29, vcc_lo, v29, s23
	v_add_co_ci_u32_e64 v30, null, 0, v30, vcc_lo
	s_and_b32 vcc_lo, exec_lo, s0
	s_cbranch_vccz .LBB113_20
.LBB113_4:                              ; =>This Inner Loop Header: Depth=1
	s_waitcnt vmcnt(0)
	v_add_co_u32 v3, s0, v0, s20
	v_add_co_ci_u32_e64 v4, null, 0, s21, s0
	v_mov_b32_e32 v1, 0
	v_mov_b32_e32 v2, 0
	v_cmp_gt_u64_e32 vcc_lo, s[18:19], v[3:4]
	v_mov_b32_e32 v3, 0
	v_mov_b32_e32 v4, 0
	s_and_saveexec_b32 s1, vcc_lo
	s_cbranch_execz .LBB113_6
; %bb.5:                                ;   in Loop: Header=BB113_4 Depth=1
	v_add_co_u32 v3, s0, v9, s14
	v_add_co_ci_u32_e64 v4, null, s15, v10, s0
	global_load_dwordx2 v[3:4], v[3:4], off
.LBB113_6:                              ;   in Loop: Header=BB113_4 Depth=1
	s_or_b32 exec_lo, exec_lo, s1
	v_add_co_u32 v5, s0, v21, s20
	v_add_co_ci_u32_e64 v6, null, s21, v24, s0
	v_cmp_gt_u64_e64 s0, s[18:19], v[5:6]
	s_and_saveexec_b32 s2, s0
	s_cbranch_execz .LBB113_8
; %bb.7:                                ;   in Loop: Header=BB113_4 Depth=1
	v_add_co_u32 v1, s1, v27, s14
	v_add_co_ci_u32_e64 v2, null, s15, v28, s1
	global_load_dwordx2 v[1:2], v[1:2], off
.LBB113_8:                              ;   in Loop: Header=BB113_4 Depth=1
	s_or_b32 exec_lo, exec_lo, s2
	v_add_co_u32 v7, s1, v25, s20
	v_add_co_ci_u32_e64 v8, null, s21, v26, s1
	v_mov_b32_e32 v5, 0
	v_mov_b32_e32 v6, 0
	v_cmp_gt_u64_e64 s1, s[18:19], v[7:8]
	v_mov_b32_e32 v7, 0
	v_mov_b32_e32 v8, 0
	s_and_saveexec_b32 s3, s1
	s_cbranch_execz .LBB113_10
; %bb.9:                                ;   in Loop: Header=BB113_4 Depth=1
	v_add_co_u32 v7, s2, v19, s14
	v_add_co_ci_u32_e64 v8, null, s15, v20, s2
	global_load_dwordx2 v[7:8], v[7:8], off
.LBB113_10:                             ;   in Loop: Header=BB113_4 Depth=1
	s_or_b32 exec_lo, exec_lo, s3
	v_add_co_u32 v31, s2, v17, s20
	v_add_co_ci_u32_e64 v32, null, s21, v18, s2
	v_cmp_gt_u64_e64 s2, s[18:19], v[31:32]
	s_and_saveexec_b32 s24, s2
	s_cbranch_execnz .LBB113_15
; %bb.11:                               ;   in Loop: Header=BB113_4 Depth=1
	s_or_b32 exec_lo, exec_lo, s24
	s_and_saveexec_b32 s3, vcc_lo
	s_cbranch_execnz .LBB113_16
.LBB113_12:                             ;   in Loop: Header=BB113_4 Depth=1
	s_or_b32 exec_lo, exec_lo, s3
	s_and_saveexec_b32 s3, s0
	s_cbranch_execnz .LBB113_17
.LBB113_13:                             ;   in Loop: Header=BB113_4 Depth=1
	s_or_b32 exec_lo, exec_lo, s3
	s_and_saveexec_b32 s0, s1
	s_cbranch_execnz .LBB113_18
.LBB113_14:                             ;   in Loop: Header=BB113_4 Depth=1
	s_or_b32 exec_lo, exec_lo, s0
	s_and_saveexec_b32 s0, s2
	s_cbranch_execz .LBB113_3
	s_branch .LBB113_19
.LBB113_15:                             ;   in Loop: Header=BB113_4 Depth=1
	v_add_co_u32 v5, s3, v13, s14
	v_add_co_ci_u32_e64 v6, null, s15, v14, s3
	global_load_dwordx2 v[5:6], v[5:6], off
	s_or_b32 exec_lo, exec_lo, s24
	s_and_saveexec_b32 s3, vcc_lo
	s_cbranch_execz .LBB113_12
.LBB113_16:                             ;   in Loop: Header=BB113_4 Depth=1
	s_waitcnt vmcnt(0)
	v_add_f64 v[3:4], v[3:4], -s[10:11]
	v_add_co_u32 v31, vcc_lo, v11, s14
	v_add_co_ci_u32_e64 v32, null, s15, v12, vcc_lo
	global_store_dwordx2 v[31:32], v[3:4], off
	s_or_b32 exec_lo, exec_lo, s3
	s_and_saveexec_b32 s3, s0
	s_cbranch_execz .LBB113_13
.LBB113_17:                             ;   in Loop: Header=BB113_4 Depth=1
	s_waitcnt vmcnt(0)
	v_add_f64 v[1:2], v[1:2], -s[10:11]
	v_add_co_u32 v3, vcc_lo, v29, s14
	v_add_co_ci_u32_e64 v4, null, s15, v30, vcc_lo
	global_store_dwordx2 v[3:4], v[1:2], off
	s_or_b32 exec_lo, exec_lo, s3
	s_and_saveexec_b32 s0, s1
	s_cbranch_execz .LBB113_14
.LBB113_18:                             ;   in Loop: Header=BB113_4 Depth=1
	s_waitcnt vmcnt(0)
	v_add_f64 v[1:2], v[7:8], -s[10:11]
	v_add_co_u32 v3, vcc_lo, v22, s14
	v_add_co_ci_u32_e64 v4, null, s15, v23, vcc_lo
	global_store_dwordx2 v[3:4], v[1:2], off
	s_or_b32 exec_lo, exec_lo, s0
	s_and_saveexec_b32 s0, s2
	s_cbranch_execz .LBB113_3
.LBB113_19:                             ;   in Loop: Header=BB113_4 Depth=1
	s_waitcnt vmcnt(0)
	v_add_f64 v[1:2], v[5:6], -s[10:11]
	v_add_co_u32 v3, vcc_lo, v15, s14
	v_add_co_ci_u32_e64 v4, null, s15, v16, vcc_lo
	global_store_dwordx2 v[3:4], v[1:2], off
	s_branch .LBB113_3
.LBB113_20:
	s_mov_b32 s0, 0
.LBB113_21:
	s_andn2_b32 vcc_lo, exec_lo, s0
	s_cbranch_vccnz .LBB113_25
; %bb.22:
	v_cmp_gt_i64_e64 s0, 0x10000, s[16:17]
	s_waitcnt vmcnt(0)
	v_mov_b32_e32 v2, 0
	v_lshlrev_b32_e32 v1, 2, v0
	s_mov_b32 s1, 0
	s_and_b32 s0, s0, exec_lo
	s_cselect_b32 s3, s17, 0
	s_cselect_b32 s2, s16, 0x10000
	s_mov_b32 s0, exec_lo
	v_cmpx_gt_i64_e64 s[2:3], v[1:2]
	s_cbranch_execz .LBB113_25
; %bb.23:
	s_load_dword s0, s[4:5], 0xe54
	v_lshlrev_b32_e32 v3, 5, v0
	v_mov_b32_e32 v1, v2
	v_add_co_u32 v2, s4, s14, v3
	v_add_co_ci_u32_e64 v3, null, s15, 0, s4
	s_waitcnt lgkmcnt(0)
	s_and_b32 s4, s0, 0xffff
	s_lshl_b32 s5, s4, 5
	s_inst_prefetch 0x1
	.p2align	6
.LBB113_24:                             ; =>This Inner Loop Header: Depth=1
	v_add_co_u32 v8, vcc_lo, s8, v2
	v_add_co_ci_u32_e64 v9, null, s9, v3, vcc_lo
	v_add_co_u32 v0, vcc_lo, v0, s4
	v_add_co_ci_u32_e64 v1, null, 0, v1, vcc_lo
	s_clause 0x1
	global_load_dwordx4 v[4:7], v[8:9], off
	global_load_dwordx4 v[8:11], v[8:9], off offset:16
	v_add_co_u32 v14, vcc_lo, s12, v2
	v_lshlrev_b64 v[12:13], 2, v[0:1]
	v_add_co_ci_u32_e64 v15, null, s13, v3, vcc_lo
	v_add_co_u32 v2, s0, v2, s5
	v_add_co_ci_u32_e64 v3, null, 0, v3, s0
	v_cmp_le_i64_e32 vcc_lo, s[2:3], v[12:13]
	s_or_b32 s1, vcc_lo, s1
	s_waitcnt vmcnt(1)
	v_add_f64 v[4:5], v[4:5], -s[10:11]
	v_add_f64 v[6:7], v[6:7], -s[10:11]
	s_waitcnt vmcnt(0)
	v_add_f64 v[8:9], v[8:9], -s[10:11]
	v_add_f64 v[10:11], v[10:11], -s[10:11]
	global_store_dwordx4 v[14:15], v[4:7], off
	global_store_dwordx4 v[14:15], v[8:11], off offset:16
	s_andn2_b32 exec_lo, exec_lo, s1
	s_cbranch_execnz .LBB113_24
.LBB113_25:
	s_inst_prefetch 0x2
	s_endpgm
	.section	.rodata,"a",@progbits
	.p2align	6, 0x0
	.amdhsa_kernel _ZN2at6native12_GLOBAL__N_125multi_tensor_apply_kernelINS1_28TensorListScalarListMetadataIdLi2EEENS1_25BinaryOpScalarListFunctorIdLi2ELi1ELi1EEEJSt5minusIdEEEEvT_T0_DpT1_
		.amdhsa_group_segment_fixed_size 0
		.amdhsa_private_segment_fixed_size 0
		.amdhsa_kernarg_size 3912
		.amdhsa_user_sgpr_count 6
		.amdhsa_user_sgpr_private_segment_buffer 1
		.amdhsa_user_sgpr_dispatch_ptr 0
		.amdhsa_user_sgpr_queue_ptr 0
		.amdhsa_user_sgpr_kernarg_segment_ptr 1
		.amdhsa_user_sgpr_dispatch_id 0
		.amdhsa_user_sgpr_flat_scratch_init 0
		.amdhsa_user_sgpr_private_segment_size 0
		.amdhsa_wavefront_size32 1
		.amdhsa_uses_dynamic_stack 0
		.amdhsa_system_sgpr_private_segment_wavefront_offset 0
		.amdhsa_system_sgpr_workgroup_id_x 1
		.amdhsa_system_sgpr_workgroup_id_y 0
		.amdhsa_system_sgpr_workgroup_id_z 0
		.amdhsa_system_sgpr_workgroup_info 0
		.amdhsa_system_vgpr_workitem_id 0
		.amdhsa_next_free_vgpr 33
		.amdhsa_next_free_sgpr 25
		.amdhsa_reserve_vcc 1
		.amdhsa_reserve_flat_scratch 0
		.amdhsa_float_round_mode_32 0
		.amdhsa_float_round_mode_16_64 0
		.amdhsa_float_denorm_mode_32 3
		.amdhsa_float_denorm_mode_16_64 3
		.amdhsa_dx10_clamp 1
		.amdhsa_ieee_mode 1
		.amdhsa_fp16_overflow 0
		.amdhsa_workgroup_processor_mode 1
		.amdhsa_memory_ordered 1
		.amdhsa_forward_progress 1
		.amdhsa_shared_vgpr_count 0
		.amdhsa_exception_fp_ieee_invalid_op 0
		.amdhsa_exception_fp_denorm_src 0
		.amdhsa_exception_fp_ieee_div_zero 0
		.amdhsa_exception_fp_ieee_overflow 0
		.amdhsa_exception_fp_ieee_underflow 0
		.amdhsa_exception_fp_ieee_inexact 0
		.amdhsa_exception_int_div_zero 0
	.end_amdhsa_kernel
	.section	.text._ZN2at6native12_GLOBAL__N_125multi_tensor_apply_kernelINS1_28TensorListScalarListMetadataIdLi2EEENS1_25BinaryOpScalarListFunctorIdLi2ELi1ELi1EEEJSt5minusIdEEEEvT_T0_DpT1_,"axG",@progbits,_ZN2at6native12_GLOBAL__N_125multi_tensor_apply_kernelINS1_28TensorListScalarListMetadataIdLi2EEENS1_25BinaryOpScalarListFunctorIdLi2ELi1ELi1EEEJSt5minusIdEEEEvT_T0_DpT1_,comdat
.Lfunc_end113:
	.size	_ZN2at6native12_GLOBAL__N_125multi_tensor_apply_kernelINS1_28TensorListScalarListMetadataIdLi2EEENS1_25BinaryOpScalarListFunctorIdLi2ELi1ELi1EEEJSt5minusIdEEEEvT_T0_DpT1_, .Lfunc_end113-_ZN2at6native12_GLOBAL__N_125multi_tensor_apply_kernelINS1_28TensorListScalarListMetadataIdLi2EEENS1_25BinaryOpScalarListFunctorIdLi2ELi1ELi1EEEJSt5minusIdEEEEvT_T0_DpT1_
                                        ; -- End function
	.set _ZN2at6native12_GLOBAL__N_125multi_tensor_apply_kernelINS1_28TensorListScalarListMetadataIdLi2EEENS1_25BinaryOpScalarListFunctorIdLi2ELi1ELi1EEEJSt5minusIdEEEEvT_T0_DpT1_.num_vgpr, 33
	.set _ZN2at6native12_GLOBAL__N_125multi_tensor_apply_kernelINS1_28TensorListScalarListMetadataIdLi2EEENS1_25BinaryOpScalarListFunctorIdLi2ELi1ELi1EEEJSt5minusIdEEEEvT_T0_DpT1_.num_agpr, 0
	.set _ZN2at6native12_GLOBAL__N_125multi_tensor_apply_kernelINS1_28TensorListScalarListMetadataIdLi2EEENS1_25BinaryOpScalarListFunctorIdLi2ELi1ELi1EEEJSt5minusIdEEEEvT_T0_DpT1_.numbered_sgpr, 25
	.set _ZN2at6native12_GLOBAL__N_125multi_tensor_apply_kernelINS1_28TensorListScalarListMetadataIdLi2EEENS1_25BinaryOpScalarListFunctorIdLi2ELi1ELi1EEEJSt5minusIdEEEEvT_T0_DpT1_.num_named_barrier, 0
	.set _ZN2at6native12_GLOBAL__N_125multi_tensor_apply_kernelINS1_28TensorListScalarListMetadataIdLi2EEENS1_25BinaryOpScalarListFunctorIdLi2ELi1ELi1EEEJSt5minusIdEEEEvT_T0_DpT1_.private_seg_size, 0
	.set _ZN2at6native12_GLOBAL__N_125multi_tensor_apply_kernelINS1_28TensorListScalarListMetadataIdLi2EEENS1_25BinaryOpScalarListFunctorIdLi2ELi1ELi1EEEJSt5minusIdEEEEvT_T0_DpT1_.uses_vcc, 1
	.set _ZN2at6native12_GLOBAL__N_125multi_tensor_apply_kernelINS1_28TensorListScalarListMetadataIdLi2EEENS1_25BinaryOpScalarListFunctorIdLi2ELi1ELi1EEEJSt5minusIdEEEEvT_T0_DpT1_.uses_flat_scratch, 0
	.set _ZN2at6native12_GLOBAL__N_125multi_tensor_apply_kernelINS1_28TensorListScalarListMetadataIdLi2EEENS1_25BinaryOpScalarListFunctorIdLi2ELi1ELi1EEEJSt5minusIdEEEEvT_T0_DpT1_.has_dyn_sized_stack, 0
	.set _ZN2at6native12_GLOBAL__N_125multi_tensor_apply_kernelINS1_28TensorListScalarListMetadataIdLi2EEENS1_25BinaryOpScalarListFunctorIdLi2ELi1ELi1EEEJSt5minusIdEEEEvT_T0_DpT1_.has_recursion, 0
	.set _ZN2at6native12_GLOBAL__N_125multi_tensor_apply_kernelINS1_28TensorListScalarListMetadataIdLi2EEENS1_25BinaryOpScalarListFunctorIdLi2ELi1ELi1EEEJSt5minusIdEEEEvT_T0_DpT1_.has_indirect_call, 0
	.section	.AMDGPU.csdata,"",@progbits
; Kernel info:
; codeLenInByte = 1516
; TotalNumSgprs: 27
; NumVgprs: 33
; ScratchSize: 0
; MemoryBound: 0
; FloatMode: 240
; IeeeMode: 1
; LDSByteSize: 0 bytes/workgroup (compile time only)
; SGPRBlocks: 0
; VGPRBlocks: 4
; NumSGPRsForWavesPerEU: 27
; NumVGPRsForWavesPerEU: 33
; Occupancy: 16
; WaveLimiterHint : 1
; COMPUTE_PGM_RSRC2:SCRATCH_EN: 0
; COMPUTE_PGM_RSRC2:USER_SGPR: 6
; COMPUTE_PGM_RSRC2:TRAP_HANDLER: 0
; COMPUTE_PGM_RSRC2:TGID_X_EN: 1
; COMPUTE_PGM_RSRC2:TGID_Y_EN: 0
; COMPUTE_PGM_RSRC2:TGID_Z_EN: 0
; COMPUTE_PGM_RSRC2:TIDIG_COMP_CNT: 0
	.section	.text._ZN2at6native12_GLOBAL__N_125multi_tensor_apply_kernelINS1_28TensorListScalarListMetadataIfLi2EEENS1_25BinaryOpScalarListFunctorIfLi2ELi1ELi1EEEJSt5minusIfEEEEvT_T0_DpT1_,"axG",@progbits,_ZN2at6native12_GLOBAL__N_125multi_tensor_apply_kernelINS1_28TensorListScalarListMetadataIfLi2EEENS1_25BinaryOpScalarListFunctorIfLi2ELi1ELi1EEEJSt5minusIfEEEEvT_T0_DpT1_,comdat
	.globl	_ZN2at6native12_GLOBAL__N_125multi_tensor_apply_kernelINS1_28TensorListScalarListMetadataIfLi2EEENS1_25BinaryOpScalarListFunctorIfLi2ELi1ELi1EEEJSt5minusIfEEEEvT_T0_DpT1_ ; -- Begin function _ZN2at6native12_GLOBAL__N_125multi_tensor_apply_kernelINS1_28TensorListScalarListMetadataIfLi2EEENS1_25BinaryOpScalarListFunctorIfLi2ELi1ELi1EEEJSt5minusIfEEEEvT_T0_DpT1_
	.p2align	8
	.type	_ZN2at6native12_GLOBAL__N_125multi_tensor_apply_kernelINS1_28TensorListScalarListMetadataIfLi2EEENS1_25BinaryOpScalarListFunctorIfLi2ELi1ELi1EEEJSt5minusIfEEEEvT_T0_DpT1_,@function
_ZN2at6native12_GLOBAL__N_125multi_tensor_apply_kernelINS1_28TensorListScalarListMetadataIfLi2EEENS1_25BinaryOpScalarListFunctorIfLi2ELi1ELi1EEEJSt5minusIfEEEEvT_T0_DpT1_: ; @_ZN2at6native12_GLOBAL__N_125multi_tensor_apply_kernelINS1_28TensorListScalarListMetadataIfLi2EEENS1_25BinaryOpScalarListFunctorIfLi2ELi1ELi1EEEJSt5minusIfEEEEvT_T0_DpT1_
; %bb.0:
	v_mov_b32_e32 v1, s6
	s_add_u32 s0, s4, s6
	s_mul_hi_u32 s1, s6, 3
	s_mul_i32 s6, s6, 3
	s_addc_u32 s2, s5, 0
	global_load_ubyte v1, v1, s[4:5] offset:1792
	s_add_u32 s0, s0, s6
	s_addc_u32 s1, s2, s1
	s_mov_b32 s15, 0
	s_load_dword s0, s[0:1], 0x840
	s_mov_b32 s17, s15
	s_waitcnt vmcnt(0)
	v_readfirstlane_b32 s1, v1
	v_lshlrev_b32_e32 v1, 2, v1
	s_lshl_b32 s10, s1, 3
	v_sub_co_u32 v1, s1, 0, v1
	v_sub_co_ci_u32_e64 v2, null, 0, 0, s1
	s_waitcnt lgkmcnt(0)
	s_ashr_i32 s1, s0, 31
	s_clause 0x2
	s_load_dwordx2 s[2:3], s[4:5], s10 offset:0x400
	s_load_dwordx2 s[6:7], s[4:5], s10 offset:0x0
	;; [unrolled: 1-line block ×3, first 2 shown]
	s_add_u32 s10, s4, s10
	s_addc_u32 s11, s5, 0
	v_add_co_u32 v1, vcc_lo, s10, v1
	v_add_co_ci_u32_e64 v2, null, s11, v2, vcc_lo
	v_readfirstlane_b32 s10, v1
	v_readfirstlane_b32 s11, v2
	s_load_dword s20, s[10:11], 0x600
	s_lshl_b64 s[10:11], s[0:1], 18
	s_lshl_b64 s[0:1], s[0:1], 16
	s_waitcnt lgkmcnt(0)
	s_add_u32 s12, s6, s10
	s_and_b32 s16, s8, 15
	s_and_b32 s14, s12, 15
	s_sub_u32 s12, s2, s0
	s_subb_u32 s13, s3, s1
	s_and_b32 s0, s2, 3
	s_mov_b32 s1, s15
	s_or_b64 s[0:1], s[16:17], s[0:1]
	s_or_b64 s[0:1], s[0:1], s[14:15]
	s_cmp_eq_u64 s[0:1], 0
	s_mov_b32 s0, -1
	s_cbranch_scc1 .LBB114_21
; %bb.1:
	v_cmp_lt_i64_e64 s0, s[12:13], 1
	s_and_b32 vcc_lo, exec_lo, s0
	s_cbranch_vccnz .LBB114_20
; %bb.2:
	s_load_dword s0, s[4:5], 0xd54
	v_cmp_gt_i64_e64 s1, 0x10000, s[12:13]
	v_lshlrev_b32_e32 v9, 2, v0
	v_cmp_gt_u64_e64 s2, 0x10000, s[12:13]
	v_mov_b32_e32 v10, 0
	s_mov_b64 s[18:19], 0
	s_and_b32 s1, s1, exec_lo
	v_add_co_u32 v3, s1, s8, v9
	v_add_co_u32 v1, s3, s6, v9
	s_cselect_b32 s15, s13, 0
	s_cselect_b32 s14, s12, 0x10000
	v_add_co_ci_u32_e64 v4, null, s9, 0, s1
	v_add_co_ci_u32_e64 v2, null, s7, 0, s3
	s_waitcnt lgkmcnt(0)
	s_and_b32 s0, s0, 0xffff
	s_and_b32 s1, s2, exec_lo
	s_cselect_b32 s17, s13, 0
	s_cselect_b32 s16, s12, 0x10000
	s_mul_i32 s2, s0, 3
	s_lshl_b32 s3, s0, 3
	v_mad_u64_u32 v[7:8], null, s0, 12, v[9:10]
	v_add_co_u32 v14, s3, s3, v9
	v_add_co_u32 v9, s2, s2, v0
	v_add_co_ci_u32_e64 v10, null, 0, 0, s2
	v_add_co_u32 v13, s2, v0, s0
	s_lshl_b32 s1, s0, 1
	v_add_co_u32 v5, vcc_lo, s6, v7
	v_lshlrev_b32_e32 v21, 2, v13
	v_add_co_ci_u32_e64 v15, null, 0, 0, s3
	v_add_co_ci_u32_e64 v6, null, s7, v8, vcc_lo
	v_add_co_u32 v7, vcc_lo, s8, v7
	v_add_co_u32 v17, s1, s1, v0
	v_add_co_ci_u32_e64 v8, null, s9, v8, vcc_lo
	v_add_co_u32 v11, vcc_lo, s6, v14
	v_add_co_ci_u32_e64 v18, null, 0, 0, s1
	v_add_co_u32 v19, s1, s6, v21
	v_add_co_ci_u32_e64 v12, null, s7, v15, vcc_lo
	v_add_co_u32 v14, vcc_lo, s8, v14
	v_add_co_ci_u32_e64 v20, null, s7, 0, s1
	v_add_co_u32 v21, s1, s8, v21
	v_add_co_ci_u32_e64 v15, null, s9, v15, vcc_lo
	v_add_co_ci_u32_e64 v16, null, 0, 0, s2
	v_add_co_ci_u32_e64 v22, null, s9, 0, s1
	s_lshl_b32 s21, s0, 2
	s_lshl_b32 s22, s0, 4
	s_branch .LBB114_4
.LBB114_3:                              ;   in Loop: Header=BB114_4 Depth=1
	s_or_b32 exec_lo, exec_lo, s0
	v_add_co_u32 v1, vcc_lo, v1, s22
	v_add_co_ci_u32_e64 v2, null, 0, v2, vcc_lo
	v_add_co_u32 v3, vcc_lo, v3, s22
	v_add_co_ci_u32_e64 v4, null, 0, v4, vcc_lo
	;; [unrolled: 2-line block ×4, first 2 shown]
	v_add_co_u32 v11, vcc_lo, v11, s22
	s_add_u32 s18, s18, s21
	v_add_co_ci_u32_e64 v12, null, 0, v12, vcc_lo
	v_add_co_u32 v14, vcc_lo, v14, s22
	s_addc_u32 s19, s19, 0
	v_add_co_ci_u32_e64 v15, null, 0, v15, vcc_lo
	v_add_co_u32 v19, vcc_lo, v19, s22
	v_cmp_lt_i64_e64 s0, s[18:19], s[14:15]
	v_add_co_ci_u32_e64 v20, null, 0, v20, vcc_lo
	v_add_co_u32 v21, vcc_lo, v21, s22
	v_add_co_ci_u32_e64 v22, null, 0, v22, vcc_lo
	s_and_b32 vcc_lo, exec_lo, s0
	s_cbranch_vccz .LBB114_20
.LBB114_4:                              ; =>This Inner Loop Header: Depth=1
	s_waitcnt vmcnt(0)
	v_add_co_u32 v23, s0, v0, s18
	v_add_co_ci_u32_e64 v24, null, 0, s19, s0
	v_cmp_gt_u64_e32 vcc_lo, s[16:17], v[23:24]
	v_mov_b32_e32 v24, 0
	s_and_saveexec_b32 s1, vcc_lo
	s_cbranch_execz .LBB114_6
; %bb.5:                                ;   in Loop: Header=BB114_4 Depth=1
	v_add_co_u32 v23, s0, v1, s10
	v_add_co_ci_u32_e64 v24, null, s11, v2, s0
	global_load_dword v24, v[23:24], off
.LBB114_6:                              ;   in Loop: Header=BB114_4 Depth=1
	s_or_b32 exec_lo, exec_lo, s1
	v_add_co_u32 v25, s0, v13, s18
	v_add_co_ci_u32_e64 v26, null, s19, v16, s0
	v_mov_b32_e32 v23, 0
	v_cmp_gt_u64_e64 s0, s[16:17], v[25:26]
	v_mov_b32_e32 v25, 0
	s_and_saveexec_b32 s2, s0
	s_cbranch_execz .LBB114_8
; %bb.7:                                ;   in Loop: Header=BB114_4 Depth=1
	v_add_co_u32 v25, s1, v19, s10
	v_add_co_ci_u32_e64 v26, null, s11, v20, s1
	global_load_dword v25, v[25:26], off
.LBB114_8:                              ;   in Loop: Header=BB114_4 Depth=1
	s_or_b32 exec_lo, exec_lo, s2
	v_add_co_u32 v26, s1, v17, s18
	v_add_co_ci_u32_e64 v27, null, s19, v18, s1
	v_cmp_gt_u64_e64 s1, s[16:17], v[26:27]
	s_and_saveexec_b32 s3, s1
	s_cbranch_execz .LBB114_10
; %bb.9:                                ;   in Loop: Header=BB114_4 Depth=1
	v_add_co_u32 v26, s2, v11, s10
	v_add_co_ci_u32_e64 v27, null, s11, v12, s2
	global_load_dword v23, v[26:27], off
.LBB114_10:                             ;   in Loop: Header=BB114_4 Depth=1
	s_or_b32 exec_lo, exec_lo, s3
	v_add_co_u32 v26, s2, v9, s18
	v_add_co_ci_u32_e64 v27, null, s19, v10, s2
	v_cmp_gt_u64_e64 s2, s[16:17], v[26:27]
	v_mov_b32_e32 v26, 0
	s_and_saveexec_b32 s23, s2
	s_cbranch_execnz .LBB114_15
; %bb.11:                               ;   in Loop: Header=BB114_4 Depth=1
	s_or_b32 exec_lo, exec_lo, s23
	s_and_saveexec_b32 s3, vcc_lo
	s_cbranch_execnz .LBB114_16
.LBB114_12:                             ;   in Loop: Header=BB114_4 Depth=1
	s_or_b32 exec_lo, exec_lo, s3
	s_and_saveexec_b32 s3, s0
	s_cbranch_execnz .LBB114_17
.LBB114_13:                             ;   in Loop: Header=BB114_4 Depth=1
	s_or_b32 exec_lo, exec_lo, s3
	s_and_saveexec_b32 s0, s1
	s_cbranch_execnz .LBB114_18
.LBB114_14:                             ;   in Loop: Header=BB114_4 Depth=1
	s_or_b32 exec_lo, exec_lo, s0
	s_and_saveexec_b32 s0, s2
	s_cbranch_execz .LBB114_3
	s_branch .LBB114_19
.LBB114_15:                             ;   in Loop: Header=BB114_4 Depth=1
	v_add_co_u32 v26, s3, v5, s10
	v_add_co_ci_u32_e64 v27, null, s11, v6, s3
	global_load_dword v26, v[26:27], off
	s_or_b32 exec_lo, exec_lo, s23
	s_and_saveexec_b32 s3, vcc_lo
	s_cbranch_execz .LBB114_12
.LBB114_16:                             ;   in Loop: Header=BB114_4 Depth=1
	v_add_co_u32 v27, vcc_lo, v3, s10
	s_waitcnt vmcnt(0)
	v_subrev_f32_e32 v24, s20, v24
	v_add_co_ci_u32_e64 v28, null, s11, v4, vcc_lo
	global_store_dword v[27:28], v24, off
	s_or_b32 exec_lo, exec_lo, s3
	s_and_saveexec_b32 s3, s0
	s_cbranch_execz .LBB114_13
.LBB114_17:                             ;   in Loop: Header=BB114_4 Depth=1
	s_waitcnt vmcnt(0)
	v_add_co_u32 v24, vcc_lo, v21, s10
	v_subrev_f32_e32 v27, s20, v25
	v_add_co_ci_u32_e64 v25, null, s11, v22, vcc_lo
	global_store_dword v[24:25], v27, off
	s_or_b32 exec_lo, exec_lo, s3
	s_and_saveexec_b32 s0, s1
	s_cbranch_execz .LBB114_14
.LBB114_18:                             ;   in Loop: Header=BB114_4 Depth=1
	s_waitcnt vmcnt(0)
	v_subrev_f32_e32 v25, s20, v23
	v_add_co_u32 v23, vcc_lo, v14, s10
	v_add_co_ci_u32_e64 v24, null, s11, v15, vcc_lo
	global_store_dword v[23:24], v25, off
	s_or_b32 exec_lo, exec_lo, s0
	s_and_saveexec_b32 s0, s2
	s_cbranch_execz .LBB114_3
.LBB114_19:                             ;   in Loop: Header=BB114_4 Depth=1
	s_waitcnt vmcnt(0)
	v_add_co_u32 v23, vcc_lo, v7, s10
	v_subrev_f32_e32 v25, s20, v26
	v_add_co_ci_u32_e64 v24, null, s11, v8, vcc_lo
	global_store_dword v[23:24], v25, off
	s_branch .LBB114_3
.LBB114_20:
	s_mov_b32 s0, 0
.LBB114_21:
	s_andn2_b32 vcc_lo, exec_lo, s0
	s_cbranch_vccnz .LBB114_25
; %bb.22:
	v_cmp_gt_i64_e64 s0, 0x10000, s[12:13]
	v_mov_b32_e32 v2, 0
	v_lshlrev_b32_e32 v1, 2, v0
	s_mov_b32 s1, 0
	s_and_b32 s0, s0, exec_lo
	s_cselect_b32 s3, s13, 0
	s_cselect_b32 s2, s12, 0x10000
	s_mov_b32 s0, exec_lo
	v_cmpx_gt_i64_e64 s[2:3], v[1:2]
	s_cbranch_execz .LBB114_25
; %bb.23:
	s_load_dword s0, s[4:5], 0xd54
	v_lshlrev_b32_e32 v3, 4, v0
	v_mov_b32_e32 v1, v2
	v_add_co_u32 v2, s4, s10, v3
	v_add_co_ci_u32_e64 v3, null, s11, 0, s4
	s_waitcnt lgkmcnt(0)
	s_and_b32 s4, s0, 0xffff
	s_lshl_b32 s5, s4, 4
	.p2align	6
.LBB114_24:                             ; =>This Inner Loop Header: Depth=1
	v_add_co_u32 v4, vcc_lo, s6, v2
	v_add_co_ci_u32_e64 v5, null, s7, v3, vcc_lo
	v_add_co_u32 v0, vcc_lo, v0, s4
	v_add_co_ci_u32_e64 v1, null, 0, v1, vcc_lo
	global_load_dwordx4 v[4:7], v[4:5], off
	v_add_co_u32 v8, vcc_lo, s8, v2
	v_lshlrev_b64 v[10:11], 2, v[0:1]
	v_add_co_ci_u32_e64 v9, null, s9, v3, vcc_lo
	v_add_co_u32 v2, vcc_lo, v2, s5
	v_add_co_ci_u32_e64 v3, null, 0, v3, vcc_lo
	v_cmp_le_i64_e64 s0, s[2:3], v[10:11]
	s_or_b32 s1, s0, s1
	s_waitcnt vmcnt(0)
	v_subrev_f32_e32 v4, s20, v4
	v_subrev_f32_e32 v5, s20, v5
	;; [unrolled: 1-line block ×4, first 2 shown]
	global_store_dwordx4 v[8:9], v[4:7], off
	s_andn2_b32 exec_lo, exec_lo, s1
	s_cbranch_execnz .LBB114_24
.LBB114_25:
	s_endpgm
	.section	.rodata,"a",@progbits
	.p2align	6, 0x0
	.amdhsa_kernel _ZN2at6native12_GLOBAL__N_125multi_tensor_apply_kernelINS1_28TensorListScalarListMetadataIfLi2EEENS1_25BinaryOpScalarListFunctorIfLi2ELi1ELi1EEEJSt5minusIfEEEEvT_T0_DpT1_
		.amdhsa_group_segment_fixed_size 0
		.amdhsa_private_segment_fixed_size 0
		.amdhsa_kernarg_size 3656
		.amdhsa_user_sgpr_count 6
		.amdhsa_user_sgpr_private_segment_buffer 1
		.amdhsa_user_sgpr_dispatch_ptr 0
		.amdhsa_user_sgpr_queue_ptr 0
		.amdhsa_user_sgpr_kernarg_segment_ptr 1
		.amdhsa_user_sgpr_dispatch_id 0
		.amdhsa_user_sgpr_flat_scratch_init 0
		.amdhsa_user_sgpr_private_segment_size 0
		.amdhsa_wavefront_size32 1
		.amdhsa_uses_dynamic_stack 0
		.amdhsa_system_sgpr_private_segment_wavefront_offset 0
		.amdhsa_system_sgpr_workgroup_id_x 1
		.amdhsa_system_sgpr_workgroup_id_y 0
		.amdhsa_system_sgpr_workgroup_id_z 0
		.amdhsa_system_sgpr_workgroup_info 0
		.amdhsa_system_vgpr_workitem_id 0
		.amdhsa_next_free_vgpr 29
		.amdhsa_next_free_sgpr 24
		.amdhsa_reserve_vcc 1
		.amdhsa_reserve_flat_scratch 0
		.amdhsa_float_round_mode_32 0
		.amdhsa_float_round_mode_16_64 0
		.amdhsa_float_denorm_mode_32 3
		.amdhsa_float_denorm_mode_16_64 3
		.amdhsa_dx10_clamp 1
		.amdhsa_ieee_mode 1
		.amdhsa_fp16_overflow 0
		.amdhsa_workgroup_processor_mode 1
		.amdhsa_memory_ordered 1
		.amdhsa_forward_progress 1
		.amdhsa_shared_vgpr_count 0
		.amdhsa_exception_fp_ieee_invalid_op 0
		.amdhsa_exception_fp_denorm_src 0
		.amdhsa_exception_fp_ieee_div_zero 0
		.amdhsa_exception_fp_ieee_overflow 0
		.amdhsa_exception_fp_ieee_underflow 0
		.amdhsa_exception_fp_ieee_inexact 0
		.amdhsa_exception_int_div_zero 0
	.end_amdhsa_kernel
	.section	.text._ZN2at6native12_GLOBAL__N_125multi_tensor_apply_kernelINS1_28TensorListScalarListMetadataIfLi2EEENS1_25BinaryOpScalarListFunctorIfLi2ELi1ELi1EEEJSt5minusIfEEEEvT_T0_DpT1_,"axG",@progbits,_ZN2at6native12_GLOBAL__N_125multi_tensor_apply_kernelINS1_28TensorListScalarListMetadataIfLi2EEENS1_25BinaryOpScalarListFunctorIfLi2ELi1ELi1EEEJSt5minusIfEEEEvT_T0_DpT1_,comdat
.Lfunc_end114:
	.size	_ZN2at6native12_GLOBAL__N_125multi_tensor_apply_kernelINS1_28TensorListScalarListMetadataIfLi2EEENS1_25BinaryOpScalarListFunctorIfLi2ELi1ELi1EEEJSt5minusIfEEEEvT_T0_DpT1_, .Lfunc_end114-_ZN2at6native12_GLOBAL__N_125multi_tensor_apply_kernelINS1_28TensorListScalarListMetadataIfLi2EEENS1_25BinaryOpScalarListFunctorIfLi2ELi1ELi1EEEJSt5minusIfEEEEvT_T0_DpT1_
                                        ; -- End function
	.set _ZN2at6native12_GLOBAL__N_125multi_tensor_apply_kernelINS1_28TensorListScalarListMetadataIfLi2EEENS1_25BinaryOpScalarListFunctorIfLi2ELi1ELi1EEEJSt5minusIfEEEEvT_T0_DpT1_.num_vgpr, 29
	.set _ZN2at6native12_GLOBAL__N_125multi_tensor_apply_kernelINS1_28TensorListScalarListMetadataIfLi2EEENS1_25BinaryOpScalarListFunctorIfLi2ELi1ELi1EEEJSt5minusIfEEEEvT_T0_DpT1_.num_agpr, 0
	.set _ZN2at6native12_GLOBAL__N_125multi_tensor_apply_kernelINS1_28TensorListScalarListMetadataIfLi2EEENS1_25BinaryOpScalarListFunctorIfLi2ELi1ELi1EEEJSt5minusIfEEEEvT_T0_DpT1_.numbered_sgpr, 24
	.set _ZN2at6native12_GLOBAL__N_125multi_tensor_apply_kernelINS1_28TensorListScalarListMetadataIfLi2EEENS1_25BinaryOpScalarListFunctorIfLi2ELi1ELi1EEEJSt5minusIfEEEEvT_T0_DpT1_.num_named_barrier, 0
	.set _ZN2at6native12_GLOBAL__N_125multi_tensor_apply_kernelINS1_28TensorListScalarListMetadataIfLi2EEENS1_25BinaryOpScalarListFunctorIfLi2ELi1ELi1EEEJSt5minusIfEEEEvT_T0_DpT1_.private_seg_size, 0
	.set _ZN2at6native12_GLOBAL__N_125multi_tensor_apply_kernelINS1_28TensorListScalarListMetadataIfLi2EEENS1_25BinaryOpScalarListFunctorIfLi2ELi1ELi1EEEJSt5minusIfEEEEvT_T0_DpT1_.uses_vcc, 1
	.set _ZN2at6native12_GLOBAL__N_125multi_tensor_apply_kernelINS1_28TensorListScalarListMetadataIfLi2EEENS1_25BinaryOpScalarListFunctorIfLi2ELi1ELi1EEEJSt5minusIfEEEEvT_T0_DpT1_.uses_flat_scratch, 0
	.set _ZN2at6native12_GLOBAL__N_125multi_tensor_apply_kernelINS1_28TensorListScalarListMetadataIfLi2EEENS1_25BinaryOpScalarListFunctorIfLi2ELi1ELi1EEEJSt5minusIfEEEEvT_T0_DpT1_.has_dyn_sized_stack, 0
	.set _ZN2at6native12_GLOBAL__N_125multi_tensor_apply_kernelINS1_28TensorListScalarListMetadataIfLi2EEENS1_25BinaryOpScalarListFunctorIfLi2ELi1ELi1EEEJSt5minusIfEEEEvT_T0_DpT1_.has_recursion, 0
	.set _ZN2at6native12_GLOBAL__N_125multi_tensor_apply_kernelINS1_28TensorListScalarListMetadataIfLi2EEENS1_25BinaryOpScalarListFunctorIfLi2ELi1ELi1EEEJSt5minusIfEEEEvT_T0_DpT1_.has_indirect_call, 0
	.section	.AMDGPU.csdata,"",@progbits
; Kernel info:
; codeLenInByte = 1476
; TotalNumSgprs: 26
; NumVgprs: 29
; ScratchSize: 0
; MemoryBound: 0
; FloatMode: 240
; IeeeMode: 1
; LDSByteSize: 0 bytes/workgroup (compile time only)
; SGPRBlocks: 0
; VGPRBlocks: 3
; NumSGPRsForWavesPerEU: 26
; NumVGPRsForWavesPerEU: 29
; Occupancy: 16
; WaveLimiterHint : 0
; COMPUTE_PGM_RSRC2:SCRATCH_EN: 0
; COMPUTE_PGM_RSRC2:USER_SGPR: 6
; COMPUTE_PGM_RSRC2:TRAP_HANDLER: 0
; COMPUTE_PGM_RSRC2:TGID_X_EN: 1
; COMPUTE_PGM_RSRC2:TGID_Y_EN: 0
; COMPUTE_PGM_RSRC2:TGID_Z_EN: 0
; COMPUTE_PGM_RSRC2:TIDIG_COMP_CNT: 0
	.section	.text._ZN2at6native12_GLOBAL__N_125multi_tensor_apply_kernelINS1_28TensorListScalarListMetadataIN3c107complexIdEELi2EEENS1_25BinaryOpScalarListFunctorIS6_Li2ELi1ELi1EEEJSt5minusIS6_EEEEvT_T0_DpT1_,"axG",@progbits,_ZN2at6native12_GLOBAL__N_125multi_tensor_apply_kernelINS1_28TensorListScalarListMetadataIN3c107complexIdEELi2EEENS1_25BinaryOpScalarListFunctorIS6_Li2ELi1ELi1EEEJSt5minusIS6_EEEEvT_T0_DpT1_,comdat
	.globl	_ZN2at6native12_GLOBAL__N_125multi_tensor_apply_kernelINS1_28TensorListScalarListMetadataIN3c107complexIdEELi2EEENS1_25BinaryOpScalarListFunctorIS6_Li2ELi1ELi1EEEJSt5minusIS6_EEEEvT_T0_DpT1_ ; -- Begin function _ZN2at6native12_GLOBAL__N_125multi_tensor_apply_kernelINS1_28TensorListScalarListMetadataIN3c107complexIdEELi2EEENS1_25BinaryOpScalarListFunctorIS6_Li2ELi1ELi1EEEJSt5minusIS6_EEEEvT_T0_DpT1_
	.p2align	8
	.type	_ZN2at6native12_GLOBAL__N_125multi_tensor_apply_kernelINS1_28TensorListScalarListMetadataIN3c107complexIdEELi2EEENS1_25BinaryOpScalarListFunctorIS6_Li2ELi1ELi1EEEJSt5minusIS6_EEEEvT_T0_DpT1_,@function
_ZN2at6native12_GLOBAL__N_125multi_tensor_apply_kernelINS1_28TensorListScalarListMetadataIN3c107complexIdEELi2EEENS1_25BinaryOpScalarListFunctorIS6_Li2ELi1ELi1EEEJSt5minusIS6_EEEEvT_T0_DpT1_: ; @_ZN2at6native12_GLOBAL__N_125multi_tensor_apply_kernelINS1_28TensorListScalarListMetadataIN3c107complexIdEELi2EEENS1_25BinaryOpScalarListFunctorIS6_Li2ELi1ELi1EEEJSt5minusIS6_EEEEvT_T0_DpT1_
; %bb.0:
	v_mov_b32_e32 v1, 0x800
	s_add_u32 s0, s4, s6
	s_addc_u32 s1, s5, 0
	s_mov_b32 s7, 0
	s_mov_b32 s17, s7
	global_load_ubyte v1, v1, s[0:1] offset:352
	s_lshl_b64 s[0:1], s[6:7], 2
	s_add_u32 s0, s4, s0
	s_addc_u32 s1, s5, s1
	s_load_dword s0, s[0:1], 0xaa0
	s_waitcnt lgkmcnt(0)
	s_ashr_i32 s1, s0, 31
	s_waitcnt vmcnt(0)
	v_readfirstlane_b32 s2, v1
	s_lshl_b32 s6, s2, 3
	s_clause 0x2
	s_load_dwordx2 s[2:3], s[4:5], s6 offset:0x0
	s_load_dwordx2 s[12:13], s[4:5], s6 offset:0x1e0
	;; [unrolled: 1-line block ×3, first 2 shown]
	s_add_u32 s8, s4, s6
	s_addc_u32 s9, s5, 0
	s_lshl_b64 s[20:21], s[0:1], 20
	s_load_dwordx4 s[8:11], s[8:9], s6 offset:0x5a0
	s_waitcnt lgkmcnt(0)
	s_add_u32 s18, s2, s20
	s_addc_u32 s19, s3, s21
	s_and_b32 s6, s18, 63
	s_add_u32 s20, s12, s20
	s_addc_u32 s21, s13, s21
	s_lshl_b64 s[0:1], s[0:1], 16
	s_and_b32 s16, s20, 63
	s_sub_u32 s12, s14, s0
	s_subb_u32 s13, s15, s1
	s_and_b32 s0, s14, 3
	s_mov_b32 s1, s7
	s_or_b64 s[0:1], s[16:17], s[0:1]
	s_or_b64 s[0:1], s[0:1], s[6:7]
	s_cmp_eq_u64 s[0:1], 0
	s_mov_b32 s0, -1
	s_cbranch_scc1 .LBB115_21
; %bb.1:
	v_cmp_lt_i64_e64 s0, s[12:13], 1
	s_and_b32 vcc_lo, exec_lo, s0
	s_cbranch_vccnz .LBB115_20
; %bb.2:
	s_load_dword s0, s[4:5], 0xfb4
	v_cmp_gt_i64_e64 s1, 0x10000, s[12:13]
	v_cmp_gt_u64_e64 s2, 0x10000, s[12:13]
	s_mov_b64 s[16:17], 0
	s_and_b32 s1, s1, exec_lo
	s_cselect_b32 s7, s13, 0
	s_cselect_b32 s6, s12, 0x10000
	s_waitcnt lgkmcnt(0)
	s_and_b32 s22, s0, 0xffff
	s_and_b32 s0, s2, exec_lo
	s_cselect_b32 s15, s13, 0
	s_cselect_b32 s14, s12, 0x10000
	s_lshl_b32 s23, s22, 1
	s_mul_i32 s24, s22, 3
	s_lshl_b32 s25, s22, 2
	s_branch .LBB115_4
.LBB115_3:                              ;   in Loop: Header=BB115_4 Depth=1
	s_or_b32 exec_lo, exec_lo, s0
	s_add_u32 s16, s16, s25
	s_addc_u32 s17, s17, 0
	v_cmp_lt_i64_e64 s0, s[16:17], s[6:7]
	s_and_b32 vcc_lo, exec_lo, s0
	s_cbranch_vccz .LBB115_20
.LBB115_4:                              ; =>This Inner Loop Header: Depth=1
	v_add_co_u32 v17, s0, s16, v0
	v_add_co_ci_u32_e64 v18, null, s17, 0, s0
	s_waitcnt vmcnt(0)
	v_mov_b32_e32 v3, 0
	v_mov_b32_e32 v7, 0
	;; [unrolled: 1-line block ×3, first 2 shown]
	v_cmp_gt_u64_e32 vcc_lo, s[14:15], v[17:18]
	v_mov_b32_e32 v4, 0
	v_mov_b32_e32 v8, 0
	;; [unrolled: 1-line block ×3, first 2 shown]
	s_and_saveexec_b32 s1, vcc_lo
	s_cbranch_execz .LBB115_6
; %bb.5:                                ;   in Loop: Header=BB115_4 Depth=1
	v_lshlrev_b64 v[1:2], 4, v[17:18]
	v_add_co_u32 v1, s0, s18, v1
	v_add_co_ci_u32_e64 v2, null, s19, v2, s0
	global_load_dwordx4 v[5:8], v[1:2], off
.LBB115_6:                              ;   in Loop: Header=BB115_4 Depth=1
	s_or_b32 exec_lo, exec_lo, s1
	v_add_co_u32 v19, s0, v17, s22
	v_add_co_ci_u32_e64 v20, null, 0, v18, s0
	v_mov_b32_e32 v1, 0
	v_mov_b32_e32 v2, 0
	v_cmp_gt_u64_e64 s0, s[14:15], v[19:20]
	s_and_saveexec_b32 s2, s0
	s_cbranch_execz .LBB115_8
; %bb.7:                                ;   in Loop: Header=BB115_4 Depth=1
	v_lshlrev_b64 v[1:2], 4, v[19:20]
	v_add_co_u32 v1, s1, s18, v1
	v_add_co_ci_u32_e64 v2, null, s19, v2, s1
	global_load_dwordx4 v[1:4], v[1:2], off
.LBB115_8:                              ;   in Loop: Header=BB115_4 Depth=1
	s_or_b32 exec_lo, exec_lo, s2
	v_add_co_u32 v21, s1, v17, s23
	v_add_co_ci_u32_e64 v22, null, 0, v18, s1
	v_mov_b32_e32 v11, 0
	v_mov_b32_e32 v15, 0
	;; [unrolled: 1-line block ×3, first 2 shown]
	v_cmp_gt_u64_e64 s1, s[14:15], v[21:22]
	v_mov_b32_e32 v12, 0
	v_mov_b32_e32 v16, 0
	;; [unrolled: 1-line block ×3, first 2 shown]
	s_and_saveexec_b32 s3, s1
	s_cbranch_execz .LBB115_10
; %bb.9:                                ;   in Loop: Header=BB115_4 Depth=1
	v_lshlrev_b64 v[9:10], 4, v[21:22]
	v_add_co_u32 v9, s2, s18, v9
	v_add_co_ci_u32_e64 v10, null, s19, v10, s2
	global_load_dwordx4 v[13:16], v[9:10], off
.LBB115_10:                             ;   in Loop: Header=BB115_4 Depth=1
	s_or_b32 exec_lo, exec_lo, s3
	v_add_co_u32 v23, s2, v17, s24
	v_add_co_ci_u32_e64 v24, null, 0, v18, s2
	v_mov_b32_e32 v9, 0
	v_mov_b32_e32 v10, 0
	v_cmp_gt_u64_e64 s2, s[14:15], v[23:24]
	s_and_saveexec_b32 s26, s2
	s_cbranch_execnz .LBB115_15
; %bb.11:                               ;   in Loop: Header=BB115_4 Depth=1
	s_or_b32 exec_lo, exec_lo, s26
	s_and_saveexec_b32 s3, vcc_lo
	s_cbranch_execnz .LBB115_16
.LBB115_12:                             ;   in Loop: Header=BB115_4 Depth=1
	s_or_b32 exec_lo, exec_lo, s3
	s_and_saveexec_b32 s3, s0
	s_cbranch_execnz .LBB115_17
.LBB115_13:                             ;   in Loop: Header=BB115_4 Depth=1
	s_or_b32 exec_lo, exec_lo, s3
	s_and_saveexec_b32 s0, s1
	s_cbranch_execnz .LBB115_18
.LBB115_14:                             ;   in Loop: Header=BB115_4 Depth=1
	s_or_b32 exec_lo, exec_lo, s0
	s_and_saveexec_b32 s0, s2
	s_cbranch_execz .LBB115_3
	s_branch .LBB115_19
.LBB115_15:                             ;   in Loop: Header=BB115_4 Depth=1
	v_lshlrev_b64 v[9:10], 4, v[23:24]
	v_add_co_u32 v9, s3, s18, v9
	v_add_co_ci_u32_e64 v10, null, s19, v10, s3
	global_load_dwordx4 v[9:12], v[9:10], off
	s_or_b32 exec_lo, exec_lo, s26
	s_and_saveexec_b32 s3, vcc_lo
	s_cbranch_execz .LBB115_12
.LBB115_16:                             ;   in Loop: Header=BB115_4 Depth=1
	s_waitcnt vmcnt(0)
	v_add_f64 v[7:8], v[7:8], -s[10:11]
	v_add_f64 v[5:6], v[5:6], -s[8:9]
	v_lshlrev_b64 v[17:18], 4, v[17:18]
	v_add_co_u32 v17, vcc_lo, s20, v17
	v_add_co_ci_u32_e64 v18, null, s21, v18, vcc_lo
	global_store_dwordx4 v[17:18], v[5:8], off
	s_or_b32 exec_lo, exec_lo, s3
	s_and_saveexec_b32 s3, s0
	s_cbranch_execz .LBB115_13
.LBB115_17:                             ;   in Loop: Header=BB115_4 Depth=1
	s_waitcnt vmcnt(0)
	v_add_f64 v[1:2], v[1:2], -s[8:9]
	v_add_f64 v[3:4], v[3:4], -s[10:11]
	v_lshlrev_b64 v[5:6], 4, v[19:20]
	v_add_co_u32 v5, vcc_lo, s20, v5
	v_add_co_ci_u32_e64 v6, null, s21, v6, vcc_lo
	global_store_dwordx4 v[5:6], v[1:4], off
	s_or_b32 exec_lo, exec_lo, s3
	s_and_saveexec_b32 s0, s1
	s_cbranch_execz .LBB115_14
.LBB115_18:                             ;   in Loop: Header=BB115_4 Depth=1
	s_waitcnt vmcnt(0)
	v_add_f64 v[1:2], v[13:14], -s[8:9]
	v_add_f64 v[3:4], v[15:16], -s[10:11]
	v_lshlrev_b64 v[5:6], 4, v[21:22]
	v_add_co_u32 v5, vcc_lo, s20, v5
	v_add_co_ci_u32_e64 v6, null, s21, v6, vcc_lo
	global_store_dwordx4 v[5:6], v[1:4], off
	s_or_b32 exec_lo, exec_lo, s0
	s_and_saveexec_b32 s0, s2
	s_cbranch_execz .LBB115_3
.LBB115_19:                             ;   in Loop: Header=BB115_4 Depth=1
	s_waitcnt vmcnt(0)
	v_add_f64 v[1:2], v[9:10], -s[8:9]
	v_add_f64 v[3:4], v[11:12], -s[10:11]
	v_lshlrev_b64 v[5:6], 4, v[23:24]
	v_add_co_u32 v5, vcc_lo, s20, v5
	v_add_co_ci_u32_e64 v6, null, s21, v6, vcc_lo
	global_store_dwordx4 v[5:6], v[1:4], off
	s_branch .LBB115_3
.LBB115_20:
	s_mov_b32 s0, 0
.LBB115_21:
	s_andn2_b32 vcc_lo, exec_lo, s0
	s_cbranch_vccnz .LBB115_25
; %bb.22:
	v_cmp_gt_i64_e64 s0, 0x10000, s[12:13]
	s_waitcnt vmcnt(0)
	v_mov_b32_e32 v2, 0
	v_lshlrev_b32_e32 v1, 2, v0
	s_mov_b32 s2, 0
	s_mov_b32 s3, exec_lo
	s_and_b32 s0, s0, exec_lo
	s_cselect_b32 s1, s13, 0
	s_cselect_b32 s0, s12, 0x10000
	v_cmpx_gt_i64_e64 s[0:1], v[1:2]
	s_cbranch_execz .LBB115_25
; %bb.23:
	s_load_dword s3, s[4:5], 0xfb4
	v_mov_b32_e32 v1, v2
	v_lshlrev_b32_e32 v2, 6, v0
	s_waitcnt lgkmcnt(0)
	s_and_b32 s3, s3, 0xffff
	s_lshl_b32 s4, s3, 6
.LBB115_24:                             ; =>This Inner Loop Header: Depth=1
	v_add_co_u32 v15, s5, s18, v2
	v_add_co_ci_u32_e64 v16, null, s19, 0, s5
	v_add_co_u32 v0, vcc_lo, v0, s3
	v_add_co_ci_u32_e64 v1, null, 0, v1, vcc_lo
	s_clause 0x3
	global_load_dwordx4 v[3:6], v[15:16], off
	global_load_dwordx4 v[7:10], v[15:16], off offset:16
	global_load_dwordx4 v[11:14], v[15:16], off offset:32
	;; [unrolled: 1-line block ×3, first 2 shown]
	v_add_co_u32 v19, s5, s20, v2
	v_lshlrev_b64 v[21:22], 2, v[0:1]
	s_add_u32 s20, s20, s4
	v_add_co_ci_u32_e64 v20, null, s21, 0, s5
	s_addc_u32 s21, s21, 0
	s_add_u32 s18, s18, s4
	v_cmp_le_i64_e32 vcc_lo, s[0:1], v[21:22]
	s_addc_u32 s19, s19, 0
	s_or_b32 s2, vcc_lo, s2
	s_waitcnt vmcnt(3)
	v_add_f64 v[3:4], v[3:4], -s[8:9]
	v_add_f64 v[5:6], v[5:6], -s[10:11]
	s_waitcnt vmcnt(2)
	v_add_f64 v[7:8], v[7:8], -s[8:9]
	v_add_f64 v[9:10], v[9:10], -s[10:11]
	;; [unrolled: 3-line block ×4, first 2 shown]
	global_store_dwordx4 v[19:20], v[3:6], off
	global_store_dwordx4 v[19:20], v[7:10], off offset:16
	global_store_dwordx4 v[19:20], v[11:14], off offset:32
	;; [unrolled: 1-line block ×3, first 2 shown]
	s_andn2_b32 exec_lo, exec_lo, s2
	s_cbranch_execnz .LBB115_24
.LBB115_25:
	s_endpgm
	.section	.rodata,"a",@progbits
	.p2align	6, 0x0
	.amdhsa_kernel _ZN2at6native12_GLOBAL__N_125multi_tensor_apply_kernelINS1_28TensorListScalarListMetadataIN3c107complexIdEELi2EEENS1_25BinaryOpScalarListFunctorIS6_Li2ELi1ELi1EEEJSt5minusIS6_EEEEvT_T0_DpT1_
		.amdhsa_group_segment_fixed_size 0
		.amdhsa_private_segment_fixed_size 0
		.amdhsa_kernarg_size 4264
		.amdhsa_user_sgpr_count 6
		.amdhsa_user_sgpr_private_segment_buffer 1
		.amdhsa_user_sgpr_dispatch_ptr 0
		.amdhsa_user_sgpr_queue_ptr 0
		.amdhsa_user_sgpr_kernarg_segment_ptr 1
		.amdhsa_user_sgpr_dispatch_id 0
		.amdhsa_user_sgpr_flat_scratch_init 0
		.amdhsa_user_sgpr_private_segment_size 0
		.amdhsa_wavefront_size32 1
		.amdhsa_uses_dynamic_stack 0
		.amdhsa_system_sgpr_private_segment_wavefront_offset 0
		.amdhsa_system_sgpr_workgroup_id_x 1
		.amdhsa_system_sgpr_workgroup_id_y 0
		.amdhsa_system_sgpr_workgroup_id_z 0
		.amdhsa_system_sgpr_workgroup_info 0
		.amdhsa_system_vgpr_workitem_id 0
		.amdhsa_next_free_vgpr 25
		.amdhsa_next_free_sgpr 27
		.amdhsa_reserve_vcc 1
		.amdhsa_reserve_flat_scratch 0
		.amdhsa_float_round_mode_32 0
		.amdhsa_float_round_mode_16_64 0
		.amdhsa_float_denorm_mode_32 3
		.amdhsa_float_denorm_mode_16_64 3
		.amdhsa_dx10_clamp 1
		.amdhsa_ieee_mode 1
		.amdhsa_fp16_overflow 0
		.amdhsa_workgroup_processor_mode 1
		.amdhsa_memory_ordered 1
		.amdhsa_forward_progress 1
		.amdhsa_shared_vgpr_count 0
		.amdhsa_exception_fp_ieee_invalid_op 0
		.amdhsa_exception_fp_denorm_src 0
		.amdhsa_exception_fp_ieee_div_zero 0
		.amdhsa_exception_fp_ieee_overflow 0
		.amdhsa_exception_fp_ieee_underflow 0
		.amdhsa_exception_fp_ieee_inexact 0
		.amdhsa_exception_int_div_zero 0
	.end_amdhsa_kernel
	.section	.text._ZN2at6native12_GLOBAL__N_125multi_tensor_apply_kernelINS1_28TensorListScalarListMetadataIN3c107complexIdEELi2EEENS1_25BinaryOpScalarListFunctorIS6_Li2ELi1ELi1EEEJSt5minusIS6_EEEEvT_T0_DpT1_,"axG",@progbits,_ZN2at6native12_GLOBAL__N_125multi_tensor_apply_kernelINS1_28TensorListScalarListMetadataIN3c107complexIdEELi2EEENS1_25BinaryOpScalarListFunctorIS6_Li2ELi1ELi1EEEJSt5minusIS6_EEEEvT_T0_DpT1_,comdat
.Lfunc_end115:
	.size	_ZN2at6native12_GLOBAL__N_125multi_tensor_apply_kernelINS1_28TensorListScalarListMetadataIN3c107complexIdEELi2EEENS1_25BinaryOpScalarListFunctorIS6_Li2ELi1ELi1EEEJSt5minusIS6_EEEEvT_T0_DpT1_, .Lfunc_end115-_ZN2at6native12_GLOBAL__N_125multi_tensor_apply_kernelINS1_28TensorListScalarListMetadataIN3c107complexIdEELi2EEENS1_25BinaryOpScalarListFunctorIS6_Li2ELi1ELi1EEEJSt5minusIS6_EEEEvT_T0_DpT1_
                                        ; -- End function
	.set _ZN2at6native12_GLOBAL__N_125multi_tensor_apply_kernelINS1_28TensorListScalarListMetadataIN3c107complexIdEELi2EEENS1_25BinaryOpScalarListFunctorIS6_Li2ELi1ELi1EEEJSt5minusIS6_EEEEvT_T0_DpT1_.num_vgpr, 25
	.set _ZN2at6native12_GLOBAL__N_125multi_tensor_apply_kernelINS1_28TensorListScalarListMetadataIN3c107complexIdEELi2EEENS1_25BinaryOpScalarListFunctorIS6_Li2ELi1ELi1EEEJSt5minusIS6_EEEEvT_T0_DpT1_.num_agpr, 0
	.set _ZN2at6native12_GLOBAL__N_125multi_tensor_apply_kernelINS1_28TensorListScalarListMetadataIN3c107complexIdEELi2EEENS1_25BinaryOpScalarListFunctorIS6_Li2ELi1ELi1EEEJSt5minusIS6_EEEEvT_T0_DpT1_.numbered_sgpr, 27
	.set _ZN2at6native12_GLOBAL__N_125multi_tensor_apply_kernelINS1_28TensorListScalarListMetadataIN3c107complexIdEELi2EEENS1_25BinaryOpScalarListFunctorIS6_Li2ELi1ELi1EEEJSt5minusIS6_EEEEvT_T0_DpT1_.num_named_barrier, 0
	.set _ZN2at6native12_GLOBAL__N_125multi_tensor_apply_kernelINS1_28TensorListScalarListMetadataIN3c107complexIdEELi2EEENS1_25BinaryOpScalarListFunctorIS6_Li2ELi1ELi1EEEJSt5minusIS6_EEEEvT_T0_DpT1_.private_seg_size, 0
	.set _ZN2at6native12_GLOBAL__N_125multi_tensor_apply_kernelINS1_28TensorListScalarListMetadataIN3c107complexIdEELi2EEENS1_25BinaryOpScalarListFunctorIS6_Li2ELi1ELi1EEEJSt5minusIS6_EEEEvT_T0_DpT1_.uses_vcc, 1
	.set _ZN2at6native12_GLOBAL__N_125multi_tensor_apply_kernelINS1_28TensorListScalarListMetadataIN3c107complexIdEELi2EEENS1_25BinaryOpScalarListFunctorIS6_Li2ELi1ELi1EEEJSt5minusIS6_EEEEvT_T0_DpT1_.uses_flat_scratch, 0
	.set _ZN2at6native12_GLOBAL__N_125multi_tensor_apply_kernelINS1_28TensorListScalarListMetadataIN3c107complexIdEELi2EEENS1_25BinaryOpScalarListFunctorIS6_Li2ELi1ELi1EEEJSt5minusIS6_EEEEvT_T0_DpT1_.has_dyn_sized_stack, 0
	.set _ZN2at6native12_GLOBAL__N_125multi_tensor_apply_kernelINS1_28TensorListScalarListMetadataIN3c107complexIdEELi2EEENS1_25BinaryOpScalarListFunctorIS6_Li2ELi1ELi1EEEJSt5minusIS6_EEEEvT_T0_DpT1_.has_recursion, 0
	.set _ZN2at6native12_GLOBAL__N_125multi_tensor_apply_kernelINS1_28TensorListScalarListMetadataIN3c107complexIdEELi2EEENS1_25BinaryOpScalarListFunctorIS6_Li2ELi1ELi1EEEJSt5minusIS6_EEEEvT_T0_DpT1_.has_indirect_call, 0
	.section	.AMDGPU.csdata,"",@progbits
; Kernel info:
; codeLenInByte = 1316
; TotalNumSgprs: 29
; NumVgprs: 25
; ScratchSize: 0
; MemoryBound: 1
; FloatMode: 240
; IeeeMode: 1
; LDSByteSize: 0 bytes/workgroup (compile time only)
; SGPRBlocks: 0
; VGPRBlocks: 3
; NumSGPRsForWavesPerEU: 29
; NumVGPRsForWavesPerEU: 25
; Occupancy: 16
; WaveLimiterHint : 0
; COMPUTE_PGM_RSRC2:SCRATCH_EN: 0
; COMPUTE_PGM_RSRC2:USER_SGPR: 6
; COMPUTE_PGM_RSRC2:TRAP_HANDLER: 0
; COMPUTE_PGM_RSRC2:TGID_X_EN: 1
; COMPUTE_PGM_RSRC2:TGID_Y_EN: 0
; COMPUTE_PGM_RSRC2:TGID_Z_EN: 0
; COMPUTE_PGM_RSRC2:TIDIG_COMP_CNT: 0
	.section	.text._ZN2at6native12_GLOBAL__N_125multi_tensor_apply_kernelINS1_28TensorListScalarListMetadataIN3c107complexIfEELi2EEENS1_25BinaryOpScalarListFunctorIS6_Li2ELi1ELi1EEEJSt5minusIS6_EEEEvT_T0_DpT1_,"axG",@progbits,_ZN2at6native12_GLOBAL__N_125multi_tensor_apply_kernelINS1_28TensorListScalarListMetadataIN3c107complexIfEELi2EEENS1_25BinaryOpScalarListFunctorIS6_Li2ELi1ELi1EEEJSt5minusIS6_EEEEvT_T0_DpT1_,comdat
	.globl	_ZN2at6native12_GLOBAL__N_125multi_tensor_apply_kernelINS1_28TensorListScalarListMetadataIN3c107complexIfEELi2EEENS1_25BinaryOpScalarListFunctorIS6_Li2ELi1ELi1EEEJSt5minusIS6_EEEEvT_T0_DpT1_ ; -- Begin function _ZN2at6native12_GLOBAL__N_125multi_tensor_apply_kernelINS1_28TensorListScalarListMetadataIN3c107complexIfEELi2EEENS1_25BinaryOpScalarListFunctorIS6_Li2ELi1ELi1EEEJSt5minusIS6_EEEEvT_T0_DpT1_
	.p2align	8
	.type	_ZN2at6native12_GLOBAL__N_125multi_tensor_apply_kernelINS1_28TensorListScalarListMetadataIN3c107complexIfEELi2EEENS1_25BinaryOpScalarListFunctorIS6_Li2ELi1ELi1EEEJSt5minusIS6_EEEEvT_T0_DpT1_,@function
_ZN2at6native12_GLOBAL__N_125multi_tensor_apply_kernelINS1_28TensorListScalarListMetadataIN3c107complexIfEELi2EEENS1_25BinaryOpScalarListFunctorIS6_Li2ELi1ELi1EEEJSt5minusIS6_EEEEvT_T0_DpT1_: ; @_ZN2at6native12_GLOBAL__N_125multi_tensor_apply_kernelINS1_28TensorListScalarListMetadataIN3c107complexIfEELi2EEENS1_25BinaryOpScalarListFunctorIS6_Li2ELi1ELi1EEEJSt5minusIS6_EEEEvT_T0_DpT1_
; %bb.0:
	s_add_u32 s6, s6, s9
	s_addc_u32 s7, s7, 0
	s_setreg_b32 hwreg(HW_REG_FLAT_SCR_LO), s6
	s_setreg_b32 hwreg(HW_REG_FLAT_SCR_HI), s7
	s_add_u32 s0, s0, s9
	v_mov_b32_e32 v1, 0x800
	s_addc_u32 s1, s1, 0
	s_add_u32 s6, s4, s8
	s_addc_u32 s7, s5, 0
	s_mov_b32 s9, 0
	global_load_ubyte v1, v1, s[6:7]
	s_lshl_b64 s[6:7], s[8:9], 2
	s_mov_b32 s25, s9
	s_add_u32 s6, s4, s6
	s_addc_u32 s7, s5, s7
	s_load_dword s6, s[6:7], 0x940
	s_waitcnt vmcnt(0)
	v_readfirstlane_b32 s7, v1
	s_lshl_b32 s7, s7, 3
	s_clause 0x3
	s_load_dwordx2 s[12:13], s[4:5], s7 offset:0x0
	s_load_dwordx2 s[10:11], s[4:5], s7 offset:0x600
	;; [unrolled: 1-line block ×4, first 2 shown]
	s_waitcnt lgkmcnt(0)
	s_ashr_i32 s7, s6, 31
	s_lshl_b64 s[18:19], s[6:7], 19
	s_add_u32 s20, s12, s18
	s_addc_u32 s21, s13, s19
	s_and_b32 s8, s20, 31
	s_add_u32 s22, s14, s18
	s_addc_u32 s23, s15, s19
	s_lshl_b64 s[6:7], s[6:7], 16
	s_and_b32 s24, s22, 31
	s_sub_u32 s12, s16, s6
	s_subb_u32 s13, s17, s7
	s_and_b32 s6, s16, 3
	s_mov_b32 s7, s9
	s_or_b64 s[6:7], s[24:25], s[6:7]
	s_or_b64 s[6:7], s[6:7], s[8:9]
	s_cmp_eq_u64 s[6:7], 0
	s_mov_b32 s6, -1
	s_cbranch_scc1 .LBB116_19
; %bb.1:
	v_cmp_lt_i64_e64 s6, s[12:13], 1
	s_and_b32 vcc_lo, exec_lo, s6
	s_cbranch_vccnz .LBB116_18
; %bb.2:
	s_load_dword s6, s[4:5], 0xe54
	v_cmp_gt_i64_e64 s7, 0x10000, s[12:13]
	s_mov_b64 s[8:9], src_private_base
	v_cmp_gt_u64_e64 s8, 0x10000, s[12:13]
	v_mov_b32_e32 v15, 0
	s_mov_b64 s[18:19], 0
	s_and_b32 s7, s7, exec_lo
	s_cselect_b32 s15, s13, 0
	s_cselect_b32 s14, s12, 0x10000
	s_waitcnt lgkmcnt(0)
	s_and_b32 s24, s6, 0xffff
	s_and_b32 s6, s8, exec_lo
	s_cselect_b32 s17, s13, 0
	s_cselect_b32 s16, s12, 0x10000
	s_lshl_b32 s25, s24, 1
	s_mul_i32 s26, s24, 3
	s_lshl_b32 s27, s24, 2
	s_branch .LBB116_4
.LBB116_3:                              ;   in Loop: Header=BB116_4 Depth=1
	s_or_b32 exec_lo, exec_lo, s6
	s_add_u32 s18, s18, s27
	s_addc_u32 s19, s19, 0
	v_cmp_lt_i64_e64 s6, s[18:19], s[14:15]
	s_and_b32 vcc_lo, exec_lo, s6
	s_cbranch_vccz .LBB116_18
.LBB116_4:                              ; =>This Inner Loop Header: Depth=1
	v_add_co_u32 v1, s6, s18, v0
	v_add_co_ci_u32_e64 v2, null, s19, 0, s6
	v_mov_b32_e32 v4, 0
	v_mov_b32_e32 v3, 0
	v_cmp_gt_u64_e32 vcc_lo, s[16:17], v[1:2]
	s_and_saveexec_b32 s7, vcc_lo
	s_cbranch_execz .LBB116_6
; %bb.5:                                ;   in Loop: Header=BB116_4 Depth=1
	v_lshlrev_b64 v[3:4], 3, v[1:2]
	v_add_co_u32 v3, s6, s20, v3
	v_add_co_ci_u32_e64 v4, null, s21, v4, s6
	global_load_dwordx2 v[3:4], v[3:4], off
.LBB116_6:                              ;   in Loop: Header=BB116_4 Depth=1
	s_or_b32 exec_lo, exec_lo, s7
	v_add_co_u32 v5, s6, v1, s24
	v_add_co_ci_u32_e64 v6, null, 0, v2, s6
	v_mov_b32_e32 v10, 0
	v_mov_b32_e32 v9, 0
	v_cmp_gt_u64_e64 s6, s[16:17], v[5:6]
	s_and_saveexec_b32 s8, s6
	s_cbranch_execz .LBB116_8
; %bb.7:                                ;   in Loop: Header=BB116_4 Depth=1
	v_lshlrev_b64 v[7:8], 3, v[5:6]
	v_add_co_u32 v7, s7, s20, v7
	v_add_co_ci_u32_e64 v8, null, s21, v8, s7
	global_load_dwordx2 v[9:10], v[7:8], off
.LBB116_8:                              ;   in Loop: Header=BB116_4 Depth=1
	s_or_b32 exec_lo, exec_lo, s8
	v_add_co_u32 v7, s7, v1, s25
	v_add_co_ci_u32_e64 v8, null, 0, v2, s7
	v_mov_b32_e32 v13, 0
	v_mov_b32_e32 v14, 0
	v_cmp_gt_u64_e64 s7, s[16:17], v[7:8]
	s_and_saveexec_b32 s28, s7
	s_cbranch_execz .LBB116_10
; %bb.9:                                ;   in Loop: Header=BB116_4 Depth=1
	v_lshlrev_b64 v[11:12], 3, v[7:8]
	v_add_co_u32 v11, s8, s20, v11
	v_add_co_ci_u32_e64 v12, null, s21, v12, s8
	global_load_dwordx2 v[13:14], v[11:12], off
.LBB116_10:                             ;   in Loop: Header=BB116_4 Depth=1
	s_or_b32 exec_lo, exec_lo, s28
	v_add_co_u32 v16, s8, v1, s26
	v_add_co_ci_u32_e64 v17, null, 0, v2, s8
	buffer_store_dword v15, off, s[0:3], 0
	buffer_store_dword v15, off, s[0:3], 0 offset:4
	v_lshlrev_b64 v[11:12], 3, v[16:17]
	v_add_co_u32 v18, s8, s20, v11
	v_add_co_ci_u32_e64 v19, null, s21, v12, s8
	v_cmp_gt_u64_e64 s8, s[16:17], v[16:17]
	v_cndmask_b32_e64 v17, s9, v19, s8
	v_cndmask_b32_e64 v16, 0, v18, s8
	flat_load_dwordx2 v[16:17], v[16:17]
	s_waitcnt vmcnt(0) lgkmcnt(0)
	v_subrev_f32_e32 v16, s10, v16
	v_subrev_f32_e32 v17, s11, v17
	buffer_store_dword v16, off, s[0:3], 0
	buffer_store_dword v17, off, s[0:3], 0 offset:4
	s_and_saveexec_b32 s28, vcc_lo
	s_cbranch_execnz .LBB116_14
; %bb.11:                               ;   in Loop: Header=BB116_4 Depth=1
	s_or_b32 exec_lo, exec_lo, s28
	s_and_saveexec_b32 s28, s6
	s_cbranch_execnz .LBB116_15
.LBB116_12:                             ;   in Loop: Header=BB116_4 Depth=1
	s_or_b32 exec_lo, exec_lo, s28
	s_and_saveexec_b32 s6, s7
	s_cbranch_execnz .LBB116_16
.LBB116_13:                             ;   in Loop: Header=BB116_4 Depth=1
	s_or_b32 exec_lo, exec_lo, s6
	s_and_saveexec_b32 s6, s8
	s_cbranch_execz .LBB116_3
	s_branch .LBB116_17
.LBB116_14:                             ;   in Loop: Header=BB116_4 Depth=1
	v_lshlrev_b64 v[1:2], 3, v[1:2]
	v_subrev_f32_e32 v3, s10, v3
	v_subrev_f32_e32 v4, s11, v4
	v_add_co_u32 v1, vcc_lo, s22, v1
	v_add_co_ci_u32_e64 v2, null, s23, v2, vcc_lo
	global_store_dwordx2 v[1:2], v[3:4], off
	s_or_b32 exec_lo, exec_lo, s28
	s_and_saveexec_b32 s28, s6
	s_cbranch_execz .LBB116_12
.LBB116_15:                             ;   in Loop: Header=BB116_4 Depth=1
	v_lshlrev_b64 v[1:2], 3, v[5:6]
	v_subrev_f32_e32 v3, s10, v9
	v_subrev_f32_e32 v4, s11, v10
	v_add_co_u32 v1, vcc_lo, s22, v1
	v_add_co_ci_u32_e64 v2, null, s23, v2, vcc_lo
	global_store_dwordx2 v[1:2], v[3:4], off
	s_or_b32 exec_lo, exec_lo, s28
	s_and_saveexec_b32 s6, s7
	s_cbranch_execz .LBB116_13
.LBB116_16:                             ;   in Loop: Header=BB116_4 Depth=1
	v_lshlrev_b64 v[1:2], 3, v[7:8]
	v_subrev_f32_e32 v3, s10, v13
	v_subrev_f32_e32 v4, s11, v14
	v_add_co_u32 v1, vcc_lo, s22, v1
	v_add_co_ci_u32_e64 v2, null, s23, v2, vcc_lo
	global_store_dwordx2 v[1:2], v[3:4], off
	s_or_b32 exec_lo, exec_lo, s6
	s_and_saveexec_b32 s6, s8
	s_cbranch_execz .LBB116_3
.LBB116_17:                             ;   in Loop: Header=BB116_4 Depth=1
	s_clause 0x1
	buffer_load_dword v1, off, s[0:3], 0
	buffer_load_dword v2, off, s[0:3], 0 offset:4
	v_add_co_u32 v3, vcc_lo, s22, v11
	v_add_co_ci_u32_e64 v4, null, s23, v12, vcc_lo
	s_waitcnt vmcnt(0)
	global_store_dwordx2 v[3:4], v[1:2], off
	s_branch .LBB116_3
.LBB116_18:
	s_mov_b32 s6, 0
.LBB116_19:
	s_andn2_b32 vcc_lo, exec_lo, s6
	s_cbranch_vccnz .LBB116_23
; %bb.20:
	v_cmp_gt_i64_e64 s6, 0x10000, s[12:13]
	v_mov_b32_e32 v2, 0
	v_lshlrev_b32_e32 v1, 2, v0
	s_mov_b32 s8, 0
	s_mov_b32 s9, exec_lo
	s_and_b32 s6, s6, exec_lo
	s_cselect_b32 s7, s13, 0
	s_cselect_b32 s6, s12, 0x10000
	v_cmpx_gt_i64_e64 s[6:7], v[1:2]
	s_cbranch_execz .LBB116_23
; %bb.21:
	s_load_dword s4, s[4:5], 0xe54
	v_mov_b32_e32 v1, v2
	v_lshlrev_b32_e32 v2, 5, v0
	s_waitcnt lgkmcnt(0)
	s_and_b32 s4, s4, 0xffff
	s_lshl_b32 s5, s4, 5
	s_inst_prefetch 0x1
	.p2align	6
.LBB116_22:                             ; =>This Inner Loop Header: Depth=1
	v_add_co_u32 v7, s9, s20, v2
	v_add_co_ci_u32_e64 v8, null, s21, 0, s9
	v_add_co_u32 v0, vcc_lo, v0, s4
	v_add_co_ci_u32_e64 v1, null, 0, v1, vcc_lo
	s_clause 0x1
	global_load_dwordx4 v[3:6], v[7:8], off
	global_load_dwordx4 v[7:10], v[7:8], off offset:16
	v_add_co_u32 v11, s9, s22, v2
	v_lshlrev_b64 v[13:14], 2, v[0:1]
	s_add_u32 s22, s22, s5
	v_add_co_ci_u32_e64 v12, null, s23, 0, s9
	s_addc_u32 s23, s23, 0
	s_add_u32 s20, s20, s5
	v_cmp_le_i64_e32 vcc_lo, s[6:7], v[13:14]
	s_addc_u32 s21, s21, 0
	s_or_b32 s8, vcc_lo, s8
	s_waitcnt vmcnt(1)
	v_subrev_f32_e32 v3, s10, v3
	v_subrev_f32_e32 v4, s11, v4
	;; [unrolled: 1-line block ×4, first 2 shown]
	s_waitcnt vmcnt(0)
	v_subrev_f32_e32 v9, s10, v9
	v_subrev_f32_e32 v10, s11, v10
	;; [unrolled: 1-line block ×4, first 2 shown]
	buffer_store_dword v9, off, s[0:3], 0
	buffer_store_dword v10, off, s[0:3], 0 offset:4
	global_store_dwordx4 v[11:12], v[3:6], off
	global_store_dwordx4 v[11:12], v[7:10], off offset:16
	s_andn2_b32 exec_lo, exec_lo, s8
	s_cbranch_execnz .LBB116_22
.LBB116_23:
	s_inst_prefetch 0x2
	s_endpgm
	.section	.rodata,"a",@progbits
	.p2align	6, 0x0
	.amdhsa_kernel _ZN2at6native12_GLOBAL__N_125multi_tensor_apply_kernelINS1_28TensorListScalarListMetadataIN3c107complexIfEELi2EEENS1_25BinaryOpScalarListFunctorIS6_Li2ELi1ELi1EEEJSt5minusIS6_EEEEvT_T0_DpT1_
		.amdhsa_group_segment_fixed_size 0
		.amdhsa_private_segment_fixed_size 16
		.amdhsa_kernarg_size 3912
		.amdhsa_user_sgpr_count 8
		.amdhsa_user_sgpr_private_segment_buffer 1
		.amdhsa_user_sgpr_dispatch_ptr 0
		.amdhsa_user_sgpr_queue_ptr 0
		.amdhsa_user_sgpr_kernarg_segment_ptr 1
		.amdhsa_user_sgpr_dispatch_id 0
		.amdhsa_user_sgpr_flat_scratch_init 1
		.amdhsa_user_sgpr_private_segment_size 0
		.amdhsa_wavefront_size32 1
		.amdhsa_uses_dynamic_stack 0
		.amdhsa_system_sgpr_private_segment_wavefront_offset 1
		.amdhsa_system_sgpr_workgroup_id_x 1
		.amdhsa_system_sgpr_workgroup_id_y 0
		.amdhsa_system_sgpr_workgroup_id_z 0
		.amdhsa_system_sgpr_workgroup_info 0
		.amdhsa_system_vgpr_workitem_id 0
		.amdhsa_next_free_vgpr 20
		.amdhsa_next_free_sgpr 29
		.amdhsa_reserve_vcc 1
		.amdhsa_reserve_flat_scratch 1
		.amdhsa_float_round_mode_32 0
		.amdhsa_float_round_mode_16_64 0
		.amdhsa_float_denorm_mode_32 3
		.amdhsa_float_denorm_mode_16_64 3
		.amdhsa_dx10_clamp 1
		.amdhsa_ieee_mode 1
		.amdhsa_fp16_overflow 0
		.amdhsa_workgroup_processor_mode 1
		.amdhsa_memory_ordered 1
		.amdhsa_forward_progress 1
		.amdhsa_shared_vgpr_count 0
		.amdhsa_exception_fp_ieee_invalid_op 0
		.amdhsa_exception_fp_denorm_src 0
		.amdhsa_exception_fp_ieee_div_zero 0
		.amdhsa_exception_fp_ieee_overflow 0
		.amdhsa_exception_fp_ieee_underflow 0
		.amdhsa_exception_fp_ieee_inexact 0
		.amdhsa_exception_int_div_zero 0
	.end_amdhsa_kernel
	.section	.text._ZN2at6native12_GLOBAL__N_125multi_tensor_apply_kernelINS1_28TensorListScalarListMetadataIN3c107complexIfEELi2EEENS1_25BinaryOpScalarListFunctorIS6_Li2ELi1ELi1EEEJSt5minusIS6_EEEEvT_T0_DpT1_,"axG",@progbits,_ZN2at6native12_GLOBAL__N_125multi_tensor_apply_kernelINS1_28TensorListScalarListMetadataIN3c107complexIfEELi2EEENS1_25BinaryOpScalarListFunctorIS6_Li2ELi1ELi1EEEJSt5minusIS6_EEEEvT_T0_DpT1_,comdat
.Lfunc_end116:
	.size	_ZN2at6native12_GLOBAL__N_125multi_tensor_apply_kernelINS1_28TensorListScalarListMetadataIN3c107complexIfEELi2EEENS1_25BinaryOpScalarListFunctorIS6_Li2ELi1ELi1EEEJSt5minusIS6_EEEEvT_T0_DpT1_, .Lfunc_end116-_ZN2at6native12_GLOBAL__N_125multi_tensor_apply_kernelINS1_28TensorListScalarListMetadataIN3c107complexIfEELi2EEENS1_25BinaryOpScalarListFunctorIS6_Li2ELi1ELi1EEEJSt5minusIS6_EEEEvT_T0_DpT1_
                                        ; -- End function
	.set _ZN2at6native12_GLOBAL__N_125multi_tensor_apply_kernelINS1_28TensorListScalarListMetadataIN3c107complexIfEELi2EEENS1_25BinaryOpScalarListFunctorIS6_Li2ELi1ELi1EEEJSt5minusIS6_EEEEvT_T0_DpT1_.num_vgpr, 20
	.set _ZN2at6native12_GLOBAL__N_125multi_tensor_apply_kernelINS1_28TensorListScalarListMetadataIN3c107complexIfEELi2EEENS1_25BinaryOpScalarListFunctorIS6_Li2ELi1ELi1EEEJSt5minusIS6_EEEEvT_T0_DpT1_.num_agpr, 0
	.set _ZN2at6native12_GLOBAL__N_125multi_tensor_apply_kernelINS1_28TensorListScalarListMetadataIN3c107complexIfEELi2EEENS1_25BinaryOpScalarListFunctorIS6_Li2ELi1ELi1EEEJSt5minusIS6_EEEEvT_T0_DpT1_.numbered_sgpr, 29
	.set _ZN2at6native12_GLOBAL__N_125multi_tensor_apply_kernelINS1_28TensorListScalarListMetadataIN3c107complexIfEELi2EEENS1_25BinaryOpScalarListFunctorIS6_Li2ELi1ELi1EEEJSt5minusIS6_EEEEvT_T0_DpT1_.num_named_barrier, 0
	.set _ZN2at6native12_GLOBAL__N_125multi_tensor_apply_kernelINS1_28TensorListScalarListMetadataIN3c107complexIfEELi2EEENS1_25BinaryOpScalarListFunctorIS6_Li2ELi1ELi1EEEJSt5minusIS6_EEEEvT_T0_DpT1_.private_seg_size, 16
	.set _ZN2at6native12_GLOBAL__N_125multi_tensor_apply_kernelINS1_28TensorListScalarListMetadataIN3c107complexIfEELi2EEENS1_25BinaryOpScalarListFunctorIS6_Li2ELi1ELi1EEEJSt5minusIS6_EEEEvT_T0_DpT1_.uses_vcc, 1
	.set _ZN2at6native12_GLOBAL__N_125multi_tensor_apply_kernelINS1_28TensorListScalarListMetadataIN3c107complexIfEELi2EEENS1_25BinaryOpScalarListFunctorIS6_Li2ELi1ELi1EEEJSt5minusIS6_EEEEvT_T0_DpT1_.uses_flat_scratch, 1
	.set _ZN2at6native12_GLOBAL__N_125multi_tensor_apply_kernelINS1_28TensorListScalarListMetadataIN3c107complexIfEELi2EEENS1_25BinaryOpScalarListFunctorIS6_Li2ELi1ELi1EEEJSt5minusIS6_EEEEvT_T0_DpT1_.has_dyn_sized_stack, 0
	.set _ZN2at6native12_GLOBAL__N_125multi_tensor_apply_kernelINS1_28TensorListScalarListMetadataIN3c107complexIfEELi2EEENS1_25BinaryOpScalarListFunctorIS6_Li2ELi1ELi1EEEJSt5minusIS6_EEEEvT_T0_DpT1_.has_recursion, 0
	.set _ZN2at6native12_GLOBAL__N_125multi_tensor_apply_kernelINS1_28TensorListScalarListMetadataIN3c107complexIfEELi2EEENS1_25BinaryOpScalarListFunctorIS6_Li2ELi1ELi1EEEJSt5minusIS6_EEEEvT_T0_DpT1_.has_indirect_call, 0
	.section	.AMDGPU.csdata,"",@progbits
; Kernel info:
; codeLenInByte = 1276
; TotalNumSgprs: 31
; NumVgprs: 20
; ScratchSize: 16
; MemoryBound: 0
; FloatMode: 240
; IeeeMode: 1
; LDSByteSize: 0 bytes/workgroup (compile time only)
; SGPRBlocks: 0
; VGPRBlocks: 2
; NumSGPRsForWavesPerEU: 31
; NumVGPRsForWavesPerEU: 20
; Occupancy: 16
; WaveLimiterHint : 1
; COMPUTE_PGM_RSRC2:SCRATCH_EN: 1
; COMPUTE_PGM_RSRC2:USER_SGPR: 8
; COMPUTE_PGM_RSRC2:TRAP_HANDLER: 0
; COMPUTE_PGM_RSRC2:TGID_X_EN: 1
; COMPUTE_PGM_RSRC2:TGID_Y_EN: 0
; COMPUTE_PGM_RSRC2:TGID_Z_EN: 0
; COMPUTE_PGM_RSRC2:TIDIG_COMP_CNT: 0
	.section	.text._ZN2at6native12_GLOBAL__N_125multi_tensor_apply_kernelINS1_28TensorListScalarListMetadataIbLi2EEENS1_25BinaryOpScalarListFunctorIbLi2ELi1ELi1EEEJSt5minusIbEEEEvT_T0_DpT1_,"axG",@progbits,_ZN2at6native12_GLOBAL__N_125multi_tensor_apply_kernelINS1_28TensorListScalarListMetadataIbLi2EEENS1_25BinaryOpScalarListFunctorIbLi2ELi1ELi1EEEJSt5minusIbEEEEvT_T0_DpT1_,comdat
	.globl	_ZN2at6native12_GLOBAL__N_125multi_tensor_apply_kernelINS1_28TensorListScalarListMetadataIbLi2EEENS1_25BinaryOpScalarListFunctorIbLi2ELi1ELi1EEEJSt5minusIbEEEEvT_T0_DpT1_ ; -- Begin function _ZN2at6native12_GLOBAL__N_125multi_tensor_apply_kernelINS1_28TensorListScalarListMetadataIbLi2EEENS1_25BinaryOpScalarListFunctorIbLi2ELi1ELi1EEEJSt5minusIbEEEEvT_T0_DpT1_
	.p2align	8
	.type	_ZN2at6native12_GLOBAL__N_125multi_tensor_apply_kernelINS1_28TensorListScalarListMetadataIbLi2EEENS1_25BinaryOpScalarListFunctorIbLi2ELi1ELi1EEEJSt5minusIbEEEEvT_T0_DpT1_,@function
_ZN2at6native12_GLOBAL__N_125multi_tensor_apply_kernelINS1_28TensorListScalarListMetadataIbLi2EEENS1_25BinaryOpScalarListFunctorIbLi2ELi1ELi1EEEJSt5minusIbEEEEvT_T0_DpT1_: ; @_ZN2at6native12_GLOBAL__N_125multi_tensor_apply_kernelINS1_28TensorListScalarListMetadataIbLi2EEENS1_25BinaryOpScalarListFunctorIbLi2ELi1ELi1EEEJSt5minusIbEEEEvT_T0_DpT1_
; %bb.0:
	v_mov_b32_e32 v1, s6
	s_mul_hi_u32 s1, s6, 3
	global_load_ubyte v3, v1, s[4:5] offset:1600
	s_waitcnt vmcnt(0)
	v_add_co_u32 v1, s0, s4, v3
	v_add_co_ci_u32_e64 v2, null, s5, 0, s0
	s_add_u32 s0, s4, s6
	s_mul_i32 s6, s6, 3
	s_addc_u32 s2, s5, 0
	global_load_ubyte v1, v[1:2], off offset:1536
	s_add_u32 s0, s0, s6
	s_addc_u32 s1, s2, s1
	v_readfirstlane_b32 s3, v3
	s_load_dword s0, s[0:1], 0x780
	s_lshl_b32 s1, s3, 3
	s_clause 0x2
	s_load_dwordx2 s[6:7], s[4:5], s1 offset:0x0
	s_load_dwordx2 s[2:3], s[4:5], s1 offset:0x400
	;; [unrolled: 1-line block ×3, first 2 shown]
	s_waitcnt lgkmcnt(0)
	s_ashr_i32 s1, s0, 31
	s_lshl_b64 s[10:11], s[0:1], 16
	s_add_u32 s0, s6, s10
	s_sub_u32 s12, s2, s10
	s_subb_u32 s13, s3, s11
	s_or_b32 s1, s2, s8
	s_or_b32 s0, s1, s0
	s_and_b32 s0, s0, 3
	s_cmp_eq_u32 s0, 0
	s_mov_b32 s0, -1
	s_waitcnt vmcnt(0)
	v_readfirstlane_b32 s20, v1
	s_cbranch_scc1 .LBB117_21
; %bb.1:
	v_cmp_lt_i64_e64 s0, s[12:13], 1
	s_and_b32 vcc_lo, exec_lo, s0
	s_cbranch_vccnz .LBB117_20
; %bb.2:
	s_load_dword s0, s[4:5], 0xc94
	v_cmp_gt_i64_e64 s1, 0x10000, s[12:13]
	v_cmp_gt_u64_e64 s2, 0x10000, s[12:13]
	v_add_co_u32 v15, s3, s10, v0
	v_add_co_ci_u32_e64 v16, null, s11, 0, s3
	s_and_b32 s1, s1, exec_lo
	s_cselect_b32 s15, s13, 0
	s_cselect_b32 s14, s12, 0x10000
	s_bitcmp1_b32 s20, 0
	v_add_co_u32 v1, vcc_lo, s6, v15
	s_cselect_b32 s21, -1, 0
	v_add_co_ci_u32_e64 v2, null, s7, v16, vcc_lo
	v_add_co_u32 v3, vcc_lo, s8, v15
	v_add_co_ci_u32_e64 v4, null, s9, v16, vcc_lo
	s_waitcnt lgkmcnt(0)
	s_and_b32 s0, s0, 0xffff
	s_and_b32 s1, s2, exec_lo
	s_mul_i32 s2, s0, 3
	s_cselect_b32 s17, s13, 0
	s_cselect_b32 s16, s12, 0x10000
	s_lshl_b32 s1, s0, 1
	s_lshl_b32 s22, s0, 2
	s_add_u32 s3, s10, s2
	s_addc_u32 s18, s11, 0
	v_add_co_u32 v7, s3, s3, v0
	v_add_co_ci_u32_e64 v8, null, s18, 0, s3
	s_add_u32 s3, s10, s1
	s_addc_u32 s18, s11, 0
	v_add_co_u32 v13, s3, s3, v0
	v_add_co_u32 v5, vcc_lo, s6, v7
	v_add_co_ci_u32_e64 v14, null, s18, 0, s3
	v_add_co_ci_u32_e64 v6, null, s7, v8, vcc_lo
	v_add_co_u32 v7, vcc_lo, s8, v7
	v_add_co_ci_u32_e64 v8, null, s9, v8, vcc_lo
	v_add_co_u32 v11, vcc_lo, s6, v13
	;; [unrolled: 2-line block ×4, first 2 shown]
	v_add_co_ci_u32_e64 v20, null, 0, v16, vcc_lo
	v_add_co_u32 v9, s2, s2, v0
	v_add_co_u32 v17, vcc_lo, s6, v19
	v_add_co_u32 v15, s1, s1, v0
	v_add_co_ci_u32_e64 v18, null, s7, v20, vcc_lo
	v_add_co_u32 v19, vcc_lo, s8, v19
	v_add_co_u32 v21, s0, v0, s0
	v_add_co_ci_u32_e64 v10, null, 0, 0, s2
	v_add_co_ci_u32_e64 v16, null, 0, 0, s1
	v_add_co_ci_u32_e64 v20, null, s9, v20, vcc_lo
	v_add_co_ci_u32_e64 v22, null, 0, 0, s0
	s_mov_b64 s[18:19], 0
	s_and_b32 s23, s20, 0xff
	s_branch .LBB117_4
.LBB117_3:                              ;   in Loop: Header=BB117_4 Depth=1
	s_or_b32 exec_lo, exec_lo, s0
	s_add_u32 s18, s18, s22
	s_addc_u32 s19, s19, 0
	v_cmp_lt_i64_e64 s0, s[18:19], s[14:15]
	s_and_b32 vcc_lo, exec_lo, s0
	s_cbranch_vccz .LBB117_20
.LBB117_4:                              ; =>This Inner Loop Header: Depth=1
	v_add_co_u32 v23, s0, v0, s18
	v_add_co_ci_u32_e64 v24, null, 0, s19, s0
	s_mov_b32 s24, s21
	v_cmp_gt_u64_e32 vcc_lo, s[16:17], v[23:24]
	s_and_saveexec_b32 s1, vcc_lo
	s_cbranch_execz .LBB117_6
; %bb.5:                                ;   in Loop: Header=BB117_4 Depth=1
	v_add_co_u32 v23, s0, v1, s18
	v_add_co_ci_u32_e64 v24, null, s19, v2, s0
	s_andn2_b32 s2, s21, exec_lo
	global_load_ubyte v23, v[23:24], off
	s_waitcnt vmcnt(0)
	v_cmp_ne_u16_e64 s0, s23, v23
	s_and_b32 s0, s0, exec_lo
	s_or_b32 s24, s2, s0
.LBB117_6:                              ;   in Loop: Header=BB117_4 Depth=1
	s_or_b32 exec_lo, exec_lo, s1
	v_add_co_u32 v23, s0, v21, s18
	v_add_co_ci_u32_e64 v24, null, s19, v22, s0
	s_mov_b32 s25, s21
	v_cmp_gt_u64_e64 s0, s[16:17], v[23:24]
	s_and_saveexec_b32 s2, s0
	s_cbranch_execz .LBB117_8
; %bb.7:                                ;   in Loop: Header=BB117_4 Depth=1
	v_add_co_u32 v23, s1, v17, s18
	v_add_co_ci_u32_e64 v24, null, s19, v18, s1
	s_andn2_b32 s3, s21, exec_lo
	global_load_ubyte v23, v[23:24], off
	s_waitcnt vmcnt(0)
	v_cmp_ne_u16_e64 s1, s23, v23
	s_and_b32 s1, s1, exec_lo
	s_or_b32 s25, s3, s1
.LBB117_8:                              ;   in Loop: Header=BB117_4 Depth=1
	s_or_b32 exec_lo, exec_lo, s2
	v_add_co_u32 v23, s1, v15, s18
	v_add_co_ci_u32_e64 v24, null, s19, v16, s1
	s_mov_b32 s26, s21
	v_cmp_gt_u64_e64 s1, s[16:17], v[23:24]
	s_and_saveexec_b32 s3, s1
	s_cbranch_execz .LBB117_10
; %bb.9:                                ;   in Loop: Header=BB117_4 Depth=1
	v_add_co_u32 v23, s2, v11, s18
	v_add_co_ci_u32_e64 v24, null, s19, v12, s2
	s_andn2_b32 s26, s21, exec_lo
	global_load_ubyte v23, v[23:24], off
	s_waitcnt vmcnt(0)
	v_cmp_ne_u16_e64 s2, s23, v23
	s_and_b32 s2, s2, exec_lo
	s_or_b32 s26, s26, s2
.LBB117_10:                             ;   in Loop: Header=BB117_4 Depth=1
	s_or_b32 exec_lo, exec_lo, s3
	v_add_co_u32 v23, s2, v9, s18
	v_add_co_ci_u32_e64 v24, null, s19, v10, s2
	s_mov_b32 s3, s21
	v_cmp_gt_u64_e64 s2, s[16:17], v[23:24]
	s_and_saveexec_b32 s27, s2
	s_cbranch_execnz .LBB117_15
; %bb.11:                               ;   in Loop: Header=BB117_4 Depth=1
	s_or_b32 exec_lo, exec_lo, s27
	s_and_saveexec_b32 s27, vcc_lo
	s_cbranch_execnz .LBB117_16
.LBB117_12:                             ;   in Loop: Header=BB117_4 Depth=1
	s_or_b32 exec_lo, exec_lo, s27
	s_and_saveexec_b32 s24, s0
	s_cbranch_execnz .LBB117_17
.LBB117_13:                             ;   in Loop: Header=BB117_4 Depth=1
	s_or_b32 exec_lo, exec_lo, s24
	s_and_saveexec_b32 s0, s1
	s_cbranch_execnz .LBB117_18
.LBB117_14:                             ;   in Loop: Header=BB117_4 Depth=1
	s_or_b32 exec_lo, exec_lo, s0
	s_and_saveexec_b32 s0, s2
	s_cbranch_execz .LBB117_3
	s_branch .LBB117_19
.LBB117_15:                             ;   in Loop: Header=BB117_4 Depth=1
	v_add_co_u32 v23, s3, v5, s18
	v_add_co_ci_u32_e64 v24, null, s19, v6, s3
	s_andn2_b32 s28, s21, exec_lo
	global_load_ubyte v23, v[23:24], off
	s_waitcnt vmcnt(0)
	v_cmp_ne_u16_e64 s3, s23, v23
	s_and_b32 s3, s3, exec_lo
	s_or_b32 s3, s28, s3
	s_or_b32 exec_lo, exec_lo, s27
	s_and_saveexec_b32 s27, vcc_lo
	s_cbranch_execz .LBB117_12
.LBB117_16:                             ;   in Loop: Header=BB117_4 Depth=1
	v_add_co_u32 v23, vcc_lo, v3, s18
	v_cndmask_b32_e64 v25, 0, 1, s24
	v_add_co_ci_u32_e64 v24, null, s19, v4, vcc_lo
	global_store_byte v[23:24], v25, off
	s_or_b32 exec_lo, exec_lo, s27
	s_and_saveexec_b32 s24, s0
	s_cbranch_execz .LBB117_13
.LBB117_17:                             ;   in Loop: Header=BB117_4 Depth=1
	v_add_co_u32 v23, vcc_lo, v19, s18
	v_cndmask_b32_e64 v25, 0, 1, s25
	v_add_co_ci_u32_e64 v24, null, s19, v20, vcc_lo
	global_store_byte v[23:24], v25, off
	s_or_b32 exec_lo, exec_lo, s24
	s_and_saveexec_b32 s0, s1
	s_cbranch_execz .LBB117_14
.LBB117_18:                             ;   in Loop: Header=BB117_4 Depth=1
	v_add_co_u32 v23, vcc_lo, v13, s18
	v_cndmask_b32_e64 v25, 0, 1, s26
	v_add_co_ci_u32_e64 v24, null, s19, v14, vcc_lo
	global_store_byte v[23:24], v25, off
	s_or_b32 exec_lo, exec_lo, s0
	s_and_saveexec_b32 s0, s2
	s_cbranch_execz .LBB117_3
.LBB117_19:                             ;   in Loop: Header=BB117_4 Depth=1
	v_add_co_u32 v23, vcc_lo, v7, s18
	v_cndmask_b32_e64 v25, 0, 1, s3
	v_add_co_ci_u32_e64 v24, null, s19, v8, vcc_lo
	global_store_byte v[23:24], v25, off
	s_branch .LBB117_3
.LBB117_20:
	s_mov_b32 s0, 0
.LBB117_21:
	s_andn2_b32 vcc_lo, exec_lo, s0
	s_cbranch_vccnz .LBB117_25
; %bb.22:
	v_cmp_gt_i64_e64 s0, 0x10000, s[12:13]
	v_mov_b32_e32 v3, 0
	v_lshlrev_b32_e32 v2, 2, v0
	s_mov_b32 s1, 0
	s_and_b32 s0, s0, exec_lo
	s_cselect_b32 s3, s13, 0
	s_cselect_b32 s2, s12, 0x10000
	s_mov_b32 s0, exec_lo
	v_cmpx_gt_i64_e64 s[2:3], v[2:3]
	s_cbranch_execz .LBB117_25
; %bb.23:
	s_load_dword s0, s[4:5], 0xc94
	v_add_co_u32 v2, s4, s10, v2
	v_mov_b32_e32 v1, v3
	v_add_co_ci_u32_e64 v3, null, s11, 0, s4
	v_mov_b32_e32 v4, 0xff
	s_and_b32 s10, s20, 0xff
	s_waitcnt lgkmcnt(0)
	s_and_b32 s4, s0, 0xffff
	s_lshl_b32 s5, s4, 2
.LBB117_24:                             ; =>This Inner Loop Header: Depth=1
	v_add_co_u32 v5, vcc_lo, s6, v2
	v_add_co_ci_u32_e64 v6, null, s7, v3, vcc_lo
	v_add_co_u32 v0, vcc_lo, v0, s4
	v_add_co_ci_u32_e64 v1, null, 0, v1, vcc_lo
	global_load_dword v6, v[5:6], off
	v_add_co_u32 v5, vcc_lo, s8, v2
	v_lshlrev_b64 v[7:8], 2, v[0:1]
	s_waitcnt vmcnt(0)
	v_cmp_ne_u16_sdwa s0, s10, v6 src0_sel:DWORD src1_sel:BYTE_0
	v_lshrrev_b32_e32 v9, 8, v6
	v_and_b32_sdwa v11, v6, v4 dst_sel:DWORD dst_unused:UNUSED_PAD src0_sel:WORD_1 src1_sel:DWORD
	v_cndmask_b32_e64 v10, 0, 1, s0
	v_cmp_ne_u16_sdwa s0, s10, v6 src0_sel:DWORD src1_sel:BYTE_3
	v_cndmask_b32_e64 v6, 0, 1, s0
	v_cmp_ne_u16_sdwa s0, s10, v9 src0_sel:DWORD src1_sel:BYTE_0
	v_lshlrev_b16 v12, 8, v6
	v_cndmask_b32_e64 v9, 0, 1, s0
	v_cmp_ne_u16_e64 s0, s10, v11
	v_add_co_ci_u32_e64 v6, null, s9, v3, vcc_lo
	v_cmp_le_i64_e32 vcc_lo, s[2:3], v[7:8]
	v_lshlrev_b16 v9, 8, v9
	v_cndmask_b32_e64 v11, 0, 1, s0
	v_add_co_u32 v2, s0, v2, s5
	v_add_co_ci_u32_e64 v3, null, 0, v3, s0
	v_or_b32_sdwa v11, v11, v12 dst_sel:WORD_1 dst_unused:UNUSED_PAD src0_sel:DWORD src1_sel:DWORD
	v_or_b32_e32 v9, v10, v9
	s_or_b32 s1, vcc_lo, s1
	v_or_b32_sdwa v7, v9, v11 dst_sel:DWORD dst_unused:UNUSED_PAD src0_sel:WORD_0 src1_sel:DWORD
	global_store_dword v[5:6], v7, off
	s_andn2_b32 exec_lo, exec_lo, s1
	s_cbranch_execnz .LBB117_24
.LBB117_25:
	s_endpgm
	.section	.rodata,"a",@progbits
	.p2align	6, 0x0
	.amdhsa_kernel _ZN2at6native12_GLOBAL__N_125multi_tensor_apply_kernelINS1_28TensorListScalarListMetadataIbLi2EEENS1_25BinaryOpScalarListFunctorIbLi2ELi1ELi1EEEJSt5minusIbEEEEvT_T0_DpT1_
		.amdhsa_group_segment_fixed_size 0
		.amdhsa_private_segment_fixed_size 0
		.amdhsa_kernarg_size 3464
		.amdhsa_user_sgpr_count 6
		.amdhsa_user_sgpr_private_segment_buffer 1
		.amdhsa_user_sgpr_dispatch_ptr 0
		.amdhsa_user_sgpr_queue_ptr 0
		.amdhsa_user_sgpr_kernarg_segment_ptr 1
		.amdhsa_user_sgpr_dispatch_id 0
		.amdhsa_user_sgpr_flat_scratch_init 0
		.amdhsa_user_sgpr_private_segment_size 0
		.amdhsa_wavefront_size32 1
		.amdhsa_uses_dynamic_stack 0
		.amdhsa_system_sgpr_private_segment_wavefront_offset 0
		.amdhsa_system_sgpr_workgroup_id_x 1
		.amdhsa_system_sgpr_workgroup_id_y 0
		.amdhsa_system_sgpr_workgroup_id_z 0
		.amdhsa_system_sgpr_workgroup_info 0
		.amdhsa_system_vgpr_workitem_id 0
		.amdhsa_next_free_vgpr 26
		.amdhsa_next_free_sgpr 29
		.amdhsa_reserve_vcc 1
		.amdhsa_reserve_flat_scratch 0
		.amdhsa_float_round_mode_32 0
		.amdhsa_float_round_mode_16_64 0
		.amdhsa_float_denorm_mode_32 3
		.amdhsa_float_denorm_mode_16_64 3
		.amdhsa_dx10_clamp 1
		.amdhsa_ieee_mode 1
		.amdhsa_fp16_overflow 0
		.amdhsa_workgroup_processor_mode 1
		.amdhsa_memory_ordered 1
		.amdhsa_forward_progress 1
		.amdhsa_shared_vgpr_count 0
		.amdhsa_exception_fp_ieee_invalid_op 0
		.amdhsa_exception_fp_denorm_src 0
		.amdhsa_exception_fp_ieee_div_zero 0
		.amdhsa_exception_fp_ieee_overflow 0
		.amdhsa_exception_fp_ieee_underflow 0
		.amdhsa_exception_fp_ieee_inexact 0
		.amdhsa_exception_int_div_zero 0
	.end_amdhsa_kernel
	.section	.text._ZN2at6native12_GLOBAL__N_125multi_tensor_apply_kernelINS1_28TensorListScalarListMetadataIbLi2EEENS1_25BinaryOpScalarListFunctorIbLi2ELi1ELi1EEEJSt5minusIbEEEEvT_T0_DpT1_,"axG",@progbits,_ZN2at6native12_GLOBAL__N_125multi_tensor_apply_kernelINS1_28TensorListScalarListMetadataIbLi2EEENS1_25BinaryOpScalarListFunctorIbLi2ELi1ELi1EEEJSt5minusIbEEEEvT_T0_DpT1_,comdat
.Lfunc_end117:
	.size	_ZN2at6native12_GLOBAL__N_125multi_tensor_apply_kernelINS1_28TensorListScalarListMetadataIbLi2EEENS1_25BinaryOpScalarListFunctorIbLi2ELi1ELi1EEEJSt5minusIbEEEEvT_T0_DpT1_, .Lfunc_end117-_ZN2at6native12_GLOBAL__N_125multi_tensor_apply_kernelINS1_28TensorListScalarListMetadataIbLi2EEENS1_25BinaryOpScalarListFunctorIbLi2ELi1ELi1EEEJSt5minusIbEEEEvT_T0_DpT1_
                                        ; -- End function
	.set _ZN2at6native12_GLOBAL__N_125multi_tensor_apply_kernelINS1_28TensorListScalarListMetadataIbLi2EEENS1_25BinaryOpScalarListFunctorIbLi2ELi1ELi1EEEJSt5minusIbEEEEvT_T0_DpT1_.num_vgpr, 26
	.set _ZN2at6native12_GLOBAL__N_125multi_tensor_apply_kernelINS1_28TensorListScalarListMetadataIbLi2EEENS1_25BinaryOpScalarListFunctorIbLi2ELi1ELi1EEEJSt5minusIbEEEEvT_T0_DpT1_.num_agpr, 0
	.set _ZN2at6native12_GLOBAL__N_125multi_tensor_apply_kernelINS1_28TensorListScalarListMetadataIbLi2EEENS1_25BinaryOpScalarListFunctorIbLi2ELi1ELi1EEEJSt5minusIbEEEEvT_T0_DpT1_.numbered_sgpr, 29
	.set _ZN2at6native12_GLOBAL__N_125multi_tensor_apply_kernelINS1_28TensorListScalarListMetadataIbLi2EEENS1_25BinaryOpScalarListFunctorIbLi2ELi1ELi1EEEJSt5minusIbEEEEvT_T0_DpT1_.num_named_barrier, 0
	.set _ZN2at6native12_GLOBAL__N_125multi_tensor_apply_kernelINS1_28TensorListScalarListMetadataIbLi2EEENS1_25BinaryOpScalarListFunctorIbLi2ELi1ELi1EEEJSt5minusIbEEEEvT_T0_DpT1_.private_seg_size, 0
	.set _ZN2at6native12_GLOBAL__N_125multi_tensor_apply_kernelINS1_28TensorListScalarListMetadataIbLi2EEENS1_25BinaryOpScalarListFunctorIbLi2ELi1ELi1EEEJSt5minusIbEEEEvT_T0_DpT1_.uses_vcc, 1
	.set _ZN2at6native12_GLOBAL__N_125multi_tensor_apply_kernelINS1_28TensorListScalarListMetadataIbLi2EEENS1_25BinaryOpScalarListFunctorIbLi2ELi1ELi1EEEJSt5minusIbEEEEvT_T0_DpT1_.uses_flat_scratch, 0
	.set _ZN2at6native12_GLOBAL__N_125multi_tensor_apply_kernelINS1_28TensorListScalarListMetadataIbLi2EEENS1_25BinaryOpScalarListFunctorIbLi2ELi1ELi1EEEJSt5minusIbEEEEvT_T0_DpT1_.has_dyn_sized_stack, 0
	.set _ZN2at6native12_GLOBAL__N_125multi_tensor_apply_kernelINS1_28TensorListScalarListMetadataIbLi2EEENS1_25BinaryOpScalarListFunctorIbLi2ELi1ELi1EEEJSt5minusIbEEEEvT_T0_DpT1_.has_recursion, 0
	.set _ZN2at6native12_GLOBAL__N_125multi_tensor_apply_kernelINS1_28TensorListScalarListMetadataIbLi2EEENS1_25BinaryOpScalarListFunctorIbLi2ELi1ELi1EEEJSt5minusIbEEEEvT_T0_DpT1_.has_indirect_call, 0
	.section	.AMDGPU.csdata,"",@progbits
; Kernel info:
; codeLenInByte = 1504
; TotalNumSgprs: 31
; NumVgprs: 26
; ScratchSize: 0
; MemoryBound: 0
; FloatMode: 240
; IeeeMode: 1
; LDSByteSize: 0 bytes/workgroup (compile time only)
; SGPRBlocks: 0
; VGPRBlocks: 3
; NumSGPRsForWavesPerEU: 31
; NumVGPRsForWavesPerEU: 26
; Occupancy: 16
; WaveLimiterHint : 0
; COMPUTE_PGM_RSRC2:SCRATCH_EN: 0
; COMPUTE_PGM_RSRC2:USER_SGPR: 6
; COMPUTE_PGM_RSRC2:TRAP_HANDLER: 0
; COMPUTE_PGM_RSRC2:TGID_X_EN: 1
; COMPUTE_PGM_RSRC2:TGID_Y_EN: 0
; COMPUTE_PGM_RSRC2:TGID_Z_EN: 0
; COMPUTE_PGM_RSRC2:TIDIG_COMP_CNT: 0
	.section	.text._ZN2at6native12_GLOBAL__N_125multi_tensor_apply_kernelINS1_28TensorListScalarListMetadataIfLi2EEENS1_25BinaryOpScalarListFunctorIN3c104HalfELi2ELi1ELi1EEEJSt5minusIfEEEEvT_T0_DpT1_,"axG",@progbits,_ZN2at6native12_GLOBAL__N_125multi_tensor_apply_kernelINS1_28TensorListScalarListMetadataIfLi2EEENS1_25BinaryOpScalarListFunctorIN3c104HalfELi2ELi1ELi1EEEJSt5minusIfEEEEvT_T0_DpT1_,comdat
	.globl	_ZN2at6native12_GLOBAL__N_125multi_tensor_apply_kernelINS1_28TensorListScalarListMetadataIfLi2EEENS1_25BinaryOpScalarListFunctorIN3c104HalfELi2ELi1ELi1EEEJSt5minusIfEEEEvT_T0_DpT1_ ; -- Begin function _ZN2at6native12_GLOBAL__N_125multi_tensor_apply_kernelINS1_28TensorListScalarListMetadataIfLi2EEENS1_25BinaryOpScalarListFunctorIN3c104HalfELi2ELi1ELi1EEEJSt5minusIfEEEEvT_T0_DpT1_
	.p2align	8
	.type	_ZN2at6native12_GLOBAL__N_125multi_tensor_apply_kernelINS1_28TensorListScalarListMetadataIfLi2EEENS1_25BinaryOpScalarListFunctorIN3c104HalfELi2ELi1ELi1EEEJSt5minusIfEEEEvT_T0_DpT1_,@function
_ZN2at6native12_GLOBAL__N_125multi_tensor_apply_kernelINS1_28TensorListScalarListMetadataIfLi2EEENS1_25BinaryOpScalarListFunctorIN3c104HalfELi2ELi1ELi1EEEJSt5minusIfEEEEvT_T0_DpT1_: ; @_ZN2at6native12_GLOBAL__N_125multi_tensor_apply_kernelINS1_28TensorListScalarListMetadataIfLi2EEENS1_25BinaryOpScalarListFunctorIN3c104HalfELi2ELi1ELi1EEEJSt5minusIfEEEEvT_T0_DpT1_
; %bb.0:
	v_mov_b32_e32 v1, s6
	s_add_u32 s0, s4, s6
	s_mul_hi_u32 s1, s6, 3
	s_mul_i32 s6, s6, 3
	s_addc_u32 s2, s5, 0
	global_load_ubyte v1, v1, s[4:5] offset:1792
	s_add_u32 s0, s0, s6
	s_addc_u32 s1, s2, s1
	s_mov_b32 s15, 0
	s_load_dword s0, s[0:1], 0x840
	s_mov_b32 s17, s15
	s_waitcnt vmcnt(0)
	v_readfirstlane_b32 s1, v1
	v_lshlrev_b32_e32 v1, 2, v1
	s_lshl_b32 s10, s1, 3
	v_sub_co_u32 v1, s1, 0, v1
	v_sub_co_ci_u32_e64 v2, null, 0, 0, s1
	s_waitcnt lgkmcnt(0)
	s_ashr_i32 s1, s0, 31
	s_clause 0x2
	s_load_dwordx2 s[2:3], s[4:5], s10 offset:0x400
	s_load_dwordx2 s[6:7], s[4:5], s10 offset:0x0
	;; [unrolled: 1-line block ×3, first 2 shown]
	s_add_u32 s10, s4, s10
	s_addc_u32 s11, s5, 0
	v_add_co_u32 v1, vcc_lo, s10, v1
	v_add_co_ci_u32_e64 v2, null, s11, v2, vcc_lo
	v_readfirstlane_b32 s10, v1
	v_readfirstlane_b32 s11, v2
	s_load_dword s20, s[10:11], 0x600
	s_lshl_b64 s[10:11], s[0:1], 17
	s_lshl_b64 s[0:1], s[0:1], 16
	s_waitcnt lgkmcnt(0)
	s_add_u32 s12, s6, s10
	s_and_b32 s16, s8, 7
	s_and_b32 s14, s12, 7
	s_sub_u32 s12, s2, s0
	s_subb_u32 s13, s3, s1
	s_and_b32 s0, s2, 3
	s_mov_b32 s1, s15
	s_or_b64 s[0:1], s[16:17], s[0:1]
	s_or_b64 s[0:1], s[0:1], s[14:15]
	s_cmp_eq_u64 s[0:1], 0
	s_mov_b32 s0, -1
	s_cbranch_scc1 .LBB118_21
; %bb.1:
	v_cmp_lt_i64_e64 s0, s[12:13], 1
	s_and_b32 vcc_lo, exec_lo, s0
	s_cbranch_vccnz .LBB118_20
; %bb.2:
	s_load_dword s0, s[4:5], 0xd54
	v_cmp_gt_i64_e64 s1, 0x10000, s[12:13]
	v_lshlrev_b32_e32 v9, 1, v0
	v_cmp_gt_u64_e64 s2, 0x10000, s[12:13]
	v_mov_b32_e32 v10, 0
	s_mov_b64 s[18:19], 0
	s_and_b32 s1, s1, exec_lo
	v_add_co_u32 v1, s3, s6, v9
	s_cselect_b32 s15, s13, 0
	s_cselect_b32 s14, s12, 0x10000
	v_add_co_ci_u32_e64 v2, null, s7, 0, s3
	v_add_co_u32 v3, s3, s8, v9
	v_add_co_ci_u32_e64 v4, null, s9, 0, s3
	s_waitcnt lgkmcnt(0)
	s_and_b32 s0, s0, 0xffff
	s_and_b32 s1, s2, exec_lo
	s_cselect_b32 s17, s13, 0
	s_cselect_b32 s16, s12, 0x10000
	s_mul_i32 s2, s0, 3
	s_lshl_b32 s21, s0, 2
	v_mad_u64_u32 v[7:8], null, s0, 6, v[9:10]
	v_add_co_u32 v14, s3, s21, v9
	v_add_co_u32 v9, s2, s2, v0
	v_add_co_ci_u32_e64 v10, null, 0, 0, s2
	v_add_co_u32 v13, s2, v0, s0
	s_lshl_b32 s1, s0, 1
	v_add_co_u32 v5, vcc_lo, s6, v7
	v_lshlrev_b32_e32 v21, 1, v13
	v_add_co_ci_u32_e64 v15, null, 0, 0, s3
	v_add_co_ci_u32_e64 v6, null, s7, v8, vcc_lo
	v_add_co_u32 v7, vcc_lo, s8, v7
	v_add_co_u32 v17, s1, s1, v0
	v_add_co_ci_u32_e64 v8, null, s9, v8, vcc_lo
	v_add_co_u32 v11, vcc_lo, s6, v14
	v_add_co_ci_u32_e64 v18, null, 0, 0, s1
	v_add_co_u32 v19, s1, s6, v21
	v_add_co_ci_u32_e64 v12, null, s7, v15, vcc_lo
	v_add_co_u32 v14, vcc_lo, s8, v14
	v_add_co_ci_u32_e64 v20, null, s7, 0, s1
	v_add_co_u32 v21, s1, s8, v21
	v_add_co_ci_u32_e64 v15, null, s9, v15, vcc_lo
	v_add_co_ci_u32_e64 v16, null, 0, 0, s2
	v_add_co_ci_u32_e64 v22, null, s9, 0, s1
	s_lshl_b32 s22, s0, 3
	s_branch .LBB118_4
.LBB118_3:                              ;   in Loop: Header=BB118_4 Depth=1
	s_or_b32 exec_lo, exec_lo, s0
	v_add_co_u32 v1, vcc_lo, v1, s22
	v_add_co_ci_u32_e64 v2, null, 0, v2, vcc_lo
	v_add_co_u32 v3, vcc_lo, v3, s22
	v_add_co_ci_u32_e64 v4, null, 0, v4, vcc_lo
	v_add_co_u32 v5, vcc_lo, v5, s22
	v_add_co_ci_u32_e64 v6, null, 0, v6, vcc_lo
	v_add_co_u32 v7, vcc_lo, v7, s22
	v_add_co_ci_u32_e64 v8, null, 0, v8, vcc_lo
	v_add_co_u32 v11, vcc_lo, v11, s22
	s_add_u32 s18, s18, s21
	v_add_co_ci_u32_e64 v12, null, 0, v12, vcc_lo
	v_add_co_u32 v14, vcc_lo, v14, s22
	s_addc_u32 s19, s19, 0
	v_add_co_ci_u32_e64 v15, null, 0, v15, vcc_lo
	v_add_co_u32 v19, vcc_lo, v19, s22
	v_cmp_lt_i64_e64 s0, s[18:19], s[14:15]
	v_add_co_ci_u32_e64 v20, null, 0, v20, vcc_lo
	v_add_co_u32 v21, vcc_lo, v21, s22
	v_add_co_ci_u32_e64 v22, null, 0, v22, vcc_lo
	s_and_b32 vcc_lo, exec_lo, s0
	s_cbranch_vccz .LBB118_20
.LBB118_4:                              ; =>This Inner Loop Header: Depth=1
	v_add_co_u32 v23, s0, v0, s18
	v_add_co_ci_u32_e64 v24, null, 0, s19, s0
	v_cmp_gt_u64_e32 vcc_lo, s[16:17], v[23:24]
	v_mov_b32_e32 v24, 0
	s_and_saveexec_b32 s1, vcc_lo
	s_cbranch_execz .LBB118_6
; %bb.5:                                ;   in Loop: Header=BB118_4 Depth=1
	v_add_co_u32 v23, s0, v1, s10
	v_add_co_ci_u32_e64 v24, null, s11, v2, s0
	global_load_ushort v23, v[23:24], off
	s_waitcnt vmcnt(0)
	v_cvt_f32_f16_e32 v24, v23
.LBB118_6:                              ;   in Loop: Header=BB118_4 Depth=1
	s_or_b32 exec_lo, exec_lo, s1
	v_add_co_u32 v25, s0, v13, s18
	v_add_co_ci_u32_e64 v26, null, s19, v16, s0
	v_mov_b32_e32 v23, 0
	v_cmp_gt_u64_e64 s0, s[16:17], v[25:26]
	v_mov_b32_e32 v25, 0
	s_and_saveexec_b32 s2, s0
	s_cbranch_execz .LBB118_8
; %bb.7:                                ;   in Loop: Header=BB118_4 Depth=1
	v_add_co_u32 v25, s1, v19, s10
	v_add_co_ci_u32_e64 v26, null, s11, v20, s1
	global_load_ushort v25, v[25:26], off
	s_waitcnt vmcnt(0)
	v_cvt_f32_f16_e32 v25, v25
.LBB118_8:                              ;   in Loop: Header=BB118_4 Depth=1
	s_or_b32 exec_lo, exec_lo, s2
	v_add_co_u32 v26, s1, v17, s18
	v_add_co_ci_u32_e64 v27, null, s19, v18, s1
	v_cmp_gt_u64_e64 s1, s[16:17], v[26:27]
	s_and_saveexec_b32 s3, s1
	s_cbranch_execz .LBB118_10
; %bb.9:                                ;   in Loop: Header=BB118_4 Depth=1
	v_add_co_u32 v26, s2, v11, s10
	v_add_co_ci_u32_e64 v27, null, s11, v12, s2
	global_load_ushort v23, v[26:27], off
	s_waitcnt vmcnt(0)
	v_cvt_f32_f16_e32 v23, v23
.LBB118_10:                             ;   in Loop: Header=BB118_4 Depth=1
	s_or_b32 exec_lo, exec_lo, s3
	v_add_co_u32 v26, s2, v9, s18
	v_add_co_ci_u32_e64 v27, null, s19, v10, s2
	v_cmp_gt_u64_e64 s2, s[16:17], v[26:27]
	v_mov_b32_e32 v26, 0
	s_and_saveexec_b32 s23, s2
	s_cbranch_execnz .LBB118_15
; %bb.11:                               ;   in Loop: Header=BB118_4 Depth=1
	s_or_b32 exec_lo, exec_lo, s23
	s_and_saveexec_b32 s3, vcc_lo
	s_cbranch_execnz .LBB118_16
.LBB118_12:                             ;   in Loop: Header=BB118_4 Depth=1
	s_or_b32 exec_lo, exec_lo, s3
	s_and_saveexec_b32 s3, s0
	s_cbranch_execnz .LBB118_17
.LBB118_13:                             ;   in Loop: Header=BB118_4 Depth=1
	s_or_b32 exec_lo, exec_lo, s3
	s_and_saveexec_b32 s0, s1
	s_cbranch_execnz .LBB118_18
.LBB118_14:                             ;   in Loop: Header=BB118_4 Depth=1
	s_or_b32 exec_lo, exec_lo, s0
	s_and_saveexec_b32 s0, s2
	s_cbranch_execz .LBB118_3
	s_branch .LBB118_19
.LBB118_15:                             ;   in Loop: Header=BB118_4 Depth=1
	v_add_co_u32 v26, s3, v5, s10
	v_add_co_ci_u32_e64 v27, null, s11, v6, s3
	global_load_ushort v26, v[26:27], off
	s_waitcnt vmcnt(0)
	v_cvt_f32_f16_e32 v26, v26
	s_or_b32 exec_lo, exec_lo, s23
	s_and_saveexec_b32 s3, vcc_lo
	s_cbranch_execz .LBB118_12
.LBB118_16:                             ;   in Loop: Header=BB118_4 Depth=1
	v_subrev_f32_e32 v24, s20, v24
	v_add_co_u32 v27, vcc_lo, v3, s10
	v_add_co_ci_u32_e64 v28, null, s11, v4, vcc_lo
	v_cvt_f16_f32_e32 v24, v24
	global_store_short v[27:28], v24, off
	s_or_b32 exec_lo, exec_lo, s3
	s_and_saveexec_b32 s3, s0
	s_cbranch_execz .LBB118_13
.LBB118_17:                             ;   in Loop: Header=BB118_4 Depth=1
	v_subrev_f32_e32 v24, s20, v25
	v_cvt_f16_f32_e32 v27, v24
	v_add_co_u32 v24, vcc_lo, v21, s10
	v_add_co_ci_u32_e64 v25, null, s11, v22, vcc_lo
	global_store_short v[24:25], v27, off
	s_or_b32 exec_lo, exec_lo, s3
	s_and_saveexec_b32 s0, s1
	s_cbranch_execz .LBB118_14
.LBB118_18:                             ;   in Loop: Header=BB118_4 Depth=1
	v_subrev_f32_e32 v23, s20, v23
	v_cvt_f16_f32_e32 v25, v23
	v_add_co_u32 v23, vcc_lo, v14, s10
	v_add_co_ci_u32_e64 v24, null, s11, v15, vcc_lo
	global_store_short v[23:24], v25, off
	s_or_b32 exec_lo, exec_lo, s0
	s_and_saveexec_b32 s0, s2
	s_cbranch_execz .LBB118_3
.LBB118_19:                             ;   in Loop: Header=BB118_4 Depth=1
	v_subrev_f32_e32 v23, s20, v26
	v_cvt_f16_f32_e32 v25, v23
	v_add_co_u32 v23, vcc_lo, v7, s10
	v_add_co_ci_u32_e64 v24, null, s11, v8, vcc_lo
	global_store_short v[23:24], v25, off
	s_branch .LBB118_3
.LBB118_20:
	s_mov_b32 s0, 0
.LBB118_21:
	s_andn2_b32 vcc_lo, exec_lo, s0
	s_cbranch_vccnz .LBB118_25
; %bb.22:
	v_cmp_gt_i64_e64 s0, 0x10000, s[12:13]
	v_mov_b32_e32 v2, 0
	v_lshlrev_b32_e32 v1, 2, v0
	s_mov_b32 s1, 0
	s_and_b32 s0, s0, exec_lo
	s_cselect_b32 s3, s13, 0
	s_cselect_b32 s2, s12, 0x10000
	s_mov_b32 s0, exec_lo
	v_cmpx_gt_i64_e64 s[2:3], v[1:2]
	s_cbranch_execz .LBB118_25
; %bb.23:
	s_load_dword s0, s[4:5], 0xd54
	v_lshlrev_b32_e32 v3, 3, v0
	v_mov_b32_e32 v1, v2
	s_mov_b32 s5, s20
	v_add_co_u32 v2, s4, s10, v3
	v_add_co_ci_u32_e64 v3, null, s11, 0, s4
	s_waitcnt lgkmcnt(0)
	s_and_b32 s4, s0, 0xffff
	s_lshl_b32 s10, s4, 3
	s_inst_prefetch 0x1
	.p2align	6
.LBB118_24:                             ; =>This Inner Loop Header: Depth=1
	v_add_co_u32 v4, vcc_lo, s6, v2
	v_add_co_ci_u32_e64 v5, null, s7, v3, vcc_lo
	v_add_co_u32 v0, vcc_lo, v0, s4
	v_add_co_ci_u32_e64 v1, null, 0, v1, vcc_lo
	global_load_dwordx2 v[4:5], v[4:5], off
	v_add_co_u32 v6, vcc_lo, s8, v2
	v_lshlrev_b64 v[8:9], 2, v[0:1]
	v_add_co_ci_u32_e64 v7, null, s9, v3, vcc_lo
	v_add_co_u32 v2, vcc_lo, v2, s10
	v_add_co_ci_u32_e64 v3, null, 0, v3, vcc_lo
	v_cmp_le_i64_e64 s0, s[2:3], v[8:9]
	s_or_b32 s1, s0, s1
	s_waitcnt vmcnt(0)
	v_cvt_f32_f16_e32 v10, v4
	v_cvt_f32_f16_sdwa v11, v5 dst_sel:DWORD dst_unused:UNUSED_PAD src0_sel:WORD_1
	v_cvt_f32_f16_e32 v5, v5
	v_cvt_f32_f16_sdwa v4, v4 dst_sel:DWORD dst_unused:UNUSED_PAD src0_sel:WORD_1
	v_subrev_f32_e32 v10, s20, v10
	v_subrev_f32_e32 v11, s20, v11
	;; [unrolled: 1-line block ×4, first 2 shown]
	v_cvt_f16_f32_e32 v10, v10
	v_cvt_f16_f32_e32 v11, v11
	v_cvt_f16_f32_e32 v5, v5
	v_cvt_f16_f32_e32 v4, v4
	v_pack_b32_f16 v5, v5, v11
	v_pack_b32_f16 v4, v10, v4
	global_store_dwordx2 v[6:7], v[4:5], off
	s_andn2_b32 exec_lo, exec_lo, s1
	s_cbranch_execnz .LBB118_24
.LBB118_25:
	s_inst_prefetch 0x2
	s_endpgm
	.section	.rodata,"a",@progbits
	.p2align	6, 0x0
	.amdhsa_kernel _ZN2at6native12_GLOBAL__N_125multi_tensor_apply_kernelINS1_28TensorListScalarListMetadataIfLi2EEENS1_25BinaryOpScalarListFunctorIN3c104HalfELi2ELi1ELi1EEEJSt5minusIfEEEEvT_T0_DpT1_
		.amdhsa_group_segment_fixed_size 0
		.amdhsa_private_segment_fixed_size 0
		.amdhsa_kernarg_size 3656
		.amdhsa_user_sgpr_count 6
		.amdhsa_user_sgpr_private_segment_buffer 1
		.amdhsa_user_sgpr_dispatch_ptr 0
		.amdhsa_user_sgpr_queue_ptr 0
		.amdhsa_user_sgpr_kernarg_segment_ptr 1
		.amdhsa_user_sgpr_dispatch_id 0
		.amdhsa_user_sgpr_flat_scratch_init 0
		.amdhsa_user_sgpr_private_segment_size 0
		.amdhsa_wavefront_size32 1
		.amdhsa_uses_dynamic_stack 0
		.amdhsa_system_sgpr_private_segment_wavefront_offset 0
		.amdhsa_system_sgpr_workgroup_id_x 1
		.amdhsa_system_sgpr_workgroup_id_y 0
		.amdhsa_system_sgpr_workgroup_id_z 0
		.amdhsa_system_sgpr_workgroup_info 0
		.amdhsa_system_vgpr_workitem_id 0
		.amdhsa_next_free_vgpr 29
		.amdhsa_next_free_sgpr 24
		.amdhsa_reserve_vcc 1
		.amdhsa_reserve_flat_scratch 0
		.amdhsa_float_round_mode_32 0
		.amdhsa_float_round_mode_16_64 0
		.amdhsa_float_denorm_mode_32 3
		.amdhsa_float_denorm_mode_16_64 3
		.amdhsa_dx10_clamp 1
		.amdhsa_ieee_mode 1
		.amdhsa_fp16_overflow 0
		.amdhsa_workgroup_processor_mode 1
		.amdhsa_memory_ordered 1
		.amdhsa_forward_progress 1
		.amdhsa_shared_vgpr_count 0
		.amdhsa_exception_fp_ieee_invalid_op 0
		.amdhsa_exception_fp_denorm_src 0
		.amdhsa_exception_fp_ieee_div_zero 0
		.amdhsa_exception_fp_ieee_overflow 0
		.amdhsa_exception_fp_ieee_underflow 0
		.amdhsa_exception_fp_ieee_inexact 0
		.amdhsa_exception_int_div_zero 0
	.end_amdhsa_kernel
	.section	.text._ZN2at6native12_GLOBAL__N_125multi_tensor_apply_kernelINS1_28TensorListScalarListMetadataIfLi2EEENS1_25BinaryOpScalarListFunctorIN3c104HalfELi2ELi1ELi1EEEJSt5minusIfEEEEvT_T0_DpT1_,"axG",@progbits,_ZN2at6native12_GLOBAL__N_125multi_tensor_apply_kernelINS1_28TensorListScalarListMetadataIfLi2EEENS1_25BinaryOpScalarListFunctorIN3c104HalfELi2ELi1ELi1EEEJSt5minusIfEEEEvT_T0_DpT1_,comdat
.Lfunc_end118:
	.size	_ZN2at6native12_GLOBAL__N_125multi_tensor_apply_kernelINS1_28TensorListScalarListMetadataIfLi2EEENS1_25BinaryOpScalarListFunctorIN3c104HalfELi2ELi1ELi1EEEJSt5minusIfEEEEvT_T0_DpT1_, .Lfunc_end118-_ZN2at6native12_GLOBAL__N_125multi_tensor_apply_kernelINS1_28TensorListScalarListMetadataIfLi2EEENS1_25BinaryOpScalarListFunctorIN3c104HalfELi2ELi1ELi1EEEJSt5minusIfEEEEvT_T0_DpT1_
                                        ; -- End function
	.set _ZN2at6native12_GLOBAL__N_125multi_tensor_apply_kernelINS1_28TensorListScalarListMetadataIfLi2EEENS1_25BinaryOpScalarListFunctorIN3c104HalfELi2ELi1ELi1EEEJSt5minusIfEEEEvT_T0_DpT1_.num_vgpr, 29
	.set _ZN2at6native12_GLOBAL__N_125multi_tensor_apply_kernelINS1_28TensorListScalarListMetadataIfLi2EEENS1_25BinaryOpScalarListFunctorIN3c104HalfELi2ELi1ELi1EEEJSt5minusIfEEEEvT_T0_DpT1_.num_agpr, 0
	.set _ZN2at6native12_GLOBAL__N_125multi_tensor_apply_kernelINS1_28TensorListScalarListMetadataIfLi2EEENS1_25BinaryOpScalarListFunctorIN3c104HalfELi2ELi1ELi1EEEJSt5minusIfEEEEvT_T0_DpT1_.numbered_sgpr, 24
	.set _ZN2at6native12_GLOBAL__N_125multi_tensor_apply_kernelINS1_28TensorListScalarListMetadataIfLi2EEENS1_25BinaryOpScalarListFunctorIN3c104HalfELi2ELi1ELi1EEEJSt5minusIfEEEEvT_T0_DpT1_.num_named_barrier, 0
	.set _ZN2at6native12_GLOBAL__N_125multi_tensor_apply_kernelINS1_28TensorListScalarListMetadataIfLi2EEENS1_25BinaryOpScalarListFunctorIN3c104HalfELi2ELi1ELi1EEEJSt5minusIfEEEEvT_T0_DpT1_.private_seg_size, 0
	.set _ZN2at6native12_GLOBAL__N_125multi_tensor_apply_kernelINS1_28TensorListScalarListMetadataIfLi2EEENS1_25BinaryOpScalarListFunctorIN3c104HalfELi2ELi1ELi1EEEJSt5minusIfEEEEvT_T0_DpT1_.uses_vcc, 1
	.set _ZN2at6native12_GLOBAL__N_125multi_tensor_apply_kernelINS1_28TensorListScalarListMetadataIfLi2EEENS1_25BinaryOpScalarListFunctorIN3c104HalfELi2ELi1ELi1EEEJSt5minusIfEEEEvT_T0_DpT1_.uses_flat_scratch, 0
	.set _ZN2at6native12_GLOBAL__N_125multi_tensor_apply_kernelINS1_28TensorListScalarListMetadataIfLi2EEENS1_25BinaryOpScalarListFunctorIN3c104HalfELi2ELi1ELi1EEEJSt5minusIfEEEEvT_T0_DpT1_.has_dyn_sized_stack, 0
	.set _ZN2at6native12_GLOBAL__N_125multi_tensor_apply_kernelINS1_28TensorListScalarListMetadataIfLi2EEENS1_25BinaryOpScalarListFunctorIN3c104HalfELi2ELi1ELi1EEEJSt5minusIfEEEEvT_T0_DpT1_.has_recursion, 0
	.set _ZN2at6native12_GLOBAL__N_125multi_tensor_apply_kernelINS1_28TensorListScalarListMetadataIfLi2EEENS1_25BinaryOpScalarListFunctorIN3c104HalfELi2ELi1ELi1EEEJSt5minusIfEEEEvT_T0_DpT1_.has_indirect_call, 0
	.section	.AMDGPU.csdata,"",@progbits
; Kernel info:
; codeLenInByte = 1536
; TotalNumSgprs: 26
; NumVgprs: 29
; ScratchSize: 0
; MemoryBound: 0
; FloatMode: 240
; IeeeMode: 1
; LDSByteSize: 0 bytes/workgroup (compile time only)
; SGPRBlocks: 0
; VGPRBlocks: 3
; NumSGPRsForWavesPerEU: 26
; NumVGPRsForWavesPerEU: 29
; Occupancy: 16
; WaveLimiterHint : 0
; COMPUTE_PGM_RSRC2:SCRATCH_EN: 0
; COMPUTE_PGM_RSRC2:USER_SGPR: 6
; COMPUTE_PGM_RSRC2:TRAP_HANDLER: 0
; COMPUTE_PGM_RSRC2:TGID_X_EN: 1
; COMPUTE_PGM_RSRC2:TGID_Y_EN: 0
; COMPUTE_PGM_RSRC2:TGID_Z_EN: 0
; COMPUTE_PGM_RSRC2:TIDIG_COMP_CNT: 0
	.section	.text._ZN2at6native12_GLOBAL__N_125multi_tensor_apply_kernelINS1_28TensorListScalarListMetadataIfLi2EEENS1_25BinaryOpScalarListFunctorIN3c108BFloat16ELi2ELi1ELi1EEEJSt5minusIfEEEEvT_T0_DpT1_,"axG",@progbits,_ZN2at6native12_GLOBAL__N_125multi_tensor_apply_kernelINS1_28TensorListScalarListMetadataIfLi2EEENS1_25BinaryOpScalarListFunctorIN3c108BFloat16ELi2ELi1ELi1EEEJSt5minusIfEEEEvT_T0_DpT1_,comdat
	.globl	_ZN2at6native12_GLOBAL__N_125multi_tensor_apply_kernelINS1_28TensorListScalarListMetadataIfLi2EEENS1_25BinaryOpScalarListFunctorIN3c108BFloat16ELi2ELi1ELi1EEEJSt5minusIfEEEEvT_T0_DpT1_ ; -- Begin function _ZN2at6native12_GLOBAL__N_125multi_tensor_apply_kernelINS1_28TensorListScalarListMetadataIfLi2EEENS1_25BinaryOpScalarListFunctorIN3c108BFloat16ELi2ELi1ELi1EEEJSt5minusIfEEEEvT_T0_DpT1_
	.p2align	8
	.type	_ZN2at6native12_GLOBAL__N_125multi_tensor_apply_kernelINS1_28TensorListScalarListMetadataIfLi2EEENS1_25BinaryOpScalarListFunctorIN3c108BFloat16ELi2ELi1ELi1EEEJSt5minusIfEEEEvT_T0_DpT1_,@function
_ZN2at6native12_GLOBAL__N_125multi_tensor_apply_kernelINS1_28TensorListScalarListMetadataIfLi2EEENS1_25BinaryOpScalarListFunctorIN3c108BFloat16ELi2ELi1ELi1EEEJSt5minusIfEEEEvT_T0_DpT1_: ; @_ZN2at6native12_GLOBAL__N_125multi_tensor_apply_kernelINS1_28TensorListScalarListMetadataIfLi2EEENS1_25BinaryOpScalarListFunctorIN3c108BFloat16ELi2ELi1ELi1EEEJSt5minusIfEEEEvT_T0_DpT1_
; %bb.0:
	v_mov_b32_e32 v1, s6
	s_add_u32 s0, s4, s6
	s_mul_hi_u32 s1, s6, 3
	s_mul_i32 s6, s6, 3
	s_addc_u32 s2, s5, 0
	global_load_ubyte v1, v1, s[4:5] offset:1792
	s_add_u32 s0, s0, s6
	s_addc_u32 s1, s2, s1
	s_mov_b32 s15, 0
	s_load_dword s0, s[0:1], 0x840
	s_mov_b32 s17, s15
	s_waitcnt vmcnt(0)
	v_readfirstlane_b32 s1, v1
	v_lshlrev_b32_e32 v1, 2, v1
	s_lshl_b32 s10, s1, 3
	v_sub_co_u32 v1, s1, 0, v1
	v_sub_co_ci_u32_e64 v2, null, 0, 0, s1
	s_waitcnt lgkmcnt(0)
	s_ashr_i32 s1, s0, 31
	s_clause 0x2
	s_load_dwordx2 s[2:3], s[4:5], s10 offset:0x400
	s_load_dwordx2 s[6:7], s[4:5], s10 offset:0x0
	;; [unrolled: 1-line block ×3, first 2 shown]
	s_add_u32 s10, s4, s10
	s_addc_u32 s11, s5, 0
	v_add_co_u32 v1, vcc_lo, s10, v1
	v_add_co_ci_u32_e64 v2, null, s11, v2, vcc_lo
	v_readfirstlane_b32 s10, v1
	v_readfirstlane_b32 s11, v2
	s_load_dword s20, s[10:11], 0x600
	s_lshl_b64 s[10:11], s[0:1], 17
	s_lshl_b64 s[0:1], s[0:1], 16
	s_waitcnt lgkmcnt(0)
	s_add_u32 s12, s6, s10
	s_and_b32 s16, s8, 7
	s_and_b32 s14, s12, 7
	s_sub_u32 s12, s2, s0
	s_subb_u32 s13, s3, s1
	s_and_b32 s0, s2, 3
	s_mov_b32 s1, s15
	s_or_b64 s[0:1], s[16:17], s[0:1]
	s_or_b64 s[0:1], s[0:1], s[14:15]
	s_cmp_eq_u64 s[0:1], 0
	s_mov_b32 s0, -1
	s_cbranch_scc1 .LBB119_21
; %bb.1:
	v_cmp_lt_i64_e64 s0, s[12:13], 1
	s_and_b32 vcc_lo, exec_lo, s0
	s_cbranch_vccnz .LBB119_20
; %bb.2:
	s_load_dword s0, s[4:5], 0xd54
	v_cmp_gt_i64_e64 s1, 0x10000, s[12:13]
	v_lshlrev_b32_e32 v9, 1, v0
	v_cmp_gt_u64_e64 s2, 0x10000, s[12:13]
	v_mov_b32_e32 v10, 0
	v_mov_b32_e32 v23, 0x7fc0
	s_mov_b64 s[18:19], 0
	s_and_b32 s1, s1, exec_lo
	v_add_co_u32 v1, s3, s6, v9
	s_cselect_b32 s15, s13, 0
	s_cselect_b32 s14, s12, 0x10000
	v_add_co_ci_u32_e64 v2, null, s7, 0, s3
	v_add_co_u32 v3, s3, s8, v9
	v_add_co_ci_u32_e64 v4, null, s9, 0, s3
	s_waitcnt lgkmcnt(0)
	s_and_b32 s0, s0, 0xffff
	s_and_b32 s1, s2, exec_lo
	s_cselect_b32 s17, s13, 0
	s_cselect_b32 s16, s12, 0x10000
	s_mul_i32 s2, s0, 3
	s_lshl_b32 s21, s0, 2
	v_mad_u64_u32 v[7:8], null, s0, 6, v[9:10]
	v_add_co_u32 v14, s3, s21, v9
	v_add_co_u32 v9, s2, s2, v0
	v_add_co_ci_u32_e64 v10, null, 0, 0, s2
	v_add_co_u32 v13, s2, v0, s0
	s_lshl_b32 s1, s0, 1
	v_add_co_u32 v5, vcc_lo, s6, v7
	v_lshlrev_b32_e32 v21, 1, v13
	v_add_co_ci_u32_e64 v15, null, 0, 0, s3
	v_add_co_ci_u32_e64 v6, null, s7, v8, vcc_lo
	v_add_co_u32 v7, vcc_lo, s8, v7
	v_add_co_u32 v17, s1, s1, v0
	v_add_co_ci_u32_e64 v8, null, s9, v8, vcc_lo
	v_add_co_u32 v11, vcc_lo, s6, v14
	v_add_co_ci_u32_e64 v18, null, 0, 0, s1
	v_add_co_u32 v19, s1, s6, v21
	v_add_co_ci_u32_e64 v12, null, s7, v15, vcc_lo
	v_add_co_u32 v14, vcc_lo, s8, v14
	v_add_co_ci_u32_e64 v20, null, s7, 0, s1
	v_add_co_u32 v21, s1, s8, v21
	v_add_co_ci_u32_e64 v15, null, s9, v15, vcc_lo
	v_add_co_ci_u32_e64 v16, null, 0, 0, s2
	v_add_co_ci_u32_e64 v22, null, s9, 0, s1
	s_lshl_b32 s22, s0, 3
	s_branch .LBB119_4
.LBB119_3:                              ;   in Loop: Header=BB119_4 Depth=1
	s_or_b32 exec_lo, exec_lo, s0
	v_add_co_u32 v1, vcc_lo, v1, s22
	v_add_co_ci_u32_e64 v2, null, 0, v2, vcc_lo
	v_add_co_u32 v3, vcc_lo, v3, s22
	v_add_co_ci_u32_e64 v4, null, 0, v4, vcc_lo
	;; [unrolled: 2-line block ×4, first 2 shown]
	v_add_co_u32 v11, vcc_lo, v11, s22
	s_add_u32 s18, s18, s21
	v_add_co_ci_u32_e64 v12, null, 0, v12, vcc_lo
	v_add_co_u32 v14, vcc_lo, v14, s22
	s_addc_u32 s19, s19, 0
	v_add_co_ci_u32_e64 v15, null, 0, v15, vcc_lo
	v_add_co_u32 v19, vcc_lo, v19, s22
	v_cmp_lt_i64_e64 s0, s[18:19], s[14:15]
	v_add_co_ci_u32_e64 v20, null, 0, v20, vcc_lo
	v_add_co_u32 v21, vcc_lo, v21, s22
	v_add_co_ci_u32_e64 v22, null, 0, v22, vcc_lo
	s_and_b32 vcc_lo, exec_lo, s0
	s_cbranch_vccz .LBB119_20
.LBB119_4:                              ; =>This Inner Loop Header: Depth=1
	v_add_co_u32 v24, s0, v0, s18
	v_add_co_ci_u32_e64 v25, null, 0, s19, s0
	v_cmp_gt_u64_e32 vcc_lo, s[16:17], v[24:25]
	v_mov_b32_e32 v25, 0
	s_and_saveexec_b32 s1, vcc_lo
	s_cbranch_execz .LBB119_6
; %bb.5:                                ;   in Loop: Header=BB119_4 Depth=1
	v_add_co_u32 v24, s0, v1, s10
	v_add_co_ci_u32_e64 v25, null, s11, v2, s0
	global_load_ushort v24, v[24:25], off
	s_waitcnt vmcnt(0)
	v_lshlrev_b32_e32 v25, 16, v24
.LBB119_6:                              ;   in Loop: Header=BB119_4 Depth=1
	s_or_b32 exec_lo, exec_lo, s1
	v_add_co_u32 v26, s0, v13, s18
	v_add_co_ci_u32_e64 v27, null, s19, v16, s0
	v_mov_b32_e32 v24, 0
	v_cmp_gt_u64_e64 s0, s[16:17], v[26:27]
	v_mov_b32_e32 v26, 0
	s_and_saveexec_b32 s2, s0
	s_cbranch_execz .LBB119_8
; %bb.7:                                ;   in Loop: Header=BB119_4 Depth=1
	v_add_co_u32 v26, s1, v19, s10
	v_add_co_ci_u32_e64 v27, null, s11, v20, s1
	global_load_ushort v26, v[26:27], off
	s_waitcnt vmcnt(0)
	v_lshlrev_b32_e32 v26, 16, v26
.LBB119_8:                              ;   in Loop: Header=BB119_4 Depth=1
	s_or_b32 exec_lo, exec_lo, s2
	v_add_co_u32 v27, s1, v17, s18
	v_add_co_ci_u32_e64 v28, null, s19, v18, s1
	v_cmp_gt_u64_e64 s1, s[16:17], v[27:28]
	s_and_saveexec_b32 s3, s1
	s_cbranch_execz .LBB119_10
; %bb.9:                                ;   in Loop: Header=BB119_4 Depth=1
	v_add_co_u32 v27, s2, v11, s10
	v_add_co_ci_u32_e64 v28, null, s11, v12, s2
	global_load_ushort v24, v[27:28], off
	s_waitcnt vmcnt(0)
	v_lshlrev_b32_e32 v24, 16, v24
.LBB119_10:                             ;   in Loop: Header=BB119_4 Depth=1
	s_or_b32 exec_lo, exec_lo, s3
	v_add_co_u32 v27, s2, v9, s18
	v_add_co_ci_u32_e64 v28, null, s19, v10, s2
	v_cmp_gt_u64_e64 s2, s[16:17], v[27:28]
	v_mov_b32_e32 v27, 0
	s_and_saveexec_b32 s23, s2
	s_cbranch_execnz .LBB119_15
; %bb.11:                               ;   in Loop: Header=BB119_4 Depth=1
	s_or_b32 exec_lo, exec_lo, s23
	s_and_saveexec_b32 s23, vcc_lo
	s_cbranch_execnz .LBB119_16
.LBB119_12:                             ;   in Loop: Header=BB119_4 Depth=1
	s_or_b32 exec_lo, exec_lo, s23
	s_and_saveexec_b32 s3, s0
	s_cbranch_execnz .LBB119_17
.LBB119_13:                             ;   in Loop: Header=BB119_4 Depth=1
	s_or_b32 exec_lo, exec_lo, s3
	s_and_saveexec_b32 s0, s1
	s_cbranch_execnz .LBB119_18
.LBB119_14:                             ;   in Loop: Header=BB119_4 Depth=1
	s_or_b32 exec_lo, exec_lo, s0
	s_and_saveexec_b32 s0, s2
	s_cbranch_execz .LBB119_3
	s_branch .LBB119_19
.LBB119_15:                             ;   in Loop: Header=BB119_4 Depth=1
	v_add_co_u32 v27, s3, v5, s10
	v_add_co_ci_u32_e64 v28, null, s11, v6, s3
	global_load_ushort v27, v[27:28], off
	s_waitcnt vmcnt(0)
	v_lshlrev_b32_e32 v27, 16, v27
	s_or_b32 exec_lo, exec_lo, s23
	s_and_saveexec_b32 s23, vcc_lo
	s_cbranch_execz .LBB119_12
.LBB119_16:                             ;   in Loop: Header=BB119_4 Depth=1
	v_subrev_f32_e32 v25, s20, v25
	v_bfe_u32 v28, v25, 16, 1
	v_cmp_o_f32_e32 vcc_lo, v25, v25
	v_add3_u32 v25, v25, v28, 0x7fff
	v_add_co_u32 v28, s3, v3, s10
	v_add_co_ci_u32_e64 v29, null, s11, v4, s3
	v_cndmask_b32_sdwa v25, v23, v25, vcc_lo dst_sel:DWORD dst_unused:UNUSED_PAD src0_sel:DWORD src1_sel:WORD_1
	global_store_short v[28:29], v25, off
	s_or_b32 exec_lo, exec_lo, s23
	s_and_saveexec_b32 s3, s0
	s_cbranch_execz .LBB119_13
.LBB119_17:                             ;   in Loop: Header=BB119_4 Depth=1
	v_subrev_f32_e32 v25, s20, v26
	v_bfe_u32 v26, v25, 16, 1
	v_cmp_o_f32_e32 vcc_lo, v25, v25
	v_add3_u32 v25, v25, v26, 0x7fff
	v_cndmask_b32_sdwa v28, v23, v25, vcc_lo dst_sel:DWORD dst_unused:UNUSED_PAD src0_sel:DWORD src1_sel:WORD_1
	v_add_co_u32 v25, vcc_lo, v21, s10
	v_add_co_ci_u32_e64 v26, null, s11, v22, vcc_lo
	global_store_short v[25:26], v28, off
	s_or_b32 exec_lo, exec_lo, s3
	s_and_saveexec_b32 s0, s1
	s_cbranch_execz .LBB119_14
.LBB119_18:                             ;   in Loop: Header=BB119_4 Depth=1
	v_subrev_f32_e32 v24, s20, v24
	v_bfe_u32 v25, v24, 16, 1
	v_cmp_o_f32_e32 vcc_lo, v24, v24
	v_add3_u32 v24, v24, v25, 0x7fff
	v_cndmask_b32_sdwa v26, v23, v24, vcc_lo dst_sel:DWORD dst_unused:UNUSED_PAD src0_sel:DWORD src1_sel:WORD_1
	v_add_co_u32 v24, vcc_lo, v14, s10
	v_add_co_ci_u32_e64 v25, null, s11, v15, vcc_lo
	global_store_short v[24:25], v26, off
	s_or_b32 exec_lo, exec_lo, s0
	s_and_saveexec_b32 s0, s2
	s_cbranch_execz .LBB119_3
.LBB119_19:                             ;   in Loop: Header=BB119_4 Depth=1
	v_subrev_f32_e32 v24, s20, v27
	v_bfe_u32 v25, v24, 16, 1
	v_cmp_o_f32_e32 vcc_lo, v24, v24
	v_add3_u32 v24, v24, v25, 0x7fff
	v_cndmask_b32_sdwa v26, v23, v24, vcc_lo dst_sel:DWORD dst_unused:UNUSED_PAD src0_sel:DWORD src1_sel:WORD_1
	v_add_co_u32 v24, vcc_lo, v7, s10
	v_add_co_ci_u32_e64 v25, null, s11, v8, vcc_lo
	global_store_short v[24:25], v26, off
	s_branch .LBB119_3
.LBB119_20:
	s_mov_b32 s0, 0
.LBB119_21:
	s_andn2_b32 vcc_lo, exec_lo, s0
	s_cbranch_vccnz .LBB119_25
; %bb.22:
	v_cmp_gt_i64_e64 s0, 0x10000, s[12:13]
	v_mov_b32_e32 v2, 0
	v_lshlrev_b32_e32 v1, 2, v0
	s_and_b32 s0, s0, exec_lo
	s_cselect_b32 s3, s13, 0
	s_cselect_b32 s2, s12, 0x10000
	s_mov_b32 s12, 0
	s_mov_b32 s0, exec_lo
	v_cmpx_gt_i64_e64 s[2:3], v[1:2]
	s_cbranch_execz .LBB119_25
; %bb.23:
	s_load_dword s0, s[4:5], 0xd54
	v_lshlrev_b32_e32 v3, 3, v0
	v_mov_b32_e32 v1, v2
	v_add_co_u32 v2, s1, s10, v3
	v_add_co_ci_u32_e64 v3, null, s11, 0, s1
	s_waitcnt lgkmcnt(0)
	s_and_b32 s4, s0, 0xffff
	s_lshl_b32 s5, s4, 3
.LBB119_24:                             ; =>This Inner Loop Header: Depth=1
	v_add_co_u32 v4, vcc_lo, s6, v2
	v_add_co_ci_u32_e64 v5, null, s7, v3, vcc_lo
	v_add_co_u32 v0, vcc_lo, v0, s4
	v_add_co_ci_u32_e64 v1, null, 0, v1, vcc_lo
	global_load_dwordx2 v[4:5], v[4:5], off
	v_add_co_u32 v6, vcc_lo, s8, v2
	v_add_co_ci_u32_e64 v7, null, s9, v3, vcc_lo
	v_lshlrev_b64 v[8:9], 2, v[0:1]
	s_waitcnt vmcnt(0)
	v_lshlrev_b32_e32 v10, 16, v4
	v_and_b32_e32 v11, 0xffff0000, v4
	v_alignbit_b32 v4, v5, v4, 16
	v_and_b32_e32 v5, 0xffff0000, v5
	v_subrev_f32_e32 v10, s20, v10
	v_subrev_f32_e32 v11, s20, v11
	v_and_b32_e32 v4, 0xffff0000, v4
	v_subrev_f32_e32 v5, s20, v5
	v_bfe_u32 v12, v10, 16, 1
	v_bfe_u32 v13, v11, 16, 1
	v_subrev_f32_e32 v4, s20, v4
	v_bfe_u32 v14, v5, 16, 1
	v_cmp_o_f32_e32 vcc_lo, v5, v5
	v_add3_u32 v12, v10, v12, 0x7fff
	v_add3_u32 v13, v11, v13, 0x7fff
	v_bfe_u32 v15, v4, 16, 1
	v_add3_u32 v14, v5, v14, 0x7fff
	v_cmp_o_f32_e64 s0, v11, v11
	v_lshrrev_b32_e32 v12, 16, v12
	v_and_b32_e32 v13, 0xffff0000, v13
	v_add3_u32 v15, v4, v15, 0x7fff
	v_and_b32_e32 v14, 0xffff0000, v14
	v_cmp_o_f32_e64 s1, v10, v10
	v_cndmask_b32_e64 v10, 0x7fc00000, v13, s0
	v_lshrrev_b32_e32 v5, 16, v15
	v_cmp_le_i64_e64 s0, s[2:3], v[8:9]
	v_cndmask_b32_e64 v11, 0x7fc0, v12, s1
	v_cndmask_b32_e32 v12, 0x7fc00000, v14, vcc_lo
	v_cmp_o_f32_e32 vcc_lo, v4, v4
	v_or_b32_e32 v10, v11, v10
	s_or_b32 s12, s0, s12
	v_cndmask_b32_e32 v4, 0x7fc0, v5, vcc_lo
	v_add_co_u32 v2, vcc_lo, v2, s5
	v_add_co_ci_u32_e64 v3, null, 0, v3, vcc_lo
	v_or3_b32 v5, 0, v4, v12
	v_or3_b32 v4, v10, 0, 0
	global_store_dwordx2 v[6:7], v[4:5], off
	s_andn2_b32 exec_lo, exec_lo, s12
	s_cbranch_execnz .LBB119_24
.LBB119_25:
	s_endpgm
	.section	.rodata,"a",@progbits
	.p2align	6, 0x0
	.amdhsa_kernel _ZN2at6native12_GLOBAL__N_125multi_tensor_apply_kernelINS1_28TensorListScalarListMetadataIfLi2EEENS1_25BinaryOpScalarListFunctorIN3c108BFloat16ELi2ELi1ELi1EEEJSt5minusIfEEEEvT_T0_DpT1_
		.amdhsa_group_segment_fixed_size 0
		.amdhsa_private_segment_fixed_size 0
		.amdhsa_kernarg_size 3656
		.amdhsa_user_sgpr_count 6
		.amdhsa_user_sgpr_private_segment_buffer 1
		.amdhsa_user_sgpr_dispatch_ptr 0
		.amdhsa_user_sgpr_queue_ptr 0
		.amdhsa_user_sgpr_kernarg_segment_ptr 1
		.amdhsa_user_sgpr_dispatch_id 0
		.amdhsa_user_sgpr_flat_scratch_init 0
		.amdhsa_user_sgpr_private_segment_size 0
		.amdhsa_wavefront_size32 1
		.amdhsa_uses_dynamic_stack 0
		.amdhsa_system_sgpr_private_segment_wavefront_offset 0
		.amdhsa_system_sgpr_workgroup_id_x 1
		.amdhsa_system_sgpr_workgroup_id_y 0
		.amdhsa_system_sgpr_workgroup_id_z 0
		.amdhsa_system_sgpr_workgroup_info 0
		.amdhsa_system_vgpr_workitem_id 0
		.amdhsa_next_free_vgpr 30
		.amdhsa_next_free_sgpr 24
		.amdhsa_reserve_vcc 1
		.amdhsa_reserve_flat_scratch 0
		.amdhsa_float_round_mode_32 0
		.amdhsa_float_round_mode_16_64 0
		.amdhsa_float_denorm_mode_32 3
		.amdhsa_float_denorm_mode_16_64 3
		.amdhsa_dx10_clamp 1
		.amdhsa_ieee_mode 1
		.amdhsa_fp16_overflow 0
		.amdhsa_workgroup_processor_mode 1
		.amdhsa_memory_ordered 1
		.amdhsa_forward_progress 1
		.amdhsa_shared_vgpr_count 0
		.amdhsa_exception_fp_ieee_invalid_op 0
		.amdhsa_exception_fp_denorm_src 0
		.amdhsa_exception_fp_ieee_div_zero 0
		.amdhsa_exception_fp_ieee_overflow 0
		.amdhsa_exception_fp_ieee_underflow 0
		.amdhsa_exception_fp_ieee_inexact 0
		.amdhsa_exception_int_div_zero 0
	.end_amdhsa_kernel
	.section	.text._ZN2at6native12_GLOBAL__N_125multi_tensor_apply_kernelINS1_28TensorListScalarListMetadataIfLi2EEENS1_25BinaryOpScalarListFunctorIN3c108BFloat16ELi2ELi1ELi1EEEJSt5minusIfEEEEvT_T0_DpT1_,"axG",@progbits,_ZN2at6native12_GLOBAL__N_125multi_tensor_apply_kernelINS1_28TensorListScalarListMetadataIfLi2EEENS1_25BinaryOpScalarListFunctorIN3c108BFloat16ELi2ELi1ELi1EEEJSt5minusIfEEEEvT_T0_DpT1_,comdat
.Lfunc_end119:
	.size	_ZN2at6native12_GLOBAL__N_125multi_tensor_apply_kernelINS1_28TensorListScalarListMetadataIfLi2EEENS1_25BinaryOpScalarListFunctorIN3c108BFloat16ELi2ELi1ELi1EEEJSt5minusIfEEEEvT_T0_DpT1_, .Lfunc_end119-_ZN2at6native12_GLOBAL__N_125multi_tensor_apply_kernelINS1_28TensorListScalarListMetadataIfLi2EEENS1_25BinaryOpScalarListFunctorIN3c108BFloat16ELi2ELi1ELi1EEEJSt5minusIfEEEEvT_T0_DpT1_
                                        ; -- End function
	.set _ZN2at6native12_GLOBAL__N_125multi_tensor_apply_kernelINS1_28TensorListScalarListMetadataIfLi2EEENS1_25BinaryOpScalarListFunctorIN3c108BFloat16ELi2ELi1ELi1EEEJSt5minusIfEEEEvT_T0_DpT1_.num_vgpr, 30
	.set _ZN2at6native12_GLOBAL__N_125multi_tensor_apply_kernelINS1_28TensorListScalarListMetadataIfLi2EEENS1_25BinaryOpScalarListFunctorIN3c108BFloat16ELi2ELi1ELi1EEEJSt5minusIfEEEEvT_T0_DpT1_.num_agpr, 0
	.set _ZN2at6native12_GLOBAL__N_125multi_tensor_apply_kernelINS1_28TensorListScalarListMetadataIfLi2EEENS1_25BinaryOpScalarListFunctorIN3c108BFloat16ELi2ELi1ELi1EEEJSt5minusIfEEEEvT_T0_DpT1_.numbered_sgpr, 24
	.set _ZN2at6native12_GLOBAL__N_125multi_tensor_apply_kernelINS1_28TensorListScalarListMetadataIfLi2EEENS1_25BinaryOpScalarListFunctorIN3c108BFloat16ELi2ELi1ELi1EEEJSt5minusIfEEEEvT_T0_DpT1_.num_named_barrier, 0
	.set _ZN2at6native12_GLOBAL__N_125multi_tensor_apply_kernelINS1_28TensorListScalarListMetadataIfLi2EEENS1_25BinaryOpScalarListFunctorIN3c108BFloat16ELi2ELi1ELi1EEEJSt5minusIfEEEEvT_T0_DpT1_.private_seg_size, 0
	.set _ZN2at6native12_GLOBAL__N_125multi_tensor_apply_kernelINS1_28TensorListScalarListMetadataIfLi2EEENS1_25BinaryOpScalarListFunctorIN3c108BFloat16ELi2ELi1ELi1EEEJSt5minusIfEEEEvT_T0_DpT1_.uses_vcc, 1
	.set _ZN2at6native12_GLOBAL__N_125multi_tensor_apply_kernelINS1_28TensorListScalarListMetadataIfLi2EEENS1_25BinaryOpScalarListFunctorIN3c108BFloat16ELi2ELi1ELi1EEEJSt5minusIfEEEEvT_T0_DpT1_.uses_flat_scratch, 0
	.set _ZN2at6native12_GLOBAL__N_125multi_tensor_apply_kernelINS1_28TensorListScalarListMetadataIfLi2EEENS1_25BinaryOpScalarListFunctorIN3c108BFloat16ELi2ELi1ELi1EEEJSt5minusIfEEEEvT_T0_DpT1_.has_dyn_sized_stack, 0
	.set _ZN2at6native12_GLOBAL__N_125multi_tensor_apply_kernelINS1_28TensorListScalarListMetadataIfLi2EEENS1_25BinaryOpScalarListFunctorIN3c108BFloat16ELi2ELi1ELi1EEEJSt5minusIfEEEEvT_T0_DpT1_.has_recursion, 0
	.set _ZN2at6native12_GLOBAL__N_125multi_tensor_apply_kernelINS1_28TensorListScalarListMetadataIfLi2EEENS1_25BinaryOpScalarListFunctorIN3c108BFloat16ELi2ELi1ELi1EEEJSt5minusIfEEEEvT_T0_DpT1_.has_indirect_call, 0
	.section	.AMDGPU.csdata,"",@progbits
; Kernel info:
; codeLenInByte = 1808
; TotalNumSgprs: 26
; NumVgprs: 30
; ScratchSize: 0
; MemoryBound: 0
; FloatMode: 240
; IeeeMode: 1
; LDSByteSize: 0 bytes/workgroup (compile time only)
; SGPRBlocks: 0
; VGPRBlocks: 3
; NumSGPRsForWavesPerEU: 26
; NumVGPRsForWavesPerEU: 30
; Occupancy: 16
; WaveLimiterHint : 0
; COMPUTE_PGM_RSRC2:SCRATCH_EN: 0
; COMPUTE_PGM_RSRC2:USER_SGPR: 6
; COMPUTE_PGM_RSRC2:TRAP_HANDLER: 0
; COMPUTE_PGM_RSRC2:TGID_X_EN: 1
; COMPUTE_PGM_RSRC2:TGID_Y_EN: 0
; COMPUTE_PGM_RSRC2:TGID_Z_EN: 0
; COMPUTE_PGM_RSRC2:TIDIG_COMP_CNT: 0
	.section	.text._ZN2at6native12_GLOBAL__N_125multi_tensor_apply_kernelINS1_28TensorListScalarListMetadataIhLi1EEENS1_25BinaryOpScalarListFunctorIhLi1ELi1ELi0EEEJNS0_7minimumIhEEEEEvT_T0_DpT1_,"axG",@progbits,_ZN2at6native12_GLOBAL__N_125multi_tensor_apply_kernelINS1_28TensorListScalarListMetadataIhLi1EEENS1_25BinaryOpScalarListFunctorIhLi1ELi1ELi0EEEJNS0_7minimumIhEEEEEvT_T0_DpT1_,comdat
	.globl	_ZN2at6native12_GLOBAL__N_125multi_tensor_apply_kernelINS1_28TensorListScalarListMetadataIhLi1EEENS1_25BinaryOpScalarListFunctorIhLi1ELi1ELi0EEEJNS0_7minimumIhEEEEEvT_T0_DpT1_ ; -- Begin function _ZN2at6native12_GLOBAL__N_125multi_tensor_apply_kernelINS1_28TensorListScalarListMetadataIhLi1EEENS1_25BinaryOpScalarListFunctorIhLi1ELi1ELi0EEEJNS0_7minimumIhEEEEEvT_T0_DpT1_
	.p2align	8
	.type	_ZN2at6native12_GLOBAL__N_125multi_tensor_apply_kernelINS1_28TensorListScalarListMetadataIhLi1EEENS1_25BinaryOpScalarListFunctorIhLi1ELi1ELi0EEEJNS0_7minimumIhEEEEEvT_T0_DpT1_,@function
_ZN2at6native12_GLOBAL__N_125multi_tensor_apply_kernelINS1_28TensorListScalarListMetadataIhLi1EEENS1_25BinaryOpScalarListFunctorIhLi1ELi1ELi0EEEJNS0_7minimumIhEEEEEvT_T0_DpT1_: ; @_ZN2at6native12_GLOBAL__N_125multi_tensor_apply_kernelINS1_28TensorListScalarListMetadataIhLi1EEENS1_25BinaryOpScalarListFunctorIhLi1ELi1ELi0EEEJNS0_7minimumIhEEEEEvT_T0_DpT1_
; %bb.0:
	v_mov_b32_e32 v1, s6
	s_mul_i32 s1, s6, 3
	s_mul_hi_u32 s2, s6, 3
	global_load_ubyte v3, v1, s[4:5] offset:1632
	s_waitcnt vmcnt(0)
	v_add_co_u32 v1, s0, s4, v3
	v_add_co_ci_u32_e64 v2, null, s5, 0, s0
	s_add_u32 s0, s4, s6
	s_addc_u32 s3, s5, 0
	s_add_u32 s0, s0, s1
	global_load_ubyte v1, v[1:2], off offset:1536
	v_readfirstlane_b32 s6, v3
	s_addc_u32 s1, s3, s2
	s_load_dword s0, s[0:1], 0x7a0
	s_lshl_b32 s1, s6, 3
	s_clause 0x1
	s_load_dwordx2 s[2:3], s[4:5], s1 offset:0x300
	s_load_dwordx2 s[6:7], s[4:5], s1 offset:0x0
	s_waitcnt lgkmcnt(0)
	s_ashr_i32 s1, s0, 31
	s_lshl_b64 s[8:9], s[0:1], 16
	s_sub_u32 s10, s2, s8
	s_subb_u32 s11, s3, s9
	s_or_b32 s0, s2, s6
	s_and_b32 s0, s0, 3
	s_cmp_eq_u32 s0, 0
	s_waitcnt vmcnt(0)
	v_readfirstlane_b32 s18, v1
	s_cbranch_scc1 .LBB120_21
; %bb.1:
	v_cmp_lt_i64_e64 s0, s[10:11], 1
	s_and_b32 vcc_lo, exec_lo, s0
	s_cbranch_vccnz .LBB120_20
; %bb.2:
	s_load_dword s0, s[4:5], 0xcb4
	v_cmp_gt_i64_e64 s1, 0x10000, s[10:11]
	v_add_co_u32 v11, s2, s8, v0
	v_add_co_ci_u32_e64 v12, null, s9, 0, s2
	v_cmp_gt_u64_e64 s2, 0x10000, s[10:11]
	s_and_b32 s1, s1, exec_lo
	s_cselect_b32 s13, s11, 0
	s_cselect_b32 s12, s10, 0x10000
	v_add_co_u32 v1, vcc_lo, s6, v11
	v_add_co_ci_u32_e64 v2, null, s7, v12, vcc_lo
	s_waitcnt lgkmcnt(0)
	s_and_b32 s0, s0, 0xffff
	s_and_b32 s1, s2, exec_lo
	s_mul_i32 s2, s0, 3
	s_cselect_b32 s15, s11, 0
	s_cselect_b32 s14, s10, 0x10000
	s_lshl_b32 s1, s0, 1
	s_lshl_b32 s19, s0, 2
	s_add_u32 s3, s8, s2
	s_addc_u32 s16, s9, 0
	s_add_u32 s3, s6, s3
	v_add_co_u32 v5, s2, s2, v0
	s_addc_u32 s16, s7, s16
	v_add_co_u32 v3, s3, s3, v0
	v_add_co_ci_u32_e64 v6, null, 0, 0, s2
	s_add_u32 s2, s8, s1
	v_add_co_ci_u32_e64 v4, null, s16, 0, s3
	s_addc_u32 s3, s9, 0
	s_add_u32 s2, s6, s2
	v_add_co_u32 v9, s1, s1, v0
	s_addc_u32 s3, s7, s3
	v_add_co_u32 v7, s2, s2, v0
	v_add_co_ci_u32_e64 v10, null, 0, 0, s1
	s_add_u32 s1, s6, s0
	v_add_co_ci_u32_e64 v8, null, s3, 0, s2
	s_addc_u32 s2, s7, 0
	v_add_co_u32 v11, vcc_lo, s1, v11
	v_add_co_u32 v13, s0, v0, s0
	v_add_co_ci_u32_e64 v12, null, s2, v12, vcc_lo
	v_add_co_ci_u32_e64 v14, null, 0, 0, s0
	s_mov_b64 s[16:17], 0
	s_and_b32 s20, s18, 0xff
	s_branch .LBB120_4
.LBB120_3:                              ;   in Loop: Header=BB120_4 Depth=1
	s_or_b32 exec_lo, exec_lo, s0
	s_add_u32 s16, s16, s19
	s_addc_u32 s17, s17, 0
	v_cmp_lt_i64_e64 s0, s[16:17], s[12:13]
	s_and_b32 vcc_lo, exec_lo, s0
	s_cbranch_vccz .LBB120_20
.LBB120_4:                              ; =>This Inner Loop Header: Depth=1
	v_add_co_u32 v15, s0, v0, s16
	v_add_co_ci_u32_e64 v16, null, 0, s17, s0
	v_cmp_gt_u64_e32 vcc_lo, s[14:15], v[15:16]
	v_mov_b32_e32 v16, 0
	s_and_saveexec_b32 s1, vcc_lo
	s_cbranch_execz .LBB120_6
; %bb.5:                                ;   in Loop: Header=BB120_4 Depth=1
	v_add_co_u32 v15, s0, v1, s16
	v_add_co_ci_u32_e64 v16, null, s17, v2, s0
	global_load_ubyte v15, v[15:16], off
	s_waitcnt vmcnt(0)
	v_min_u16 v16, v15, s20
.LBB120_6:                              ;   in Loop: Header=BB120_4 Depth=1
	s_or_b32 exec_lo, exec_lo, s1
	v_add_co_u32 v17, s0, v13, s16
	v_add_co_ci_u32_e64 v18, null, s17, v14, s0
	v_mov_b32_e32 v15, 0
	v_cmp_gt_u64_e64 s0, s[14:15], v[17:18]
	v_mov_b32_e32 v17, 0
	s_and_saveexec_b32 s2, s0
	s_cbranch_execz .LBB120_8
; %bb.7:                                ;   in Loop: Header=BB120_4 Depth=1
	v_add_co_u32 v17, s1, v11, s16
	v_add_co_ci_u32_e64 v18, null, s17, v12, s1
	global_load_ubyte v17, v[17:18], off
	s_waitcnt vmcnt(0)
	v_min_u16 v17, v17, s20
.LBB120_8:                              ;   in Loop: Header=BB120_4 Depth=1
	s_or_b32 exec_lo, exec_lo, s2
	v_add_co_u32 v18, s1, v9, s16
	v_add_co_ci_u32_e64 v19, null, s17, v10, s1
	v_cmp_gt_u64_e64 s1, s[14:15], v[18:19]
	s_and_saveexec_b32 s3, s1
	s_cbranch_execz .LBB120_10
; %bb.9:                                ;   in Loop: Header=BB120_4 Depth=1
	v_add_co_u32 v18, s2, v7, s16
	v_add_co_ci_u32_e64 v19, null, s17, v8, s2
	global_load_ubyte v15, v[18:19], off
	s_waitcnt vmcnt(0)
	v_min_u16 v15, v15, s20
.LBB120_10:                             ;   in Loop: Header=BB120_4 Depth=1
	s_or_b32 exec_lo, exec_lo, s3
	v_add_co_u32 v18, s2, v5, s16
	v_add_co_ci_u32_e64 v19, null, s17, v6, s2
	v_cmp_gt_u64_e64 s2, s[14:15], v[18:19]
	v_mov_b32_e32 v18, 0
	s_and_saveexec_b32 s21, s2
	s_cbranch_execnz .LBB120_15
; %bb.11:                               ;   in Loop: Header=BB120_4 Depth=1
	s_or_b32 exec_lo, exec_lo, s21
	s_and_saveexec_b32 s3, vcc_lo
	s_cbranch_execnz .LBB120_16
.LBB120_12:                             ;   in Loop: Header=BB120_4 Depth=1
	s_or_b32 exec_lo, exec_lo, s3
	s_and_saveexec_b32 s3, s0
	s_cbranch_execnz .LBB120_17
.LBB120_13:                             ;   in Loop: Header=BB120_4 Depth=1
	s_or_b32 exec_lo, exec_lo, s3
	s_and_saveexec_b32 s0, s1
	s_cbranch_execnz .LBB120_18
.LBB120_14:                             ;   in Loop: Header=BB120_4 Depth=1
	s_or_b32 exec_lo, exec_lo, s0
	s_and_saveexec_b32 s0, s2
	s_cbranch_execz .LBB120_3
	s_branch .LBB120_19
.LBB120_15:                             ;   in Loop: Header=BB120_4 Depth=1
	v_add_co_u32 v18, s3, v3, s16
	v_add_co_ci_u32_e64 v19, null, s17, v4, s3
	global_load_ubyte v18, v[18:19], off
	s_waitcnt vmcnt(0)
	v_min_u16 v18, v18, s20
	s_or_b32 exec_lo, exec_lo, s21
	s_and_saveexec_b32 s3, vcc_lo
	s_cbranch_execz .LBB120_12
.LBB120_16:                             ;   in Loop: Header=BB120_4 Depth=1
	v_add_co_u32 v19, vcc_lo, v1, s16
	v_add_co_ci_u32_e64 v20, null, s17, v2, vcc_lo
	global_store_byte v[19:20], v16, off
	s_or_b32 exec_lo, exec_lo, s3
	s_and_saveexec_b32 s3, s0
	s_cbranch_execz .LBB120_13
.LBB120_17:                             ;   in Loop: Header=BB120_4 Depth=1
	v_add_co_u32 v19, vcc_lo, v11, s16
	v_add_co_ci_u32_e64 v20, null, s17, v12, vcc_lo
	global_store_byte v[19:20], v17, off
	s_or_b32 exec_lo, exec_lo, s3
	s_and_saveexec_b32 s0, s1
	s_cbranch_execz .LBB120_14
.LBB120_18:                             ;   in Loop: Header=BB120_4 Depth=1
	v_add_co_u32 v16, vcc_lo, v7, s16
	v_add_co_ci_u32_e64 v17, null, s17, v8, vcc_lo
	global_store_byte v[16:17], v15, off
	s_or_b32 exec_lo, exec_lo, s0
	s_and_saveexec_b32 s0, s2
	s_cbranch_execz .LBB120_3
.LBB120_19:                             ;   in Loop: Header=BB120_4 Depth=1
	v_add_co_u32 v15, vcc_lo, v3, s16
	v_add_co_ci_u32_e64 v16, null, s17, v4, vcc_lo
	global_store_byte v[15:16], v18, off
	s_branch .LBB120_3
.LBB120_20:
	s_cbranch_execz .LBB120_22
	s_branch .LBB120_25
.LBB120_21:
.LBB120_22:
	v_cmp_gt_i64_e64 s0, 0x10000, s[10:11]
	v_mov_b32_e32 v3, 0
	v_lshlrev_b32_e32 v2, 2, v0
	s_mov_b32 s1, 0
	s_and_b32 s0, s0, exec_lo
	s_cselect_b32 s3, s11, 0
	s_cselect_b32 s2, s10, 0x10000
	s_mov_b32 s0, exec_lo
	v_cmpx_gt_i64_e64 s[2:3], v[2:3]
	s_cbranch_execz .LBB120_25
; %bb.23:
	s_load_dword s0, s[4:5], 0xcb4
	v_mov_b32_e32 v1, v3
	v_mov_b32_e32 v4, 0xff
	s_waitcnt lgkmcnt(0)
	s_and_b32 s4, s0, 0xffff
	s_add_u32 s0, s6, s8
	s_addc_u32 s5, s7, s9
	v_add_co_u32 v2, s0, s0, v2
	v_add_co_ci_u32_e64 v3, null, s5, 0, s0
	s_lshl_b32 s5, s4, 2
	s_and_b32 s6, s18, 0xff
	s_inst_prefetch 0x1
	.p2align	6
.LBB120_24:                             ; =>This Inner Loop Header: Depth=1
	global_load_dword v5, v[2:3], off
	v_add_co_u32 v0, vcc_lo, v0, s4
	v_add_co_ci_u32_e64 v1, null, 0, v1, vcc_lo
	s_waitcnt vmcnt(0)
	v_lshrrev_b32_e32 v6, 8, v5
	v_lshrrev_b32_e32 v7, 24, v5
	v_and_b32_e32 v8, 0xff, v5
	v_and_b32_sdwa v5, v5, v4 dst_sel:DWORD dst_unused:UNUSED_PAD src0_sel:WORD_1 src1_sel:DWORD
	v_and_b32_e32 v6, 0xff, v6
	v_min_u16 v7, v7, s6
	v_min_u16 v8, v8, s6
	;; [unrolled: 1-line block ×4, first 2 shown]
	v_lshlrev_b16 v7, 8, v7
	v_lshlrev_b16 v6, 8, v6
	v_or_b32_sdwa v7, v5, v7 dst_sel:WORD_1 dst_unused:UNUSED_PAD src0_sel:DWORD src1_sel:DWORD
	v_or_b32_e32 v8, v8, v6
	v_lshlrev_b64 v[5:6], 2, v[0:1]
	v_or_b32_sdwa v7, v8, v7 dst_sel:DWORD dst_unused:UNUSED_PAD src0_sel:WORD_0 src1_sel:DWORD
	v_cmp_le_i64_e32 vcc_lo, s[2:3], v[5:6]
	global_store_dword v[2:3], v7, off
	v_add_co_u32 v2, s0, v2, s5
	v_add_co_ci_u32_e64 v3, null, 0, v3, s0
	s_or_b32 s1, vcc_lo, s1
	s_andn2_b32 exec_lo, exec_lo, s1
	s_cbranch_execnz .LBB120_24
.LBB120_25:
	s_inst_prefetch 0x2
	s_endpgm
	.section	.rodata,"a",@progbits
	.p2align	6, 0x0
	.amdhsa_kernel _ZN2at6native12_GLOBAL__N_125multi_tensor_apply_kernelINS1_28TensorListScalarListMetadataIhLi1EEENS1_25BinaryOpScalarListFunctorIhLi1ELi1ELi0EEEJNS0_7minimumIhEEEEEvT_T0_DpT1_
		.amdhsa_group_segment_fixed_size 0
		.amdhsa_private_segment_fixed_size 0
		.amdhsa_kernarg_size 3496
		.amdhsa_user_sgpr_count 6
		.amdhsa_user_sgpr_private_segment_buffer 1
		.amdhsa_user_sgpr_dispatch_ptr 0
		.amdhsa_user_sgpr_queue_ptr 0
		.amdhsa_user_sgpr_kernarg_segment_ptr 1
		.amdhsa_user_sgpr_dispatch_id 0
		.amdhsa_user_sgpr_flat_scratch_init 0
		.amdhsa_user_sgpr_private_segment_size 0
		.amdhsa_wavefront_size32 1
		.amdhsa_uses_dynamic_stack 0
		.amdhsa_system_sgpr_private_segment_wavefront_offset 0
		.amdhsa_system_sgpr_workgroup_id_x 1
		.amdhsa_system_sgpr_workgroup_id_y 0
		.amdhsa_system_sgpr_workgroup_id_z 0
		.amdhsa_system_sgpr_workgroup_info 0
		.amdhsa_system_vgpr_workitem_id 0
		.amdhsa_next_free_vgpr 21
		.amdhsa_next_free_sgpr 22
		.amdhsa_reserve_vcc 1
		.amdhsa_reserve_flat_scratch 0
		.amdhsa_float_round_mode_32 0
		.amdhsa_float_round_mode_16_64 0
		.amdhsa_float_denorm_mode_32 3
		.amdhsa_float_denorm_mode_16_64 3
		.amdhsa_dx10_clamp 1
		.amdhsa_ieee_mode 1
		.amdhsa_fp16_overflow 0
		.amdhsa_workgroup_processor_mode 1
		.amdhsa_memory_ordered 1
		.amdhsa_forward_progress 1
		.amdhsa_shared_vgpr_count 0
		.amdhsa_exception_fp_ieee_invalid_op 0
		.amdhsa_exception_fp_denorm_src 0
		.amdhsa_exception_fp_ieee_div_zero 0
		.amdhsa_exception_fp_ieee_overflow 0
		.amdhsa_exception_fp_ieee_underflow 0
		.amdhsa_exception_fp_ieee_inexact 0
		.amdhsa_exception_int_div_zero 0
	.end_amdhsa_kernel
	.section	.text._ZN2at6native12_GLOBAL__N_125multi_tensor_apply_kernelINS1_28TensorListScalarListMetadataIhLi1EEENS1_25BinaryOpScalarListFunctorIhLi1ELi1ELi0EEEJNS0_7minimumIhEEEEEvT_T0_DpT1_,"axG",@progbits,_ZN2at6native12_GLOBAL__N_125multi_tensor_apply_kernelINS1_28TensorListScalarListMetadataIhLi1EEENS1_25BinaryOpScalarListFunctorIhLi1ELi1ELi0EEEJNS0_7minimumIhEEEEEvT_T0_DpT1_,comdat
.Lfunc_end120:
	.size	_ZN2at6native12_GLOBAL__N_125multi_tensor_apply_kernelINS1_28TensorListScalarListMetadataIhLi1EEENS1_25BinaryOpScalarListFunctorIhLi1ELi1ELi0EEEJNS0_7minimumIhEEEEEvT_T0_DpT1_, .Lfunc_end120-_ZN2at6native12_GLOBAL__N_125multi_tensor_apply_kernelINS1_28TensorListScalarListMetadataIhLi1EEENS1_25BinaryOpScalarListFunctorIhLi1ELi1ELi0EEEJNS0_7minimumIhEEEEEvT_T0_DpT1_
                                        ; -- End function
	.set _ZN2at6native12_GLOBAL__N_125multi_tensor_apply_kernelINS1_28TensorListScalarListMetadataIhLi1EEENS1_25BinaryOpScalarListFunctorIhLi1ELi1ELi0EEEJNS0_7minimumIhEEEEEvT_T0_DpT1_.num_vgpr, 21
	.set _ZN2at6native12_GLOBAL__N_125multi_tensor_apply_kernelINS1_28TensorListScalarListMetadataIhLi1EEENS1_25BinaryOpScalarListFunctorIhLi1ELi1ELi0EEEJNS0_7minimumIhEEEEEvT_T0_DpT1_.num_agpr, 0
	.set _ZN2at6native12_GLOBAL__N_125multi_tensor_apply_kernelINS1_28TensorListScalarListMetadataIhLi1EEENS1_25BinaryOpScalarListFunctorIhLi1ELi1ELi0EEEJNS0_7minimumIhEEEEEvT_T0_DpT1_.numbered_sgpr, 22
	.set _ZN2at6native12_GLOBAL__N_125multi_tensor_apply_kernelINS1_28TensorListScalarListMetadataIhLi1EEENS1_25BinaryOpScalarListFunctorIhLi1ELi1ELi0EEEJNS0_7minimumIhEEEEEvT_T0_DpT1_.num_named_barrier, 0
	.set _ZN2at6native12_GLOBAL__N_125multi_tensor_apply_kernelINS1_28TensorListScalarListMetadataIhLi1EEENS1_25BinaryOpScalarListFunctorIhLi1ELi1ELi0EEEJNS0_7minimumIhEEEEEvT_T0_DpT1_.private_seg_size, 0
	.set _ZN2at6native12_GLOBAL__N_125multi_tensor_apply_kernelINS1_28TensorListScalarListMetadataIhLi1EEENS1_25BinaryOpScalarListFunctorIhLi1ELi1ELi0EEEJNS0_7minimumIhEEEEEvT_T0_DpT1_.uses_vcc, 1
	.set _ZN2at6native12_GLOBAL__N_125multi_tensor_apply_kernelINS1_28TensorListScalarListMetadataIhLi1EEENS1_25BinaryOpScalarListFunctorIhLi1ELi1ELi0EEEJNS0_7minimumIhEEEEEvT_T0_DpT1_.uses_flat_scratch, 0
	.set _ZN2at6native12_GLOBAL__N_125multi_tensor_apply_kernelINS1_28TensorListScalarListMetadataIhLi1EEENS1_25BinaryOpScalarListFunctorIhLi1ELi1ELi0EEEJNS0_7minimumIhEEEEEvT_T0_DpT1_.has_dyn_sized_stack, 0
	.set _ZN2at6native12_GLOBAL__N_125multi_tensor_apply_kernelINS1_28TensorListScalarListMetadataIhLi1EEENS1_25BinaryOpScalarListFunctorIhLi1ELi1ELi0EEEJNS0_7minimumIhEEEEEvT_T0_DpT1_.has_recursion, 0
	.set _ZN2at6native12_GLOBAL__N_125multi_tensor_apply_kernelINS1_28TensorListScalarListMetadataIhLi1EEENS1_25BinaryOpScalarListFunctorIhLi1ELi1ELi0EEEJNS0_7minimumIhEEEEEvT_T0_DpT1_.has_indirect_call, 0
	.section	.AMDGPU.csdata,"",@progbits
; Kernel info:
; codeLenInByte = 1336
; TotalNumSgprs: 24
; NumVgprs: 21
; ScratchSize: 0
; MemoryBound: 0
; FloatMode: 240
; IeeeMode: 1
; LDSByteSize: 0 bytes/workgroup (compile time only)
; SGPRBlocks: 0
; VGPRBlocks: 2
; NumSGPRsForWavesPerEU: 24
; NumVGPRsForWavesPerEU: 21
; Occupancy: 16
; WaveLimiterHint : 0
; COMPUTE_PGM_RSRC2:SCRATCH_EN: 0
; COMPUTE_PGM_RSRC2:USER_SGPR: 6
; COMPUTE_PGM_RSRC2:TRAP_HANDLER: 0
; COMPUTE_PGM_RSRC2:TGID_X_EN: 1
; COMPUTE_PGM_RSRC2:TGID_Y_EN: 0
; COMPUTE_PGM_RSRC2:TGID_Z_EN: 0
; COMPUTE_PGM_RSRC2:TIDIG_COMP_CNT: 0
	.section	.text._ZN2at6native12_GLOBAL__N_125multi_tensor_apply_kernelINS1_28TensorListScalarListMetadataIaLi1EEENS1_25BinaryOpScalarListFunctorIaLi1ELi1ELi0EEEJNS0_7minimumIaEEEEEvT_T0_DpT1_,"axG",@progbits,_ZN2at6native12_GLOBAL__N_125multi_tensor_apply_kernelINS1_28TensorListScalarListMetadataIaLi1EEENS1_25BinaryOpScalarListFunctorIaLi1ELi1ELi0EEEJNS0_7minimumIaEEEEEvT_T0_DpT1_,comdat
	.globl	_ZN2at6native12_GLOBAL__N_125multi_tensor_apply_kernelINS1_28TensorListScalarListMetadataIaLi1EEENS1_25BinaryOpScalarListFunctorIaLi1ELi1ELi0EEEJNS0_7minimumIaEEEEEvT_T0_DpT1_ ; -- Begin function _ZN2at6native12_GLOBAL__N_125multi_tensor_apply_kernelINS1_28TensorListScalarListMetadataIaLi1EEENS1_25BinaryOpScalarListFunctorIaLi1ELi1ELi0EEEJNS0_7minimumIaEEEEEvT_T0_DpT1_
	.p2align	8
	.type	_ZN2at6native12_GLOBAL__N_125multi_tensor_apply_kernelINS1_28TensorListScalarListMetadataIaLi1EEENS1_25BinaryOpScalarListFunctorIaLi1ELi1ELi0EEEJNS0_7minimumIaEEEEEvT_T0_DpT1_,@function
_ZN2at6native12_GLOBAL__N_125multi_tensor_apply_kernelINS1_28TensorListScalarListMetadataIaLi1EEENS1_25BinaryOpScalarListFunctorIaLi1ELi1ELi0EEEJNS0_7minimumIaEEEEEvT_T0_DpT1_: ; @_ZN2at6native12_GLOBAL__N_125multi_tensor_apply_kernelINS1_28TensorListScalarListMetadataIaLi1EEENS1_25BinaryOpScalarListFunctorIaLi1ELi1ELi0EEEJNS0_7minimumIaEEEEEvT_T0_DpT1_
; %bb.0:
	v_mov_b32_e32 v1, s6
	s_mul_i32 s1, s6, 3
	s_mul_hi_u32 s2, s6, 3
	global_load_ubyte v3, v1, s[4:5] offset:1632
	s_waitcnt vmcnt(0)
	v_add_co_u32 v1, s0, s4, v3
	v_add_co_ci_u32_e64 v2, null, s5, 0, s0
	s_add_u32 s0, s4, s6
	s_addc_u32 s3, s5, 0
	s_add_u32 s0, s0, s1
	global_load_ubyte v1, v[1:2], off offset:1536
	v_readfirstlane_b32 s6, v3
	s_addc_u32 s1, s3, s2
	s_load_dword s0, s[0:1], 0x7a0
	s_lshl_b32 s1, s6, 3
	s_clause 0x1
	s_load_dwordx2 s[2:3], s[4:5], s1 offset:0x300
	s_load_dwordx2 s[6:7], s[4:5], s1 offset:0x0
	s_waitcnt lgkmcnt(0)
	s_ashr_i32 s1, s0, 31
	s_lshl_b64 s[8:9], s[0:1], 16
	s_sub_u32 s10, s2, s8
	s_subb_u32 s11, s3, s9
	s_or_b32 s0, s2, s6
	s_and_b32 s0, s0, 3
	s_cmp_eq_u32 s0, 0
	s_waitcnt vmcnt(0)
	v_readfirstlane_b32 s18, v1
	s_cbranch_scc1 .LBB121_21
; %bb.1:
	v_cmp_lt_i64_e64 s0, s[10:11], 1
	s_and_b32 vcc_lo, exec_lo, s0
	s_cbranch_vccnz .LBB121_20
; %bb.2:
	s_load_dword s0, s[4:5], 0xcb4
	v_cmp_gt_i64_e64 s1, 0x10000, s[10:11]
	v_add_co_u32 v11, s2, s8, v0
	v_add_co_ci_u32_e64 v12, null, s9, 0, s2
	v_cmp_gt_u64_e64 s2, 0x10000, s[10:11]
	s_and_b32 s1, s1, exec_lo
	s_cselect_b32 s13, s11, 0
	s_cselect_b32 s12, s10, 0x10000
	v_add_co_u32 v1, vcc_lo, s6, v11
	v_add_co_ci_u32_e64 v2, null, s7, v12, vcc_lo
	s_waitcnt lgkmcnt(0)
	s_and_b32 s0, s0, 0xffff
	s_and_b32 s1, s2, exec_lo
	s_mul_i32 s2, s0, 3
	s_cselect_b32 s15, s11, 0
	s_cselect_b32 s14, s10, 0x10000
	s_lshl_b32 s1, s0, 1
	s_lshl_b32 s19, s0, 2
	s_add_u32 s3, s8, s2
	s_addc_u32 s16, s9, 0
	s_add_u32 s3, s6, s3
	v_add_co_u32 v5, s2, s2, v0
	s_addc_u32 s16, s7, s16
	v_add_co_u32 v3, s3, s3, v0
	v_add_co_ci_u32_e64 v6, null, 0, 0, s2
	s_add_u32 s2, s8, s1
	v_add_co_ci_u32_e64 v4, null, s16, 0, s3
	s_addc_u32 s3, s9, 0
	s_add_u32 s2, s6, s2
	v_add_co_u32 v9, s1, s1, v0
	s_addc_u32 s3, s7, s3
	v_add_co_u32 v7, s2, s2, v0
	v_add_co_ci_u32_e64 v10, null, 0, 0, s1
	s_add_u32 s1, s6, s0
	v_add_co_ci_u32_e64 v8, null, s3, 0, s2
	s_addc_u32 s2, s7, 0
	v_add_co_u32 v11, vcc_lo, s1, v11
	v_add_co_u32 v13, s0, v0, s0
	v_add_co_ci_u32_e64 v12, null, s2, v12, vcc_lo
	v_add_co_ci_u32_e64 v14, null, 0, 0, s0
	s_mov_b64 s[16:17], 0
	s_bfe_i32 s20, s18, 0x80000
	s_branch .LBB121_4
.LBB121_3:                              ;   in Loop: Header=BB121_4 Depth=1
	s_or_b32 exec_lo, exec_lo, s0
	s_add_u32 s16, s16, s19
	s_addc_u32 s17, s17, 0
	v_cmp_lt_i64_e64 s0, s[16:17], s[12:13]
	s_and_b32 vcc_lo, exec_lo, s0
	s_cbranch_vccz .LBB121_20
.LBB121_4:                              ; =>This Inner Loop Header: Depth=1
	s_waitcnt vmcnt(0)
	v_add_co_u32 v15, s0, v0, s16
	v_add_co_ci_u32_e64 v16, null, 0, s17, s0
	v_cmp_gt_u64_e32 vcc_lo, s[14:15], v[15:16]
	v_mov_b32_e32 v16, 0
	s_and_saveexec_b32 s1, vcc_lo
	s_cbranch_execz .LBB121_6
; %bb.5:                                ;   in Loop: Header=BB121_4 Depth=1
	v_add_co_u32 v15, s0, v1, s16
	v_add_co_ci_u32_e64 v16, null, s17, v2, s0
	global_load_ubyte v16, v[15:16], off
.LBB121_6:                              ;   in Loop: Header=BB121_4 Depth=1
	s_or_b32 exec_lo, exec_lo, s1
	v_add_co_u32 v17, s0, v13, s16
	v_add_co_ci_u32_e64 v18, null, s17, v14, s0
	v_mov_b32_e32 v15, 0
	v_cmp_gt_u64_e64 s0, s[14:15], v[17:18]
	v_mov_b32_e32 v17, 0
	s_and_saveexec_b32 s2, s0
	s_cbranch_execz .LBB121_8
; %bb.7:                                ;   in Loop: Header=BB121_4 Depth=1
	v_add_co_u32 v17, s1, v11, s16
	v_add_co_ci_u32_e64 v18, null, s17, v12, s1
	global_load_ubyte v17, v[17:18], off
.LBB121_8:                              ;   in Loop: Header=BB121_4 Depth=1
	s_or_b32 exec_lo, exec_lo, s2
	v_add_co_u32 v18, s1, v9, s16
	v_add_co_ci_u32_e64 v19, null, s17, v10, s1
	v_cmp_gt_u64_e64 s1, s[14:15], v[18:19]
	s_and_saveexec_b32 s3, s1
	s_cbranch_execz .LBB121_10
; %bb.9:                                ;   in Loop: Header=BB121_4 Depth=1
	v_add_co_u32 v18, s2, v7, s16
	v_add_co_ci_u32_e64 v19, null, s17, v8, s2
	global_load_ubyte v15, v[18:19], off
.LBB121_10:                             ;   in Loop: Header=BB121_4 Depth=1
	s_or_b32 exec_lo, exec_lo, s3
	v_add_co_u32 v18, s2, v5, s16
	v_add_co_ci_u32_e64 v19, null, s17, v6, s2
	v_cmp_gt_u64_e64 s2, s[14:15], v[18:19]
	v_mov_b32_e32 v18, 0
	s_and_saveexec_b32 s21, s2
	s_cbranch_execnz .LBB121_15
; %bb.11:                               ;   in Loop: Header=BB121_4 Depth=1
	s_or_b32 exec_lo, exec_lo, s21
	s_and_saveexec_b32 s3, vcc_lo
	s_cbranch_execnz .LBB121_16
.LBB121_12:                             ;   in Loop: Header=BB121_4 Depth=1
	s_or_b32 exec_lo, exec_lo, s3
	s_and_saveexec_b32 s3, s0
	s_cbranch_execnz .LBB121_17
.LBB121_13:                             ;   in Loop: Header=BB121_4 Depth=1
	s_or_b32 exec_lo, exec_lo, s3
	s_and_saveexec_b32 s0, s1
	s_cbranch_execnz .LBB121_18
.LBB121_14:                             ;   in Loop: Header=BB121_4 Depth=1
	s_or_b32 exec_lo, exec_lo, s0
	s_and_saveexec_b32 s0, s2
	s_cbranch_execz .LBB121_3
	s_branch .LBB121_19
.LBB121_15:                             ;   in Loop: Header=BB121_4 Depth=1
	v_add_co_u32 v18, s3, v3, s16
	v_add_co_ci_u32_e64 v19, null, s17, v4, s3
	global_load_ubyte v18, v[18:19], off
	s_or_b32 exec_lo, exec_lo, s21
	s_and_saveexec_b32 s3, vcc_lo
	s_cbranch_execz .LBB121_12
.LBB121_16:                             ;   in Loop: Header=BB121_4 Depth=1
	s_waitcnt vmcnt(0)
	v_bfe_i32 v16, v16, 0, 8
	v_add_co_u32 v19, vcc_lo, v1, s16
	v_add_co_ci_u32_e64 v20, null, s17, v2, vcc_lo
	v_min_i16 v16, v16, s20
	global_store_byte v[19:20], v16, off
	s_or_b32 exec_lo, exec_lo, s3
	s_and_saveexec_b32 s3, s0
	s_cbranch_execz .LBB121_13
.LBB121_17:                             ;   in Loop: Header=BB121_4 Depth=1
	s_waitcnt vmcnt(0)
	v_bfe_i32 v16, v17, 0, 8
	v_min_i16 v19, v16, s20
	v_add_co_u32 v16, vcc_lo, v11, s16
	v_add_co_ci_u32_e64 v17, null, s17, v12, vcc_lo
	global_store_byte v[16:17], v19, off
	s_or_b32 exec_lo, exec_lo, s3
	s_and_saveexec_b32 s0, s1
	s_cbranch_execz .LBB121_14
.LBB121_18:                             ;   in Loop: Header=BB121_4 Depth=1
	s_waitcnt vmcnt(0)
	v_bfe_i32 v15, v15, 0, 8
	v_min_i16 v17, v15, s20
	v_add_co_u32 v15, vcc_lo, v7, s16
	v_add_co_ci_u32_e64 v16, null, s17, v8, vcc_lo
	global_store_byte v[15:16], v17, off
	s_or_b32 exec_lo, exec_lo, s0
	s_and_saveexec_b32 s0, s2
	s_cbranch_execz .LBB121_3
.LBB121_19:                             ;   in Loop: Header=BB121_4 Depth=1
	s_waitcnt vmcnt(0)
	v_bfe_i32 v15, v18, 0, 8
	v_min_i16 v17, v15, s20
	v_add_co_u32 v15, vcc_lo, v3, s16
	v_add_co_ci_u32_e64 v16, null, s17, v4, vcc_lo
	global_store_byte v[15:16], v17, off
	s_branch .LBB121_3
.LBB121_20:
	s_cbranch_execz .LBB121_22
	s_branch .LBB121_25
.LBB121_21:
.LBB121_22:
	v_cmp_gt_i64_e64 s0, 0x10000, s[10:11]
	v_mov_b32_e32 v3, 0
	v_lshlrev_b32_e32 v2, 2, v0
	s_mov_b32 s1, 0
	s_and_b32 s0, s0, exec_lo
	s_cselect_b32 s3, s11, 0
	s_cselect_b32 s2, s10, 0x10000
	s_mov_b32 s0, exec_lo
	v_cmpx_gt_i64_e64 s[2:3], v[2:3]
	s_cbranch_execz .LBB121_25
; %bb.23:
	s_load_dword s0, s[4:5], 0xcb4
	v_mov_b32_e32 v1, v3
	s_waitcnt lgkmcnt(0)
	s_and_b32 s4, s0, 0xffff
	s_add_u32 s0, s6, s8
	s_addc_u32 s5, s7, s9
	v_add_co_u32 v2, s0, s0, v2
	v_add_co_ci_u32_e64 v3, null, s5, 0, s0
	s_lshl_b32 s5, s4, 2
	s_bfe_i32 s6, s18, 0x80000
	s_inst_prefetch 0x1
	.p2align	6
.LBB121_24:                             ; =>This Inner Loop Header: Depth=1
	global_load_dword v4, v[2:3], off
	v_add_co_u32 v0, vcc_lo, v0, s4
	v_add_co_ci_u32_e64 v1, null, 0, v1, vcc_lo
	s_waitcnt vmcnt(0)
	v_lshrrev_b32_e32 v5, 8, v4
	v_lshrrev_b32_e32 v6, 24, v4
	;; [unrolled: 1-line block ×3, first 2 shown]
	v_bfe_i32 v4, v4, 0, 8
	v_bfe_i32 v5, v5, 0, 8
	;; [unrolled: 1-line block ×4, first 2 shown]
	v_min_i16 v4, v4, s6
	v_min_i16 v5, v5, s6
	;; [unrolled: 1-line block ×4, first 2 shown]
	v_lshlrev_b16 v5, 8, v5
	v_lshlrev_b16 v6, 8, v6
	v_or_b32_sdwa v8, v4, v5 dst_sel:DWORD dst_unused:UNUSED_PAD src0_sel:BYTE_0 src1_sel:DWORD
	v_or_b32_sdwa v6, v7, v6 dst_sel:WORD_1 dst_unused:UNUSED_PAD src0_sel:BYTE_0 src1_sel:DWORD
	v_lshlrev_b64 v[4:5], 2, v[0:1]
	v_or_b32_sdwa v6, v8, v6 dst_sel:DWORD dst_unused:UNUSED_PAD src0_sel:WORD_0 src1_sel:DWORD
	v_cmp_le_i64_e32 vcc_lo, s[2:3], v[4:5]
	global_store_dword v[2:3], v6, off
	v_add_co_u32 v2, s0, v2, s5
	v_add_co_ci_u32_e64 v3, null, 0, v3, s0
	s_or_b32 s1, vcc_lo, s1
	s_andn2_b32 exec_lo, exec_lo, s1
	s_cbranch_execnz .LBB121_24
.LBB121_25:
	s_inst_prefetch 0x2
	s_endpgm
	.section	.rodata,"a",@progbits
	.p2align	6, 0x0
	.amdhsa_kernel _ZN2at6native12_GLOBAL__N_125multi_tensor_apply_kernelINS1_28TensorListScalarListMetadataIaLi1EEENS1_25BinaryOpScalarListFunctorIaLi1ELi1ELi0EEEJNS0_7minimumIaEEEEEvT_T0_DpT1_
		.amdhsa_group_segment_fixed_size 0
		.amdhsa_private_segment_fixed_size 0
		.amdhsa_kernarg_size 3496
		.amdhsa_user_sgpr_count 6
		.amdhsa_user_sgpr_private_segment_buffer 1
		.amdhsa_user_sgpr_dispatch_ptr 0
		.amdhsa_user_sgpr_queue_ptr 0
		.amdhsa_user_sgpr_kernarg_segment_ptr 1
		.amdhsa_user_sgpr_dispatch_id 0
		.amdhsa_user_sgpr_flat_scratch_init 0
		.amdhsa_user_sgpr_private_segment_size 0
		.amdhsa_wavefront_size32 1
		.amdhsa_uses_dynamic_stack 0
		.amdhsa_system_sgpr_private_segment_wavefront_offset 0
		.amdhsa_system_sgpr_workgroup_id_x 1
		.amdhsa_system_sgpr_workgroup_id_y 0
		.amdhsa_system_sgpr_workgroup_id_z 0
		.amdhsa_system_sgpr_workgroup_info 0
		.amdhsa_system_vgpr_workitem_id 0
		.amdhsa_next_free_vgpr 21
		.amdhsa_next_free_sgpr 22
		.amdhsa_reserve_vcc 1
		.amdhsa_reserve_flat_scratch 0
		.amdhsa_float_round_mode_32 0
		.amdhsa_float_round_mode_16_64 0
		.amdhsa_float_denorm_mode_32 3
		.amdhsa_float_denorm_mode_16_64 3
		.amdhsa_dx10_clamp 1
		.amdhsa_ieee_mode 1
		.amdhsa_fp16_overflow 0
		.amdhsa_workgroup_processor_mode 1
		.amdhsa_memory_ordered 1
		.amdhsa_forward_progress 1
		.amdhsa_shared_vgpr_count 0
		.amdhsa_exception_fp_ieee_invalid_op 0
		.amdhsa_exception_fp_denorm_src 0
		.amdhsa_exception_fp_ieee_div_zero 0
		.amdhsa_exception_fp_ieee_overflow 0
		.amdhsa_exception_fp_ieee_underflow 0
		.amdhsa_exception_fp_ieee_inexact 0
		.amdhsa_exception_int_div_zero 0
	.end_amdhsa_kernel
	.section	.text._ZN2at6native12_GLOBAL__N_125multi_tensor_apply_kernelINS1_28TensorListScalarListMetadataIaLi1EEENS1_25BinaryOpScalarListFunctorIaLi1ELi1ELi0EEEJNS0_7minimumIaEEEEEvT_T0_DpT1_,"axG",@progbits,_ZN2at6native12_GLOBAL__N_125multi_tensor_apply_kernelINS1_28TensorListScalarListMetadataIaLi1EEENS1_25BinaryOpScalarListFunctorIaLi1ELi1ELi0EEEJNS0_7minimumIaEEEEEvT_T0_DpT1_,comdat
.Lfunc_end121:
	.size	_ZN2at6native12_GLOBAL__N_125multi_tensor_apply_kernelINS1_28TensorListScalarListMetadataIaLi1EEENS1_25BinaryOpScalarListFunctorIaLi1ELi1ELi0EEEJNS0_7minimumIaEEEEEvT_T0_DpT1_, .Lfunc_end121-_ZN2at6native12_GLOBAL__N_125multi_tensor_apply_kernelINS1_28TensorListScalarListMetadataIaLi1EEENS1_25BinaryOpScalarListFunctorIaLi1ELi1ELi0EEEJNS0_7minimumIaEEEEEvT_T0_DpT1_
                                        ; -- End function
	.set _ZN2at6native12_GLOBAL__N_125multi_tensor_apply_kernelINS1_28TensorListScalarListMetadataIaLi1EEENS1_25BinaryOpScalarListFunctorIaLi1ELi1ELi0EEEJNS0_7minimumIaEEEEEvT_T0_DpT1_.num_vgpr, 21
	.set _ZN2at6native12_GLOBAL__N_125multi_tensor_apply_kernelINS1_28TensorListScalarListMetadataIaLi1EEENS1_25BinaryOpScalarListFunctorIaLi1ELi1ELi0EEEJNS0_7minimumIaEEEEEvT_T0_DpT1_.num_agpr, 0
	.set _ZN2at6native12_GLOBAL__N_125multi_tensor_apply_kernelINS1_28TensorListScalarListMetadataIaLi1EEENS1_25BinaryOpScalarListFunctorIaLi1ELi1ELi0EEEJNS0_7minimumIaEEEEEvT_T0_DpT1_.numbered_sgpr, 22
	.set _ZN2at6native12_GLOBAL__N_125multi_tensor_apply_kernelINS1_28TensorListScalarListMetadataIaLi1EEENS1_25BinaryOpScalarListFunctorIaLi1ELi1ELi0EEEJNS0_7minimumIaEEEEEvT_T0_DpT1_.num_named_barrier, 0
	.set _ZN2at6native12_GLOBAL__N_125multi_tensor_apply_kernelINS1_28TensorListScalarListMetadataIaLi1EEENS1_25BinaryOpScalarListFunctorIaLi1ELi1ELi0EEEJNS0_7minimumIaEEEEEvT_T0_DpT1_.private_seg_size, 0
	.set _ZN2at6native12_GLOBAL__N_125multi_tensor_apply_kernelINS1_28TensorListScalarListMetadataIaLi1EEENS1_25BinaryOpScalarListFunctorIaLi1ELi1ELi0EEEJNS0_7minimumIaEEEEEvT_T0_DpT1_.uses_vcc, 1
	.set _ZN2at6native12_GLOBAL__N_125multi_tensor_apply_kernelINS1_28TensorListScalarListMetadataIaLi1EEENS1_25BinaryOpScalarListFunctorIaLi1ELi1ELi0EEEJNS0_7minimumIaEEEEEvT_T0_DpT1_.uses_flat_scratch, 0
	.set _ZN2at6native12_GLOBAL__N_125multi_tensor_apply_kernelINS1_28TensorListScalarListMetadataIaLi1EEENS1_25BinaryOpScalarListFunctorIaLi1ELi1ELi0EEEJNS0_7minimumIaEEEEEvT_T0_DpT1_.has_dyn_sized_stack, 0
	.set _ZN2at6native12_GLOBAL__N_125multi_tensor_apply_kernelINS1_28TensorListScalarListMetadataIaLi1EEENS1_25BinaryOpScalarListFunctorIaLi1ELi1ELi0EEEJNS0_7minimumIaEEEEEvT_T0_DpT1_.has_recursion, 0
	.set _ZN2at6native12_GLOBAL__N_125multi_tensor_apply_kernelINS1_28TensorListScalarListMetadataIaLi1EEENS1_25BinaryOpScalarListFunctorIaLi1ELi1ELi0EEEJNS0_7minimumIaEEEEEvT_T0_DpT1_.has_indirect_call, 0
	.section	.AMDGPU.csdata,"",@progbits
; Kernel info:
; codeLenInByte = 1352
; TotalNumSgprs: 24
; NumVgprs: 21
; ScratchSize: 0
; MemoryBound: 0
; FloatMode: 240
; IeeeMode: 1
; LDSByteSize: 0 bytes/workgroup (compile time only)
; SGPRBlocks: 0
; VGPRBlocks: 2
; NumSGPRsForWavesPerEU: 24
; NumVGPRsForWavesPerEU: 21
; Occupancy: 16
; WaveLimiterHint : 0
; COMPUTE_PGM_RSRC2:SCRATCH_EN: 0
; COMPUTE_PGM_RSRC2:USER_SGPR: 6
; COMPUTE_PGM_RSRC2:TRAP_HANDLER: 0
; COMPUTE_PGM_RSRC2:TGID_X_EN: 1
; COMPUTE_PGM_RSRC2:TGID_Y_EN: 0
; COMPUTE_PGM_RSRC2:TGID_Z_EN: 0
; COMPUTE_PGM_RSRC2:TIDIG_COMP_CNT: 0
	.section	.text._ZN2at6native12_GLOBAL__N_125multi_tensor_apply_kernelINS1_28TensorListScalarListMetadataIiLi1EEENS1_25BinaryOpScalarListFunctorIiLi1ELi1ELi0EEEJNS0_7minimumIiEEEEEvT_T0_DpT1_,"axG",@progbits,_ZN2at6native12_GLOBAL__N_125multi_tensor_apply_kernelINS1_28TensorListScalarListMetadataIiLi1EEENS1_25BinaryOpScalarListFunctorIiLi1ELi1ELi0EEEJNS0_7minimumIiEEEEEvT_T0_DpT1_,comdat
	.globl	_ZN2at6native12_GLOBAL__N_125multi_tensor_apply_kernelINS1_28TensorListScalarListMetadataIiLi1EEENS1_25BinaryOpScalarListFunctorIiLi1ELi1ELi0EEEJNS0_7minimumIiEEEEEvT_T0_DpT1_ ; -- Begin function _ZN2at6native12_GLOBAL__N_125multi_tensor_apply_kernelINS1_28TensorListScalarListMetadataIiLi1EEENS1_25BinaryOpScalarListFunctorIiLi1ELi1ELi0EEEJNS0_7minimumIiEEEEEvT_T0_DpT1_
	.p2align	8
	.type	_ZN2at6native12_GLOBAL__N_125multi_tensor_apply_kernelINS1_28TensorListScalarListMetadataIiLi1EEENS1_25BinaryOpScalarListFunctorIiLi1ELi1ELi0EEEJNS0_7minimumIiEEEEEvT_T0_DpT1_,@function
_ZN2at6native12_GLOBAL__N_125multi_tensor_apply_kernelINS1_28TensorListScalarListMetadataIiLi1EEENS1_25BinaryOpScalarListFunctorIiLi1ELi1ELi0EEEJNS0_7minimumIiEEEEEvT_T0_DpT1_: ; @_ZN2at6native12_GLOBAL__N_125multi_tensor_apply_kernelINS1_28TensorListScalarListMetadataIiLi1EEENS1_25BinaryOpScalarListFunctorIiLi1ELi1ELi0EEEJNS0_7minimumIiEEEEEvT_T0_DpT1_
; %bb.0:
	v_mov_b32_e32 v1, s6
	s_add_u32 s0, s4, s6
	s_mul_i32 s1, s6, 3
	s_mul_hi_u32 s2, s6, 3
	s_addc_u32 s3, s5, 0
	global_load_ubyte v1, v1, s[4:5] offset:1920
	s_add_u32 s0, s0, s1
	s_addc_u32 s1, s3, s2
	s_mov_b32 s13, 0
	s_load_dword s0, s[0:1], 0x8c0
	s_waitcnt vmcnt(0)
	v_readfirstlane_b32 s1, v1
	v_lshlrev_b32_e32 v1, 2, v1
	s_lshl_b32 s8, s1, 3
	v_sub_co_u32 v1, s1, 0, v1
	v_sub_co_ci_u32_e64 v2, null, 0, 0, s1
	s_waitcnt lgkmcnt(0)
	s_ashr_i32 s1, s0, 31
	s_clause 0x1
	s_load_dwordx2 s[2:3], s[4:5], s8 offset:0x300
	s_load_dwordx2 s[6:7], s[4:5], s8 offset:0x0
	s_add_u32 s8, s4, s8
	s_addc_u32 s9, s5, 0
	v_add_co_u32 v1, vcc_lo, s8, v1
	v_add_co_ci_u32_e64 v2, null, s9, v2, vcc_lo
	v_readfirstlane_b32 s8, v1
	v_readfirstlane_b32 s9, v2
	s_load_dword s18, s[8:9], 0x600
	s_lshl_b64 s[8:9], s[0:1], 18
	s_lshl_b64 s[0:1], s[0:1], 16
	s_waitcnt lgkmcnt(0)
	s_and_b32 s12, s6, 15
	s_sub_u32 s10, s2, s0
	s_subb_u32 s11, s3, s1
	s_and_b32 s0, s2, 3
	s_mov_b32 s1, s13
	s_or_b64 s[0:1], s[12:13], s[0:1]
	s_cmp_eq_u64 s[0:1], 0
	s_cbranch_scc1 .LBB122_21
; %bb.1:
	v_cmp_lt_i64_e64 s0, s[10:11], 1
	s_and_b32 vcc_lo, exec_lo, s0
	s_cbranch_vccnz .LBB122_20
; %bb.2:
	s_load_dword s0, s[4:5], 0xdd4
	v_cmp_gt_i64_e64 s1, 0x10000, s[10:11]
	v_cmp_gt_u64_e64 s2, 0x10000, s[10:11]
	v_lshlrev_b32_e32 v1, 2, v0
	s_and_b32 s1, s1, exec_lo
	s_cselect_b32 s13, s11, 0
	s_cselect_b32 s12, s10, 0x10000
	s_waitcnt lgkmcnt(0)
	s_and_b32 s0, s0, 0xffff
	s_and_b32 s1, s2, exec_lo
	v_add_co_u32 v5, s3, v0, s0
	s_cselect_b32 s15, s11, 0
	s_cselect_b32 s14, s10, 0x10000
	s_lshl_b32 s1, s0, 1
	v_lshlrev_b32_e32 v3, 2, v5
	s_mul_i32 s2, s0, 3
	s_lshl_b32 s19, s0, 2
	s_add_u32 s16, s6, s8
	v_add_co_u32 v6, s2, s2, v0
	v_add_co_u32 v9, s1, s1, v0
	s_addc_u32 s17, s7, s9
	v_add_co_ci_u32_e64 v7, null, 0, 0, s2
	v_add_co_u32 v1, s2, s16, v1
	v_add_co_ci_u32_e64 v10, null, 0, 0, s1
	v_add_co_u32 v3, s1, s16, v3
	v_add_co_ci_u32_e64 v2, null, s17, 0, s2
	v_add_co_ci_u32_e64 v8, null, 0, 0, s3
	;; [unrolled: 1-line block ×3, first 2 shown]
	s_lshl_b32 s20, s0, 4
	s_mul_i32 s21, s0, 12
	s_lshl_b32 s22, s0, 3
	s_mov_b64 s[16:17], 0
	s_branch .LBB122_4
.LBB122_3:                              ;   in Loop: Header=BB122_4 Depth=1
	s_or_b32 exec_lo, exec_lo, s0
	s_add_u32 s16, s16, s19
	s_addc_u32 s17, s17, 0
	v_add_co_u32 v1, vcc_lo, v1, s20
	v_cmp_lt_i64_e64 s0, s[16:17], s[12:13]
	v_add_co_ci_u32_e64 v2, null, 0, v2, vcc_lo
	v_add_co_u32 v3, vcc_lo, v3, s20
	v_add_co_ci_u32_e64 v4, null, 0, v4, vcc_lo
	s_and_b32 vcc_lo, exec_lo, s0
	s_cbranch_vccz .LBB122_20
.LBB122_4:                              ; =>This Inner Loop Header: Depth=1
	s_waitcnt vmcnt(0)
	v_add_co_u32 v11, s0, v0, s16
	v_add_co_ci_u32_e64 v12, null, 0, s17, s0
	v_cmp_gt_u64_e32 vcc_lo, s[14:15], v[11:12]
	v_mov_b32_e32 v11, 0
	s_and_saveexec_b32 s0, vcc_lo
	s_cbranch_execz .LBB122_6
; %bb.5:                                ;   in Loop: Header=BB122_4 Depth=1
	global_load_dword v11, v[1:2], off
.LBB122_6:                              ;   in Loop: Header=BB122_4 Depth=1
	s_or_b32 exec_lo, exec_lo, s0
	v_add_co_u32 v12, s0, v5, s16
	v_add_co_ci_u32_e64 v13, null, s17, v8, s0
	v_cmp_gt_u64_e64 s0, s[14:15], v[12:13]
	v_mov_b32_e32 v12, 0
	v_mov_b32_e32 v13, 0
	s_and_saveexec_b32 s1, s0
	s_cbranch_execz .LBB122_8
; %bb.7:                                ;   in Loop: Header=BB122_4 Depth=1
	global_load_dword v13, v[3:4], off
.LBB122_8:                              ;   in Loop: Header=BB122_4 Depth=1
	s_or_b32 exec_lo, exec_lo, s1
	v_add_co_u32 v14, s1, v9, s16
	v_add_co_ci_u32_e64 v15, null, s17, v10, s1
	v_cmp_gt_u64_e64 s1, s[14:15], v[14:15]
	s_and_saveexec_b32 s3, s1
	s_cbranch_execz .LBB122_10
; %bb.9:                                ;   in Loop: Header=BB122_4 Depth=1
	v_add_co_u32 v14, s2, v1, s22
	v_add_co_ci_u32_e64 v15, null, 0, v2, s2
	global_load_dword v12, v[14:15], off
.LBB122_10:                             ;   in Loop: Header=BB122_4 Depth=1
	s_or_b32 exec_lo, exec_lo, s3
	v_add_co_u32 v14, s2, v6, s16
	v_add_co_ci_u32_e64 v15, null, s17, v7, s2
	v_cmp_gt_u64_e64 s2, s[14:15], v[14:15]
	v_mov_b32_e32 v14, 0
	s_and_saveexec_b32 s23, s2
	s_cbranch_execnz .LBB122_15
; %bb.11:                               ;   in Loop: Header=BB122_4 Depth=1
	s_or_b32 exec_lo, exec_lo, s23
	s_and_saveexec_b32 s3, vcc_lo
	s_cbranch_execnz .LBB122_16
.LBB122_12:                             ;   in Loop: Header=BB122_4 Depth=1
	s_or_b32 exec_lo, exec_lo, s3
	s_and_saveexec_b32 s3, s0
	s_cbranch_execnz .LBB122_17
.LBB122_13:                             ;   in Loop: Header=BB122_4 Depth=1
	s_or_b32 exec_lo, exec_lo, s3
	s_and_saveexec_b32 s0, s1
	s_cbranch_execnz .LBB122_18
.LBB122_14:                             ;   in Loop: Header=BB122_4 Depth=1
	s_or_b32 exec_lo, exec_lo, s0
	s_and_saveexec_b32 s0, s2
	s_cbranch_execz .LBB122_3
	s_branch .LBB122_19
.LBB122_15:                             ;   in Loop: Header=BB122_4 Depth=1
	v_add_co_u32 v14, s3, v1, s21
	v_add_co_ci_u32_e64 v15, null, 0, v2, s3
	global_load_dword v14, v[14:15], off
	s_or_b32 exec_lo, exec_lo, s23
	s_and_saveexec_b32 s3, vcc_lo
	s_cbranch_execz .LBB122_12
.LBB122_16:                             ;   in Loop: Header=BB122_4 Depth=1
	s_waitcnt vmcnt(0)
	v_min_i32_e32 v11, s18, v11
	global_store_dword v[1:2], v11, off
	s_or_b32 exec_lo, exec_lo, s3
	s_and_saveexec_b32 s3, s0
	s_cbranch_execz .LBB122_13
.LBB122_17:                             ;   in Loop: Header=BB122_4 Depth=1
	s_waitcnt vmcnt(0)
	v_min_i32_e32 v11, s18, v13
	global_store_dword v[3:4], v11, off
	s_or_b32 exec_lo, exec_lo, s3
	s_and_saveexec_b32 s0, s1
	s_cbranch_execz .LBB122_14
.LBB122_18:                             ;   in Loop: Header=BB122_4 Depth=1
	s_waitcnt vmcnt(0)
	v_add_co_u32 v11, vcc_lo, v1, s22
	v_min_i32_e32 v13, s18, v12
	v_add_co_ci_u32_e64 v12, null, 0, v2, vcc_lo
	global_store_dword v[11:12], v13, off
	s_or_b32 exec_lo, exec_lo, s0
	s_and_saveexec_b32 s0, s2
	s_cbranch_execz .LBB122_3
.LBB122_19:                             ;   in Loop: Header=BB122_4 Depth=1
	s_waitcnt vmcnt(0)
	v_add_co_u32 v11, vcc_lo, v1, s21
	v_min_i32_e32 v13, s18, v14
	v_add_co_ci_u32_e64 v12, null, 0, v2, vcc_lo
	global_store_dword v[11:12], v13, off
	s_branch .LBB122_3
.LBB122_20:
	s_cbranch_execz .LBB122_22
	s_branch .LBB122_25
.LBB122_21:
.LBB122_22:
	v_cmp_gt_i64_e64 s0, 0x10000, s[10:11]
	v_mov_b32_e32 v2, 0
	v_lshlrev_b32_e32 v1, 2, v0
	s_mov_b32 s1, 0
	s_and_b32 s0, s0, exec_lo
	s_cselect_b32 s3, s11, 0
	s_cselect_b32 s2, s10, 0x10000
	s_mov_b32 s0, exec_lo
	v_cmpx_gt_i64_e64 s[2:3], v[1:2]
	s_cbranch_execz .LBB122_25
; %bb.23:
	s_load_dword s0, s[4:5], 0xdd4
	v_lshlrev_b32_e32 v1, 4, v0
	s_waitcnt lgkmcnt(0)
	s_and_b32 s4, s0, 0xffff
	s_add_u32 s0, s6, s8
	s_addc_u32 s5, s7, s9
	v_add_co_u32 v3, s0, s0, v1
	v_add_co_ci_u32_e64 v4, null, s5, 0, s0
	v_mov_b32_e32 v1, v2
	v_add_co_u32 v2, vcc_lo, v3, 8
	v_add_co_ci_u32_e64 v3, null, 0, v4, vcc_lo
	s_lshl_b32 s5, s4, 4
	.p2align	6
.LBB122_24:                             ; =>This Inner Loop Header: Depth=1
	global_load_dwordx4 v[4:7], v[2:3], off offset:-8
	v_add_co_u32 v0, vcc_lo, v0, s4
	v_add_co_ci_u32_e64 v1, null, 0, v1, vcc_lo
	v_lshlrev_b64 v[8:9], 2, v[0:1]
	v_cmp_le_i64_e32 vcc_lo, s[2:3], v[8:9]
	s_or_b32 s1, vcc_lo, s1
	s_waitcnt vmcnt(0)
	v_min_i32_e32 v4, s18, v4
	v_min_i32_e32 v5, s18, v5
	;; [unrolled: 1-line block ×4, first 2 shown]
	global_store_dwordx4 v[2:3], v[4:7], off offset:-8
	v_add_co_u32 v2, s0, v2, s5
	v_add_co_ci_u32_e64 v3, null, 0, v3, s0
	s_andn2_b32 exec_lo, exec_lo, s1
	s_cbranch_execnz .LBB122_24
.LBB122_25:
	s_endpgm
	.section	.rodata,"a",@progbits
	.p2align	6, 0x0
	.amdhsa_kernel _ZN2at6native12_GLOBAL__N_125multi_tensor_apply_kernelINS1_28TensorListScalarListMetadataIiLi1EEENS1_25BinaryOpScalarListFunctorIiLi1ELi1ELi0EEEJNS0_7minimumIiEEEEEvT_T0_DpT1_
		.amdhsa_group_segment_fixed_size 0
		.amdhsa_private_segment_fixed_size 0
		.amdhsa_kernarg_size 3784
		.amdhsa_user_sgpr_count 6
		.amdhsa_user_sgpr_private_segment_buffer 1
		.amdhsa_user_sgpr_dispatch_ptr 0
		.amdhsa_user_sgpr_queue_ptr 0
		.amdhsa_user_sgpr_kernarg_segment_ptr 1
		.amdhsa_user_sgpr_dispatch_id 0
		.amdhsa_user_sgpr_flat_scratch_init 0
		.amdhsa_user_sgpr_private_segment_size 0
		.amdhsa_wavefront_size32 1
		.amdhsa_uses_dynamic_stack 0
		.amdhsa_system_sgpr_private_segment_wavefront_offset 0
		.amdhsa_system_sgpr_workgroup_id_x 1
		.amdhsa_system_sgpr_workgroup_id_y 0
		.amdhsa_system_sgpr_workgroup_id_z 0
		.amdhsa_system_sgpr_workgroup_info 0
		.amdhsa_system_vgpr_workitem_id 0
		.amdhsa_next_free_vgpr 16
		.amdhsa_next_free_sgpr 24
		.amdhsa_reserve_vcc 1
		.amdhsa_reserve_flat_scratch 0
		.amdhsa_float_round_mode_32 0
		.amdhsa_float_round_mode_16_64 0
		.amdhsa_float_denorm_mode_32 3
		.amdhsa_float_denorm_mode_16_64 3
		.amdhsa_dx10_clamp 1
		.amdhsa_ieee_mode 1
		.amdhsa_fp16_overflow 0
		.amdhsa_workgroup_processor_mode 1
		.amdhsa_memory_ordered 1
		.amdhsa_forward_progress 1
		.amdhsa_shared_vgpr_count 0
		.amdhsa_exception_fp_ieee_invalid_op 0
		.amdhsa_exception_fp_denorm_src 0
		.amdhsa_exception_fp_ieee_div_zero 0
		.amdhsa_exception_fp_ieee_overflow 0
		.amdhsa_exception_fp_ieee_underflow 0
		.amdhsa_exception_fp_ieee_inexact 0
		.amdhsa_exception_int_div_zero 0
	.end_amdhsa_kernel
	.section	.text._ZN2at6native12_GLOBAL__N_125multi_tensor_apply_kernelINS1_28TensorListScalarListMetadataIiLi1EEENS1_25BinaryOpScalarListFunctorIiLi1ELi1ELi0EEEJNS0_7minimumIiEEEEEvT_T0_DpT1_,"axG",@progbits,_ZN2at6native12_GLOBAL__N_125multi_tensor_apply_kernelINS1_28TensorListScalarListMetadataIiLi1EEENS1_25BinaryOpScalarListFunctorIiLi1ELi1ELi0EEEJNS0_7minimumIiEEEEEvT_T0_DpT1_,comdat
.Lfunc_end122:
	.size	_ZN2at6native12_GLOBAL__N_125multi_tensor_apply_kernelINS1_28TensorListScalarListMetadataIiLi1EEENS1_25BinaryOpScalarListFunctorIiLi1ELi1ELi0EEEJNS0_7minimumIiEEEEEvT_T0_DpT1_, .Lfunc_end122-_ZN2at6native12_GLOBAL__N_125multi_tensor_apply_kernelINS1_28TensorListScalarListMetadataIiLi1EEENS1_25BinaryOpScalarListFunctorIiLi1ELi1ELi0EEEJNS0_7minimumIiEEEEEvT_T0_DpT1_
                                        ; -- End function
	.set _ZN2at6native12_GLOBAL__N_125multi_tensor_apply_kernelINS1_28TensorListScalarListMetadataIiLi1EEENS1_25BinaryOpScalarListFunctorIiLi1ELi1ELi0EEEJNS0_7minimumIiEEEEEvT_T0_DpT1_.num_vgpr, 16
	.set _ZN2at6native12_GLOBAL__N_125multi_tensor_apply_kernelINS1_28TensorListScalarListMetadataIiLi1EEENS1_25BinaryOpScalarListFunctorIiLi1ELi1ELi0EEEJNS0_7minimumIiEEEEEvT_T0_DpT1_.num_agpr, 0
	.set _ZN2at6native12_GLOBAL__N_125multi_tensor_apply_kernelINS1_28TensorListScalarListMetadataIiLi1EEENS1_25BinaryOpScalarListFunctorIiLi1ELi1ELi0EEEJNS0_7minimumIiEEEEEvT_T0_DpT1_.numbered_sgpr, 24
	.set _ZN2at6native12_GLOBAL__N_125multi_tensor_apply_kernelINS1_28TensorListScalarListMetadataIiLi1EEENS1_25BinaryOpScalarListFunctorIiLi1ELi1ELi0EEEJNS0_7minimumIiEEEEEvT_T0_DpT1_.num_named_barrier, 0
	.set _ZN2at6native12_GLOBAL__N_125multi_tensor_apply_kernelINS1_28TensorListScalarListMetadataIiLi1EEENS1_25BinaryOpScalarListFunctorIiLi1ELi1ELi0EEEJNS0_7minimumIiEEEEEvT_T0_DpT1_.private_seg_size, 0
	.set _ZN2at6native12_GLOBAL__N_125multi_tensor_apply_kernelINS1_28TensorListScalarListMetadataIiLi1EEENS1_25BinaryOpScalarListFunctorIiLi1ELi1ELi0EEEJNS0_7minimumIiEEEEEvT_T0_DpT1_.uses_vcc, 1
	.set _ZN2at6native12_GLOBAL__N_125multi_tensor_apply_kernelINS1_28TensorListScalarListMetadataIiLi1EEENS1_25BinaryOpScalarListFunctorIiLi1ELi1ELi0EEEJNS0_7minimumIiEEEEEvT_T0_DpT1_.uses_flat_scratch, 0
	.set _ZN2at6native12_GLOBAL__N_125multi_tensor_apply_kernelINS1_28TensorListScalarListMetadataIiLi1EEENS1_25BinaryOpScalarListFunctorIiLi1ELi1ELi0EEEJNS0_7minimumIiEEEEEvT_T0_DpT1_.has_dyn_sized_stack, 0
	.set _ZN2at6native12_GLOBAL__N_125multi_tensor_apply_kernelINS1_28TensorListScalarListMetadataIiLi1EEENS1_25BinaryOpScalarListFunctorIiLi1ELi1ELi0EEEJNS0_7minimumIiEEEEEvT_T0_DpT1_.has_recursion, 0
	.set _ZN2at6native12_GLOBAL__N_125multi_tensor_apply_kernelINS1_28TensorListScalarListMetadataIiLi1EEENS1_25BinaryOpScalarListFunctorIiLi1ELi1ELi0EEEJNS0_7minimumIiEEEEEvT_T0_DpT1_.has_indirect_call, 0
	.section	.AMDGPU.csdata,"",@progbits
; Kernel info:
; codeLenInByte = 1184
; TotalNumSgprs: 26
; NumVgprs: 16
; ScratchSize: 0
; MemoryBound: 0
; FloatMode: 240
; IeeeMode: 1
; LDSByteSize: 0 bytes/workgroup (compile time only)
; SGPRBlocks: 0
; VGPRBlocks: 1
; NumSGPRsForWavesPerEU: 26
; NumVGPRsForWavesPerEU: 16
; Occupancy: 16
; WaveLimiterHint : 0
; COMPUTE_PGM_RSRC2:SCRATCH_EN: 0
; COMPUTE_PGM_RSRC2:USER_SGPR: 6
; COMPUTE_PGM_RSRC2:TRAP_HANDLER: 0
; COMPUTE_PGM_RSRC2:TGID_X_EN: 1
; COMPUTE_PGM_RSRC2:TGID_Y_EN: 0
; COMPUTE_PGM_RSRC2:TGID_Z_EN: 0
; COMPUTE_PGM_RSRC2:TIDIG_COMP_CNT: 0
	.section	.text._ZN2at6native12_GLOBAL__N_125multi_tensor_apply_kernelINS1_28TensorListScalarListMetadataIlLi1EEENS1_25BinaryOpScalarListFunctorIlLi1ELi1ELi0EEEJNS0_7minimumIlEEEEEvT_T0_DpT1_,"axG",@progbits,_ZN2at6native12_GLOBAL__N_125multi_tensor_apply_kernelINS1_28TensorListScalarListMetadataIlLi1EEENS1_25BinaryOpScalarListFunctorIlLi1ELi1ELi0EEEJNS0_7minimumIlEEEEEvT_T0_DpT1_,comdat
	.globl	_ZN2at6native12_GLOBAL__N_125multi_tensor_apply_kernelINS1_28TensorListScalarListMetadataIlLi1EEENS1_25BinaryOpScalarListFunctorIlLi1ELi1ELi0EEEJNS0_7minimumIlEEEEEvT_T0_DpT1_ ; -- Begin function _ZN2at6native12_GLOBAL__N_125multi_tensor_apply_kernelINS1_28TensorListScalarListMetadataIlLi1EEENS1_25BinaryOpScalarListFunctorIlLi1ELi1ELi0EEEJNS0_7minimumIlEEEEEvT_T0_DpT1_
	.p2align	8
	.type	_ZN2at6native12_GLOBAL__N_125multi_tensor_apply_kernelINS1_28TensorListScalarListMetadataIlLi1EEENS1_25BinaryOpScalarListFunctorIlLi1ELi1ELi0EEEJNS0_7minimumIlEEEEEvT_T0_DpT1_,@function
_ZN2at6native12_GLOBAL__N_125multi_tensor_apply_kernelINS1_28TensorListScalarListMetadataIlLi1EEENS1_25BinaryOpScalarListFunctorIlLi1ELi1ELi0EEEJNS0_7minimumIlEEEEEvT_T0_DpT1_: ; @_ZN2at6native12_GLOBAL__N_125multi_tensor_apply_kernelINS1_28TensorListScalarListMetadataIlLi1EEENS1_25BinaryOpScalarListFunctorIlLi1ELi1ELi0EEEJNS0_7minimumIlEEEEEvT_T0_DpT1_
; %bb.0:
	v_mov_b32_e32 v1, 0x800
	s_add_u32 s0, s4, s6
	s_addc_u32 s1, s5, 0
	s_mov_b32 s7, 0
	global_load_ubyte v1, v1, s[0:1] offset:256
	s_lshl_b64 s[0:1], s[6:7], 2
	s_add_u32 s0, s4, s0
	s_addc_u32 s1, s5, s1
	s_load_dword s0, s[0:1], 0xa40
	s_waitcnt vmcnt(0)
	v_readfirstlane_b32 s2, v1
	s_lshl_b32 s1, s2, 3
	s_clause 0x2
	s_load_dwordx2 s[8:9], s[4:5], s1 offset:0x600
	s_load_dwordx2 s[10:11], s[4:5], s1 offset:0x0
	;; [unrolled: 1-line block ×3, first 2 shown]
	s_waitcnt lgkmcnt(0)
	s_ashr_i32 s1, s0, 31
	s_lshl_b64 s[12:13], s[0:1], 19
	s_lshl_b64 s[0:1], s[0:1], 16
	s_and_b32 s6, s10, 31
	s_sub_u32 s14, s2, s0
	s_subb_u32 s15, s3, s1
	s_and_b32 s0, s2, 3
	s_mov_b32 s1, s7
	s_or_b64 s[0:1], s[6:7], s[0:1]
	s_cmp_eq_u64 s[0:1], 0
	s_cbranch_scc1 .LBB123_21
; %bb.1:
	v_cmp_lt_i64_e64 s0, s[14:15], 1
	s_and_b32 vcc_lo, exec_lo, s0
	s_cbranch_vccnz .LBB123_20
; %bb.2:
	s_load_dword s0, s[4:5], 0xf54
	v_cmp_gt_i64_e64 s1, 0x10000, s[14:15]
	v_cmp_gt_u64_e64 s2, 0x10000, s[14:15]
	v_lshlrev_b32_e32 v1, 3, v0
	s_and_b32 s1, s1, exec_lo
	s_cselect_b32 s7, s15, 0
	s_cselect_b32 s6, s14, 0x10000
	s_waitcnt lgkmcnt(0)
	s_and_b32 s0, s0, 0xffff
	s_and_b32 s1, s2, exec_lo
	v_add_co_u32 v13, s3, v0, s0
	s_cselect_b32 s17, s15, 0
	s_cselect_b32 s16, s14, 0x10000
	s_lshl_b32 s1, s0, 1
	v_lshlrev_b32_e32 v3, 3, v13
	s_mul_i32 s2, s0, 3
	s_lshl_b32 s20, s0, 2
	s_add_u32 s18, s10, s12
	v_add_co_u32 v14, s2, s2, v0
	v_add_co_u32 v17, s1, s1, v0
	s_addc_u32 s19, s11, s13
	v_add_co_ci_u32_e64 v15, null, 0, 0, s2
	v_add_co_u32 v1, s2, s18, v1
	v_add_co_ci_u32_e64 v18, null, 0, 0, s1
	v_add_co_u32 v3, s1, s18, v3
	v_add_co_ci_u32_e64 v2, null, s19, 0, s2
	v_add_co_ci_u32_e64 v16, null, 0, 0, s3
	;; [unrolled: 1-line block ×3, first 2 shown]
	s_lshl_b32 s21, s0, 5
	s_mul_i32 s22, s0, 24
	s_lshl_b32 s23, s0, 4
	s_mov_b64 s[18:19], 0
	s_branch .LBB123_4
.LBB123_3:                              ;   in Loop: Header=BB123_4 Depth=1
	s_or_b32 exec_lo, exec_lo, s0
	s_add_u32 s18, s18, s20
	s_addc_u32 s19, s19, 0
	v_add_co_u32 v1, vcc_lo, v1, s21
	v_cmp_lt_i64_e64 s0, s[18:19], s[6:7]
	v_add_co_ci_u32_e64 v2, null, 0, v2, vcc_lo
	v_add_co_u32 v3, vcc_lo, v3, s21
	v_add_co_ci_u32_e64 v4, null, 0, v4, vcc_lo
	s_and_b32 vcc_lo, exec_lo, s0
	s_cbranch_vccz .LBB123_20
.LBB123_4:                              ; =>This Inner Loop Header: Depth=1
	s_waitcnt vmcnt(0)
	v_add_co_u32 v7, s0, v0, s18
	v_add_co_ci_u32_e64 v8, null, 0, s19, s0
	v_mov_b32_e32 v5, 0
	v_mov_b32_e32 v9, 0
	;; [unrolled: 1-line block ×3, first 2 shown]
	v_cmp_gt_u64_e32 vcc_lo, s[16:17], v[7:8]
	v_mov_b32_e32 v10, 0
	s_and_saveexec_b32 s0, vcc_lo
	s_cbranch_execz .LBB123_6
; %bb.5:                                ;   in Loop: Header=BB123_4 Depth=1
	global_load_dwordx2 v[9:10], v[1:2], off
.LBB123_6:                              ;   in Loop: Header=BB123_4 Depth=1
	s_or_b32 exec_lo, exec_lo, s0
	v_add_co_u32 v7, s0, v13, s18
	v_add_co_ci_u32_e64 v8, null, s19, v16, s0
	v_cmp_gt_u64_e64 s0, s[16:17], v[7:8]
	s_and_saveexec_b32 s1, s0
	s_cbranch_execz .LBB123_8
; %bb.7:                                ;   in Loop: Header=BB123_4 Depth=1
	global_load_dwordx2 v[5:6], v[3:4], off
.LBB123_8:                              ;   in Loop: Header=BB123_4 Depth=1
	s_or_b32 exec_lo, exec_lo, s1
	v_add_co_u32 v11, s1, v17, s18
	v_add_co_ci_u32_e64 v12, null, s19, v18, s1
	v_mov_b32_e32 v7, 0
	v_mov_b32_e32 v8, 0
	v_cmp_gt_u64_e64 s1, s[16:17], v[11:12]
	v_mov_b32_e32 v11, 0
	v_mov_b32_e32 v12, 0
	s_and_saveexec_b32 s3, s1
	s_cbranch_execz .LBB123_10
; %bb.9:                                ;   in Loop: Header=BB123_4 Depth=1
	v_add_co_u32 v11, s2, v1, s23
	v_add_co_ci_u32_e64 v12, null, 0, v2, s2
	global_load_dwordx2 v[11:12], v[11:12], off
.LBB123_10:                             ;   in Loop: Header=BB123_4 Depth=1
	s_or_b32 exec_lo, exec_lo, s3
	v_add_co_u32 v19, s2, v14, s18
	v_add_co_ci_u32_e64 v20, null, s19, v15, s2
	v_cmp_gt_u64_e64 s2, s[16:17], v[19:20]
	s_and_saveexec_b32 s24, s2
	s_cbranch_execnz .LBB123_15
; %bb.11:                               ;   in Loop: Header=BB123_4 Depth=1
	s_or_b32 exec_lo, exec_lo, s24
	s_and_saveexec_b32 s3, vcc_lo
	s_cbranch_execnz .LBB123_16
.LBB123_12:                             ;   in Loop: Header=BB123_4 Depth=1
	s_or_b32 exec_lo, exec_lo, s3
	s_and_saveexec_b32 s3, s0
	s_cbranch_execnz .LBB123_17
.LBB123_13:                             ;   in Loop: Header=BB123_4 Depth=1
	s_or_b32 exec_lo, exec_lo, s3
	s_and_saveexec_b32 s0, s1
	s_cbranch_execnz .LBB123_18
.LBB123_14:                             ;   in Loop: Header=BB123_4 Depth=1
	s_or_b32 exec_lo, exec_lo, s0
	s_and_saveexec_b32 s0, s2
	s_cbranch_execz .LBB123_3
	s_branch .LBB123_19
.LBB123_15:                             ;   in Loop: Header=BB123_4 Depth=1
	v_add_co_u32 v7, s3, v1, s22
	v_add_co_ci_u32_e64 v8, null, 0, v2, s3
	global_load_dwordx2 v[7:8], v[7:8], off
	s_or_b32 exec_lo, exec_lo, s24
	s_and_saveexec_b32 s3, vcc_lo
	s_cbranch_execz .LBB123_12
.LBB123_16:                             ;   in Loop: Header=BB123_4 Depth=1
	s_waitcnt vmcnt(0)
	v_cmp_gt_i64_e32 vcc_lo, s[8:9], v[9:10]
	v_cndmask_b32_e32 v10, s9, v10, vcc_lo
	v_cndmask_b32_e32 v9, s8, v9, vcc_lo
	global_store_dwordx2 v[1:2], v[9:10], off
	s_or_b32 exec_lo, exec_lo, s3
	s_and_saveexec_b32 s3, s0
	s_cbranch_execz .LBB123_13
.LBB123_17:                             ;   in Loop: Header=BB123_4 Depth=1
	s_waitcnt vmcnt(0)
	v_cmp_gt_i64_e32 vcc_lo, s[8:9], v[5:6]
	v_cndmask_b32_e32 v6, s9, v6, vcc_lo
	v_cndmask_b32_e32 v5, s8, v5, vcc_lo
	global_store_dwordx2 v[3:4], v[5:6], off
	s_or_b32 exec_lo, exec_lo, s3
	s_and_saveexec_b32 s0, s1
	s_cbranch_execz .LBB123_14
.LBB123_18:                             ;   in Loop: Header=BB123_4 Depth=1
	s_waitcnt vmcnt(0)
	v_cmp_gt_i64_e32 vcc_lo, s[8:9], v[11:12]
	v_cndmask_b32_e32 v6, s9, v12, vcc_lo
	v_cndmask_b32_e32 v5, s8, v11, vcc_lo
	v_add_co_u32 v9, vcc_lo, v1, s23
	v_add_co_ci_u32_e64 v10, null, 0, v2, vcc_lo
	global_store_dwordx2 v[9:10], v[5:6], off
	s_or_b32 exec_lo, exec_lo, s0
	s_and_saveexec_b32 s0, s2
	s_cbranch_execz .LBB123_3
.LBB123_19:                             ;   in Loop: Header=BB123_4 Depth=1
	s_waitcnt vmcnt(0)
	v_cmp_gt_i64_e32 vcc_lo, s[8:9], v[7:8]
	v_cndmask_b32_e32 v6, s9, v8, vcc_lo
	v_cndmask_b32_e32 v5, s8, v7, vcc_lo
	v_add_co_u32 v7, vcc_lo, v1, s22
	v_add_co_ci_u32_e64 v8, null, 0, v2, vcc_lo
	global_store_dwordx2 v[7:8], v[5:6], off
	s_branch .LBB123_3
.LBB123_20:
	s_cbranch_execz .LBB123_22
	s_branch .LBB123_25
.LBB123_21:
.LBB123_22:
	v_cmp_gt_i64_e64 s0, 0x10000, s[14:15]
	v_mov_b32_e32 v2, 0
	v_lshlrev_b32_e32 v1, 2, v0
	s_mov_b32 s3, 0
	s_and_b32 s0, s0, exec_lo
	s_cselect_b32 s7, s15, 0
	s_cselect_b32 s6, s14, 0x10000
	s_mov_b32 s0, exec_lo
	v_cmpx_gt_i64_e64 s[6:7], v[1:2]
	s_cbranch_execz .LBB123_25
; %bb.23:
	s_load_dword s0, s[4:5], 0xf54
	v_lshlrev_b32_e32 v1, 5, v0
	s_waitcnt lgkmcnt(0)
	s_and_b32 s4, s0, 0xffff
	s_add_u32 s0, s10, s12
	s_addc_u32 s1, s11, s13
	v_add_co_u32 v3, s0, s0, v1
	v_add_co_ci_u32_e64 v4, null, s1, 0, s0
	v_mov_b32_e32 v1, v2
	v_add_co_u32 v2, vcc_lo, v3, 16
	v_add_co_ci_u32_e64 v3, null, 0, v4, vcc_lo
	s_lshl_b32 s5, s4, 5
	s_inst_prefetch 0x1
	.p2align	6
.LBB123_24:                             ; =>This Inner Loop Header: Depth=1
	s_clause 0x1
	global_load_dwordx4 v[4:7], v[2:3], off offset:-16
	global_load_dwordx4 v[8:11], v[2:3], off
	v_add_co_u32 v0, vcc_lo, v0, s4
	v_add_co_ci_u32_e64 v1, null, 0, v1, vcc_lo
	s_waitcnt vmcnt(2)
	v_lshlrev_b64 v[12:13], 2, v[0:1]
	s_waitcnt vmcnt(1)
	v_cmp_gt_i64_e32 vcc_lo, s[8:9], v[4:5]
	v_cmp_gt_i64_e64 s0, s[8:9], v[6:7]
	s_waitcnt vmcnt(0)
	v_cmp_gt_i64_e64 s1, s[8:9], v[8:9]
	v_cmp_gt_i64_e64 s2, s[8:9], v[10:11]
	v_cndmask_b32_e32 v5, s9, v5, vcc_lo
	v_cndmask_b32_e64 v7, s9, v7, s0
	v_cndmask_b32_e32 v4, s8, v4, vcc_lo
	v_cndmask_b32_e64 v6, s8, v6, s0
	v_cndmask_b32_e64 v9, s9, v9, s1
	;; [unrolled: 1-line block ×5, first 2 shown]
	v_cmp_le_i64_e32 vcc_lo, s[6:7], v[12:13]
	global_store_dwordx4 v[2:3], v[4:7], off offset:-16
	global_store_dwordx4 v[2:3], v[8:11], off
	v_add_co_u32 v2, s0, v2, s5
	v_add_co_ci_u32_e64 v3, null, 0, v3, s0
	s_or_b32 s3, vcc_lo, s3
	s_andn2_b32 exec_lo, exec_lo, s3
	s_cbranch_execnz .LBB123_24
.LBB123_25:
	s_inst_prefetch 0x2
	s_endpgm
	.section	.rodata,"a",@progbits
	.p2align	6, 0x0
	.amdhsa_kernel _ZN2at6native12_GLOBAL__N_125multi_tensor_apply_kernelINS1_28TensorListScalarListMetadataIlLi1EEENS1_25BinaryOpScalarListFunctorIlLi1ELi1ELi0EEEJNS0_7minimumIlEEEEEvT_T0_DpT1_
		.amdhsa_group_segment_fixed_size 0
		.amdhsa_private_segment_fixed_size 0
		.amdhsa_kernarg_size 4168
		.amdhsa_user_sgpr_count 6
		.amdhsa_user_sgpr_private_segment_buffer 1
		.amdhsa_user_sgpr_dispatch_ptr 0
		.amdhsa_user_sgpr_queue_ptr 0
		.amdhsa_user_sgpr_kernarg_segment_ptr 1
		.amdhsa_user_sgpr_dispatch_id 0
		.amdhsa_user_sgpr_flat_scratch_init 0
		.amdhsa_user_sgpr_private_segment_size 0
		.amdhsa_wavefront_size32 1
		.amdhsa_uses_dynamic_stack 0
		.amdhsa_system_sgpr_private_segment_wavefront_offset 0
		.amdhsa_system_sgpr_workgroup_id_x 1
		.amdhsa_system_sgpr_workgroup_id_y 0
		.amdhsa_system_sgpr_workgroup_id_z 0
		.amdhsa_system_sgpr_workgroup_info 0
		.amdhsa_system_vgpr_workitem_id 0
		.amdhsa_next_free_vgpr 21
		.amdhsa_next_free_sgpr 25
		.amdhsa_reserve_vcc 1
		.amdhsa_reserve_flat_scratch 0
		.amdhsa_float_round_mode_32 0
		.amdhsa_float_round_mode_16_64 0
		.amdhsa_float_denorm_mode_32 3
		.amdhsa_float_denorm_mode_16_64 3
		.amdhsa_dx10_clamp 1
		.amdhsa_ieee_mode 1
		.amdhsa_fp16_overflow 0
		.amdhsa_workgroup_processor_mode 1
		.amdhsa_memory_ordered 1
		.amdhsa_forward_progress 1
		.amdhsa_shared_vgpr_count 0
		.amdhsa_exception_fp_ieee_invalid_op 0
		.amdhsa_exception_fp_denorm_src 0
		.amdhsa_exception_fp_ieee_div_zero 0
		.amdhsa_exception_fp_ieee_overflow 0
		.amdhsa_exception_fp_ieee_underflow 0
		.amdhsa_exception_fp_ieee_inexact 0
		.amdhsa_exception_int_div_zero 0
	.end_amdhsa_kernel
	.section	.text._ZN2at6native12_GLOBAL__N_125multi_tensor_apply_kernelINS1_28TensorListScalarListMetadataIlLi1EEENS1_25BinaryOpScalarListFunctorIlLi1ELi1ELi0EEEJNS0_7minimumIlEEEEEvT_T0_DpT1_,"axG",@progbits,_ZN2at6native12_GLOBAL__N_125multi_tensor_apply_kernelINS1_28TensorListScalarListMetadataIlLi1EEENS1_25BinaryOpScalarListFunctorIlLi1ELi1ELi0EEEJNS0_7minimumIlEEEEEvT_T0_DpT1_,comdat
.Lfunc_end123:
	.size	_ZN2at6native12_GLOBAL__N_125multi_tensor_apply_kernelINS1_28TensorListScalarListMetadataIlLi1EEENS1_25BinaryOpScalarListFunctorIlLi1ELi1ELi0EEEJNS0_7minimumIlEEEEEvT_T0_DpT1_, .Lfunc_end123-_ZN2at6native12_GLOBAL__N_125multi_tensor_apply_kernelINS1_28TensorListScalarListMetadataIlLi1EEENS1_25BinaryOpScalarListFunctorIlLi1ELi1ELi0EEEJNS0_7minimumIlEEEEEvT_T0_DpT1_
                                        ; -- End function
	.set _ZN2at6native12_GLOBAL__N_125multi_tensor_apply_kernelINS1_28TensorListScalarListMetadataIlLi1EEENS1_25BinaryOpScalarListFunctorIlLi1ELi1ELi0EEEJNS0_7minimumIlEEEEEvT_T0_DpT1_.num_vgpr, 21
	.set _ZN2at6native12_GLOBAL__N_125multi_tensor_apply_kernelINS1_28TensorListScalarListMetadataIlLi1EEENS1_25BinaryOpScalarListFunctorIlLi1ELi1ELi0EEEJNS0_7minimumIlEEEEEvT_T0_DpT1_.num_agpr, 0
	.set _ZN2at6native12_GLOBAL__N_125multi_tensor_apply_kernelINS1_28TensorListScalarListMetadataIlLi1EEENS1_25BinaryOpScalarListFunctorIlLi1ELi1ELi0EEEJNS0_7minimumIlEEEEEvT_T0_DpT1_.numbered_sgpr, 25
	.set _ZN2at6native12_GLOBAL__N_125multi_tensor_apply_kernelINS1_28TensorListScalarListMetadataIlLi1EEENS1_25BinaryOpScalarListFunctorIlLi1ELi1ELi0EEEJNS0_7minimumIlEEEEEvT_T0_DpT1_.num_named_barrier, 0
	.set _ZN2at6native12_GLOBAL__N_125multi_tensor_apply_kernelINS1_28TensorListScalarListMetadataIlLi1EEENS1_25BinaryOpScalarListFunctorIlLi1ELi1ELi0EEEJNS0_7minimumIlEEEEEvT_T0_DpT1_.private_seg_size, 0
	.set _ZN2at6native12_GLOBAL__N_125multi_tensor_apply_kernelINS1_28TensorListScalarListMetadataIlLi1EEENS1_25BinaryOpScalarListFunctorIlLi1ELi1ELi0EEEJNS0_7minimumIlEEEEEvT_T0_DpT1_.uses_vcc, 1
	.set _ZN2at6native12_GLOBAL__N_125multi_tensor_apply_kernelINS1_28TensorListScalarListMetadataIlLi1EEENS1_25BinaryOpScalarListFunctorIlLi1ELi1ELi0EEEJNS0_7minimumIlEEEEEvT_T0_DpT1_.uses_flat_scratch, 0
	.set _ZN2at6native12_GLOBAL__N_125multi_tensor_apply_kernelINS1_28TensorListScalarListMetadataIlLi1EEENS1_25BinaryOpScalarListFunctorIlLi1ELi1ELi0EEEJNS0_7minimumIlEEEEEvT_T0_DpT1_.has_dyn_sized_stack, 0
	.set _ZN2at6native12_GLOBAL__N_125multi_tensor_apply_kernelINS1_28TensorListScalarListMetadataIlLi1EEENS1_25BinaryOpScalarListFunctorIlLi1ELi1ELi0EEEJNS0_7minimumIlEEEEEvT_T0_DpT1_.has_recursion, 0
	.set _ZN2at6native12_GLOBAL__N_125multi_tensor_apply_kernelINS1_28TensorListScalarListMetadataIlLi1EEENS1_25BinaryOpScalarListFunctorIlLi1ELi1ELi0EEEJNS0_7minimumIlEEEEEvT_T0_DpT1_.has_indirect_call, 0
	.section	.AMDGPU.csdata,"",@progbits
; Kernel info:
; codeLenInByte = 1220
; TotalNumSgprs: 27
; NumVgprs: 21
; ScratchSize: 0
; MemoryBound: 0
; FloatMode: 240
; IeeeMode: 1
; LDSByteSize: 0 bytes/workgroup (compile time only)
; SGPRBlocks: 0
; VGPRBlocks: 2
; NumSGPRsForWavesPerEU: 27
; NumVGPRsForWavesPerEU: 21
; Occupancy: 16
; WaveLimiterHint : 1
; COMPUTE_PGM_RSRC2:SCRATCH_EN: 0
; COMPUTE_PGM_RSRC2:USER_SGPR: 6
; COMPUTE_PGM_RSRC2:TRAP_HANDLER: 0
; COMPUTE_PGM_RSRC2:TGID_X_EN: 1
; COMPUTE_PGM_RSRC2:TGID_Y_EN: 0
; COMPUTE_PGM_RSRC2:TGID_Z_EN: 0
; COMPUTE_PGM_RSRC2:TIDIG_COMP_CNT: 0
	.section	.text._ZN2at6native12_GLOBAL__N_125multi_tensor_apply_kernelINS1_28TensorListScalarListMetadataIsLi1EEENS1_25BinaryOpScalarListFunctorIsLi1ELi1ELi0EEEJNS0_7minimumIsEEEEEvT_T0_DpT1_,"axG",@progbits,_ZN2at6native12_GLOBAL__N_125multi_tensor_apply_kernelINS1_28TensorListScalarListMetadataIsLi1EEENS1_25BinaryOpScalarListFunctorIsLi1ELi1ELi0EEEJNS0_7minimumIsEEEEEvT_T0_DpT1_,comdat
	.globl	_ZN2at6native12_GLOBAL__N_125multi_tensor_apply_kernelINS1_28TensorListScalarListMetadataIsLi1EEENS1_25BinaryOpScalarListFunctorIsLi1ELi1ELi0EEEJNS0_7minimumIsEEEEEvT_T0_DpT1_ ; -- Begin function _ZN2at6native12_GLOBAL__N_125multi_tensor_apply_kernelINS1_28TensorListScalarListMetadataIsLi1EEENS1_25BinaryOpScalarListFunctorIsLi1ELi1ELi0EEEJNS0_7minimumIsEEEEEvT_T0_DpT1_
	.p2align	8
	.type	_ZN2at6native12_GLOBAL__N_125multi_tensor_apply_kernelINS1_28TensorListScalarListMetadataIsLi1EEENS1_25BinaryOpScalarListFunctorIsLi1ELi1ELi0EEEJNS0_7minimumIsEEEEEvT_T0_DpT1_,@function
_ZN2at6native12_GLOBAL__N_125multi_tensor_apply_kernelINS1_28TensorListScalarListMetadataIsLi1EEENS1_25BinaryOpScalarListFunctorIsLi1ELi1ELi0EEEJNS0_7minimumIsEEEEEvT_T0_DpT1_: ; @_ZN2at6native12_GLOBAL__N_125multi_tensor_apply_kernelINS1_28TensorListScalarListMetadataIsLi1EEENS1_25BinaryOpScalarListFunctorIsLi1ELi1ELi0EEEJNS0_7minimumIsEEEEEvT_T0_DpT1_
; %bb.0:
	v_mov_b32_e32 v1, s6
	s_add_u32 s0, s4, s6
	s_mul_i32 s1, s6, 3
	s_mul_hi_u32 s2, s6, 3
	s_addc_u32 s3, s5, 0
	global_load_ubyte v1, v1, s[4:5] offset:1728
	s_add_u32 s0, s0, s1
	s_addc_u32 s1, s3, s2
	s_mov_b32 s13, 0
	s_load_dword s0, s[0:1], 0x800
	s_waitcnt vmcnt(0)
	v_readfirstlane_b32 s1, v1
	v_mul_lo_u32 v2, v1, -6
	v_mul_hi_i32 v3, v1, -6
	s_lshl_b32 s6, s1, 3
	s_waitcnt lgkmcnt(0)
	s_ashr_i32 s1, s0, 31
	s_add_u32 s7, s4, s6
	s_addc_u32 s8, s5, 0
	v_add_co_u32 v1, vcc_lo, s7, v2
	v_add_co_ci_u32_e64 v2, null, s8, v3, vcc_lo
	s_load_dwordx2 s[2:3], s[4:5], s6 offset:0x300
	s_lshl_b64 s[8:9], s[0:1], 17
	s_lshl_b64 s[0:1], s[0:1], 16
	global_load_ushort v5, v[1:2], off offset:1536
	s_load_dwordx2 s[6:7], s[4:5], s6 offset:0x0
	s_waitcnt lgkmcnt(0)
	s_and_b32 s12, s6, 7
	s_sub_u32 s10, s2, s0
	s_subb_u32 s11, s3, s1
	s_and_b32 s0, s2, 3
	s_mov_b32 s1, s13
	s_or_b64 s[0:1], s[12:13], s[0:1]
	s_cmp_eq_u64 s[0:1], 0
	s_cbranch_scc1 .LBB124_21
; %bb.1:
	v_cmp_lt_i64_e64 s0, s[10:11], 1
	s_and_b32 vcc_lo, exec_lo, s0
	s_cbranch_vccnz .LBB124_20
; %bb.2:
	s_load_dword s0, s[4:5], 0xd14
	v_cmp_gt_i64_e64 s1, 0x10000, s[10:11]
	v_cmp_gt_u64_e64 s2, 0x10000, s[10:11]
	v_lshlrev_b32_e32 v1, 1, v0
	s_and_b32 s1, s1, exec_lo
	s_cselect_b32 s13, s11, 0
	s_cselect_b32 s12, s10, 0x10000
	s_waitcnt lgkmcnt(0)
	s_and_b32 s0, s0, 0xffff
	s_and_b32 s1, s2, exec_lo
	v_add_co_u32 v6, s3, v0, s0
	s_cselect_b32 s15, s11, 0
	s_cselect_b32 s14, s10, 0x10000
	s_lshl_b32 s1, s0, 1
	v_lshlrev_b32_e32 v3, 1, v6
	s_mul_i32 s2, s0, 3
	s_lshl_b32 s18, s0, 2
	s_add_u32 s16, s6, s8
	v_add_co_u32 v7, s2, s2, v0
	v_add_co_u32 v10, s1, s1, v0
	s_addc_u32 s17, s7, s9
	v_add_co_ci_u32_e64 v8, null, 0, 0, s2
	v_add_co_u32 v1, s2, s16, v1
	v_add_co_ci_u32_e64 v11, null, 0, 0, s1
	v_add_co_u32 v3, s1, s16, v3
	v_add_co_ci_u32_e64 v2, null, s17, 0, s2
	v_add_co_ci_u32_e64 v9, null, 0, 0, s3
	;; [unrolled: 1-line block ×3, first 2 shown]
	s_lshl_b32 s19, s0, 3
	s_mul_i32 s20, s0, 6
	s_mov_b64 s[16:17], 0
	s_branch .LBB124_4
.LBB124_3:                              ;   in Loop: Header=BB124_4 Depth=1
	s_or_b32 exec_lo, exec_lo, s0
	s_add_u32 s16, s16, s18
	s_addc_u32 s17, s17, 0
	v_add_co_u32 v1, vcc_lo, v1, s19
	v_cmp_lt_i64_e64 s0, s[16:17], s[12:13]
	v_add_co_ci_u32_e64 v2, null, 0, v2, vcc_lo
	v_add_co_u32 v3, vcc_lo, v3, s19
	v_add_co_ci_u32_e64 v4, null, 0, v4, vcc_lo
	s_and_b32 vcc_lo, exec_lo, s0
	s_cbranch_vccz .LBB124_20
.LBB124_4:                              ; =>This Inner Loop Header: Depth=1
	s_waitcnt vmcnt(0)
	v_add_co_u32 v12, s0, v0, s16
	v_add_co_ci_u32_e64 v13, null, 0, s17, s0
	v_cmp_gt_u64_e32 vcc_lo, s[14:15], v[12:13]
	v_mov_b32_e32 v12, 0
	s_and_saveexec_b32 s0, vcc_lo
	s_cbranch_execz .LBB124_6
; %bb.5:                                ;   in Loop: Header=BB124_4 Depth=1
	global_load_ushort v12, v[1:2], off
.LBB124_6:                              ;   in Loop: Header=BB124_4 Depth=1
	s_or_b32 exec_lo, exec_lo, s0
	v_add_co_u32 v13, s0, v6, s16
	v_add_co_ci_u32_e64 v14, null, s17, v9, s0
	v_cmp_gt_u64_e64 s0, s[14:15], v[13:14]
	v_mov_b32_e32 v13, 0
	v_mov_b32_e32 v14, 0
	s_and_saveexec_b32 s1, s0
	s_cbranch_execz .LBB124_8
; %bb.7:                                ;   in Loop: Header=BB124_4 Depth=1
	global_load_ushort v14, v[3:4], off
.LBB124_8:                              ;   in Loop: Header=BB124_4 Depth=1
	s_or_b32 exec_lo, exec_lo, s1
	v_add_co_u32 v15, s1, v10, s16
	v_add_co_ci_u32_e64 v16, null, s17, v11, s1
	v_cmp_gt_u64_e64 s1, s[14:15], v[15:16]
	s_and_saveexec_b32 s3, s1
	s_cbranch_execz .LBB124_10
; %bb.9:                                ;   in Loop: Header=BB124_4 Depth=1
	v_add_co_u32 v15, s2, v1, s18
	v_add_co_ci_u32_e64 v16, null, 0, v2, s2
	global_load_ushort v13, v[15:16], off
.LBB124_10:                             ;   in Loop: Header=BB124_4 Depth=1
	s_or_b32 exec_lo, exec_lo, s3
	v_add_co_u32 v15, s2, v7, s16
	v_add_co_ci_u32_e64 v16, null, s17, v8, s2
	v_cmp_gt_u64_e64 s2, s[14:15], v[15:16]
	v_mov_b32_e32 v15, 0
	s_and_saveexec_b32 s21, s2
	s_cbranch_execnz .LBB124_15
; %bb.11:                               ;   in Loop: Header=BB124_4 Depth=1
	s_or_b32 exec_lo, exec_lo, s21
	s_and_saveexec_b32 s3, vcc_lo
	s_cbranch_execnz .LBB124_16
.LBB124_12:                             ;   in Loop: Header=BB124_4 Depth=1
	s_or_b32 exec_lo, exec_lo, s3
	s_and_saveexec_b32 s3, s0
	s_cbranch_execnz .LBB124_17
.LBB124_13:                             ;   in Loop: Header=BB124_4 Depth=1
	s_or_b32 exec_lo, exec_lo, s3
	s_and_saveexec_b32 s0, s1
	s_cbranch_execnz .LBB124_18
.LBB124_14:                             ;   in Loop: Header=BB124_4 Depth=1
	s_or_b32 exec_lo, exec_lo, s0
	s_and_saveexec_b32 s0, s2
	s_cbranch_execz .LBB124_3
	s_branch .LBB124_19
.LBB124_15:                             ;   in Loop: Header=BB124_4 Depth=1
	v_add_co_u32 v15, s3, v1, s20
	v_add_co_ci_u32_e64 v16, null, 0, v2, s3
	global_load_ushort v15, v[15:16], off
	s_or_b32 exec_lo, exec_lo, s21
	s_and_saveexec_b32 s3, vcc_lo
	s_cbranch_execz .LBB124_12
.LBB124_16:                             ;   in Loop: Header=BB124_4 Depth=1
	s_waitcnt vmcnt(0)
	v_min_i16 v12, v12, v5
	global_store_short v[1:2], v12, off
	s_or_b32 exec_lo, exec_lo, s3
	s_and_saveexec_b32 s3, s0
	s_cbranch_execz .LBB124_13
.LBB124_17:                             ;   in Loop: Header=BB124_4 Depth=1
	s_waitcnt vmcnt(0)
	v_min_i16 v12, v14, v5
	global_store_short v[3:4], v12, off
	s_or_b32 exec_lo, exec_lo, s3
	s_and_saveexec_b32 s0, s1
	s_cbranch_execz .LBB124_14
.LBB124_18:                             ;   in Loop: Header=BB124_4 Depth=1
	s_waitcnt vmcnt(0)
	v_add_co_u32 v12, vcc_lo, v1, s18
	v_min_i16 v14, v13, v5
	v_add_co_ci_u32_e64 v13, null, 0, v2, vcc_lo
	global_store_short v[12:13], v14, off
	s_or_b32 exec_lo, exec_lo, s0
	s_and_saveexec_b32 s0, s2
	s_cbranch_execz .LBB124_3
.LBB124_19:                             ;   in Loop: Header=BB124_4 Depth=1
	s_waitcnt vmcnt(0)
	v_add_co_u32 v12, vcc_lo, v1, s20
	v_min_i16 v14, v15, v5
	v_add_co_ci_u32_e64 v13, null, 0, v2, vcc_lo
	global_store_short v[12:13], v14, off
	s_branch .LBB124_3
.LBB124_20:
	s_cbranch_execz .LBB124_22
	s_branch .LBB124_25
.LBB124_21:
.LBB124_22:
	v_cmp_gt_i64_e64 s0, 0x10000, s[10:11]
	v_mov_b32_e32 v2, 0
	v_lshlrev_b32_e32 v1, 2, v0
	s_mov_b32 s1, 0
	s_and_b32 s0, s0, exec_lo
	s_cselect_b32 s3, s11, 0
	s_cselect_b32 s2, s10, 0x10000
	s_mov_b32 s0, exec_lo
	v_cmpx_gt_i64_e64 s[2:3], v[1:2]
	s_cbranch_execz .LBB124_25
; %bb.23:
	s_load_dword s0, s[4:5], 0xd14
	v_mov_b32_e32 v1, v2
	v_lshlrev_b32_e32 v2, 3, v0
	s_waitcnt vmcnt(0)
	v_and_b32_e32 v3, 0xffff, v5
	v_lshl_or_b32 v4, v5, 16, v3
	s_waitcnt lgkmcnt(0)
	s_and_b32 s4, s0, 0xffff
	s_add_u32 s0, s6, s8
	s_addc_u32 s5, s7, s9
	v_add_co_u32 v2, s0, s0, v2
	v_add_co_ci_u32_e64 v3, null, s5, 0, s0
	s_lshl_b32 s5, s4, 3
	.p2align	6
.LBB124_24:                             ; =>This Inner Loop Header: Depth=1
	global_load_dwordx2 v[5:6], v[2:3], off
	v_add_co_u32 v0, vcc_lo, v0, s4
	v_add_co_ci_u32_e64 v1, null, 0, v1, vcc_lo
	v_lshlrev_b64 v[7:8], 2, v[0:1]
	v_cmp_le_i64_e32 vcc_lo, s[2:3], v[7:8]
	s_or_b32 s1, vcc_lo, s1
	s_waitcnt vmcnt(0)
	v_bfi_b32 v5, 0xffff, v5, v5
	v_pk_min_i16 v6, v6, v4
	v_pk_min_i16 v5, v5, v4
	global_store_dwordx2 v[2:3], v[5:6], off
	v_add_co_u32 v2, s0, v2, s5
	v_add_co_ci_u32_e64 v3, null, 0, v3, s0
	s_andn2_b32 exec_lo, exec_lo, s1
	s_cbranch_execnz .LBB124_24
.LBB124_25:
	s_endpgm
	.section	.rodata,"a",@progbits
	.p2align	6, 0x0
	.amdhsa_kernel _ZN2at6native12_GLOBAL__N_125multi_tensor_apply_kernelINS1_28TensorListScalarListMetadataIsLi1EEENS1_25BinaryOpScalarListFunctorIsLi1ELi1ELi0EEEJNS0_7minimumIsEEEEEvT_T0_DpT1_
		.amdhsa_group_segment_fixed_size 0
		.amdhsa_private_segment_fixed_size 0
		.amdhsa_kernarg_size 3592
		.amdhsa_user_sgpr_count 6
		.amdhsa_user_sgpr_private_segment_buffer 1
		.amdhsa_user_sgpr_dispatch_ptr 0
		.amdhsa_user_sgpr_queue_ptr 0
		.amdhsa_user_sgpr_kernarg_segment_ptr 1
		.amdhsa_user_sgpr_dispatch_id 0
		.amdhsa_user_sgpr_flat_scratch_init 0
		.amdhsa_user_sgpr_private_segment_size 0
		.amdhsa_wavefront_size32 1
		.amdhsa_uses_dynamic_stack 0
		.amdhsa_system_sgpr_private_segment_wavefront_offset 0
		.amdhsa_system_sgpr_workgroup_id_x 1
		.amdhsa_system_sgpr_workgroup_id_y 0
		.amdhsa_system_sgpr_workgroup_id_z 0
		.amdhsa_system_sgpr_workgroup_info 0
		.amdhsa_system_vgpr_workitem_id 0
		.amdhsa_next_free_vgpr 17
		.amdhsa_next_free_sgpr 22
		.amdhsa_reserve_vcc 1
		.amdhsa_reserve_flat_scratch 0
		.amdhsa_float_round_mode_32 0
		.amdhsa_float_round_mode_16_64 0
		.amdhsa_float_denorm_mode_32 3
		.amdhsa_float_denorm_mode_16_64 3
		.amdhsa_dx10_clamp 1
		.amdhsa_ieee_mode 1
		.amdhsa_fp16_overflow 0
		.amdhsa_workgroup_processor_mode 1
		.amdhsa_memory_ordered 1
		.amdhsa_forward_progress 1
		.amdhsa_shared_vgpr_count 0
		.amdhsa_exception_fp_ieee_invalid_op 0
		.amdhsa_exception_fp_denorm_src 0
		.amdhsa_exception_fp_ieee_div_zero 0
		.amdhsa_exception_fp_ieee_overflow 0
		.amdhsa_exception_fp_ieee_underflow 0
		.amdhsa_exception_fp_ieee_inexact 0
		.amdhsa_exception_int_div_zero 0
	.end_amdhsa_kernel
	.section	.text._ZN2at6native12_GLOBAL__N_125multi_tensor_apply_kernelINS1_28TensorListScalarListMetadataIsLi1EEENS1_25BinaryOpScalarListFunctorIsLi1ELi1ELi0EEEJNS0_7minimumIsEEEEEvT_T0_DpT1_,"axG",@progbits,_ZN2at6native12_GLOBAL__N_125multi_tensor_apply_kernelINS1_28TensorListScalarListMetadataIsLi1EEENS1_25BinaryOpScalarListFunctorIsLi1ELi1ELi0EEEJNS0_7minimumIsEEEEEvT_T0_DpT1_,comdat
.Lfunc_end124:
	.size	_ZN2at6native12_GLOBAL__N_125multi_tensor_apply_kernelINS1_28TensorListScalarListMetadataIsLi1EEENS1_25BinaryOpScalarListFunctorIsLi1ELi1ELi0EEEJNS0_7minimumIsEEEEEvT_T0_DpT1_, .Lfunc_end124-_ZN2at6native12_GLOBAL__N_125multi_tensor_apply_kernelINS1_28TensorListScalarListMetadataIsLi1EEENS1_25BinaryOpScalarListFunctorIsLi1ELi1ELi0EEEJNS0_7minimumIsEEEEEvT_T0_DpT1_
                                        ; -- End function
	.set _ZN2at6native12_GLOBAL__N_125multi_tensor_apply_kernelINS1_28TensorListScalarListMetadataIsLi1EEENS1_25BinaryOpScalarListFunctorIsLi1ELi1ELi0EEEJNS0_7minimumIsEEEEEvT_T0_DpT1_.num_vgpr, 17
	.set _ZN2at6native12_GLOBAL__N_125multi_tensor_apply_kernelINS1_28TensorListScalarListMetadataIsLi1EEENS1_25BinaryOpScalarListFunctorIsLi1ELi1ELi0EEEJNS0_7minimumIsEEEEEvT_T0_DpT1_.num_agpr, 0
	.set _ZN2at6native12_GLOBAL__N_125multi_tensor_apply_kernelINS1_28TensorListScalarListMetadataIsLi1EEENS1_25BinaryOpScalarListFunctorIsLi1ELi1ELi0EEEJNS0_7minimumIsEEEEEvT_T0_DpT1_.numbered_sgpr, 22
	.set _ZN2at6native12_GLOBAL__N_125multi_tensor_apply_kernelINS1_28TensorListScalarListMetadataIsLi1EEENS1_25BinaryOpScalarListFunctorIsLi1ELi1ELi0EEEJNS0_7minimumIsEEEEEvT_T0_DpT1_.num_named_barrier, 0
	.set _ZN2at6native12_GLOBAL__N_125multi_tensor_apply_kernelINS1_28TensorListScalarListMetadataIsLi1EEENS1_25BinaryOpScalarListFunctorIsLi1ELi1ELi0EEEJNS0_7minimumIsEEEEEvT_T0_DpT1_.private_seg_size, 0
	.set _ZN2at6native12_GLOBAL__N_125multi_tensor_apply_kernelINS1_28TensorListScalarListMetadataIsLi1EEENS1_25BinaryOpScalarListFunctorIsLi1ELi1ELi0EEEJNS0_7minimumIsEEEEEvT_T0_DpT1_.uses_vcc, 1
	.set _ZN2at6native12_GLOBAL__N_125multi_tensor_apply_kernelINS1_28TensorListScalarListMetadataIsLi1EEENS1_25BinaryOpScalarListFunctorIsLi1ELi1ELi0EEEJNS0_7minimumIsEEEEEvT_T0_DpT1_.uses_flat_scratch, 0
	.set _ZN2at6native12_GLOBAL__N_125multi_tensor_apply_kernelINS1_28TensorListScalarListMetadataIsLi1EEENS1_25BinaryOpScalarListFunctorIsLi1ELi1ELi0EEEJNS0_7minimumIsEEEEEvT_T0_DpT1_.has_dyn_sized_stack, 0
	.set _ZN2at6native12_GLOBAL__N_125multi_tensor_apply_kernelINS1_28TensorListScalarListMetadataIsLi1EEENS1_25BinaryOpScalarListFunctorIsLi1ELi1ELi0EEEJNS0_7minimumIsEEEEEvT_T0_DpT1_.has_recursion, 0
	.set _ZN2at6native12_GLOBAL__N_125multi_tensor_apply_kernelINS1_28TensorListScalarListMetadataIsLi1EEENS1_25BinaryOpScalarListFunctorIsLi1ELi1ELi0EEEJNS0_7minimumIsEEEEEvT_T0_DpT1_.has_indirect_call, 0
	.section	.AMDGPU.csdata,"",@progbits
; Kernel info:
; codeLenInByte = 1196
; TotalNumSgprs: 24
; NumVgprs: 17
; ScratchSize: 0
; MemoryBound: 0
; FloatMode: 240
; IeeeMode: 1
; LDSByteSize: 0 bytes/workgroup (compile time only)
; SGPRBlocks: 0
; VGPRBlocks: 2
; NumSGPRsForWavesPerEU: 24
; NumVGPRsForWavesPerEU: 17
; Occupancy: 16
; WaveLimiterHint : 0
; COMPUTE_PGM_RSRC2:SCRATCH_EN: 0
; COMPUTE_PGM_RSRC2:USER_SGPR: 6
; COMPUTE_PGM_RSRC2:TRAP_HANDLER: 0
; COMPUTE_PGM_RSRC2:TGID_X_EN: 1
; COMPUTE_PGM_RSRC2:TGID_Y_EN: 0
; COMPUTE_PGM_RSRC2:TGID_Z_EN: 0
; COMPUTE_PGM_RSRC2:TIDIG_COMP_CNT: 0
	.section	.text._ZN2at6native12_GLOBAL__N_125multi_tensor_apply_kernelINS1_28TensorListScalarListMetadataIdLi1EEENS1_25BinaryOpScalarListFunctorIdLi1ELi1ELi0EEEJNS0_7minimumIdEEEEEvT_T0_DpT1_,"axG",@progbits,_ZN2at6native12_GLOBAL__N_125multi_tensor_apply_kernelINS1_28TensorListScalarListMetadataIdLi1EEENS1_25BinaryOpScalarListFunctorIdLi1ELi1ELi0EEEJNS0_7minimumIdEEEEEvT_T0_DpT1_,comdat
	.globl	_ZN2at6native12_GLOBAL__N_125multi_tensor_apply_kernelINS1_28TensorListScalarListMetadataIdLi1EEENS1_25BinaryOpScalarListFunctorIdLi1ELi1ELi0EEEJNS0_7minimumIdEEEEEvT_T0_DpT1_ ; -- Begin function _ZN2at6native12_GLOBAL__N_125multi_tensor_apply_kernelINS1_28TensorListScalarListMetadataIdLi1EEENS1_25BinaryOpScalarListFunctorIdLi1ELi1ELi0EEEJNS0_7minimumIdEEEEEvT_T0_DpT1_
	.p2align	8
	.type	_ZN2at6native12_GLOBAL__N_125multi_tensor_apply_kernelINS1_28TensorListScalarListMetadataIdLi1EEENS1_25BinaryOpScalarListFunctorIdLi1ELi1ELi0EEEJNS0_7minimumIdEEEEEvT_T0_DpT1_,@function
_ZN2at6native12_GLOBAL__N_125multi_tensor_apply_kernelINS1_28TensorListScalarListMetadataIdLi1EEENS1_25BinaryOpScalarListFunctorIdLi1ELi1ELi0EEEJNS0_7minimumIdEEEEEvT_T0_DpT1_: ; @_ZN2at6native12_GLOBAL__N_125multi_tensor_apply_kernelINS1_28TensorListScalarListMetadataIdLi1EEENS1_25BinaryOpScalarListFunctorIdLi1ELi1ELi0EEEJNS0_7minimumIdEEEEEvT_T0_DpT1_
; %bb.0:
	v_mov_b32_e32 v1, 0x800
	s_add_u32 s0, s4, s6
	s_addc_u32 s1, s5, 0
	s_mov_b32 s7, 0
	global_load_ubyte v1, v1, s[0:1] offset:256
	s_lshl_b64 s[0:1], s[6:7], 2
	s_add_u32 s0, s4, s0
	s_addc_u32 s1, s5, s1
	s_load_dword s0, s[0:1], 0xa40
	s_waitcnt vmcnt(0)
	v_readfirstlane_b32 s2, v1
	s_lshl_b32 s1, s2, 3
	s_clause 0x2
	s_load_dwordx2 s[8:9], s[4:5], s1 offset:0x600
	s_load_dwordx2 s[10:11], s[4:5], s1 offset:0x0
	;; [unrolled: 1-line block ×3, first 2 shown]
	s_waitcnt lgkmcnt(0)
	s_ashr_i32 s1, s0, 31
	s_lshl_b64 s[12:13], s[0:1], 19
	s_lshl_b64 s[0:1], s[0:1], 16
	s_and_b32 s6, s10, 31
	s_sub_u32 s14, s2, s0
	s_subb_u32 s15, s3, s1
	s_and_b32 s0, s2, 3
	s_mov_b32 s1, s7
	s_or_b64 s[0:1], s[6:7], s[0:1]
	s_cmp_eq_u64 s[0:1], 0
	s_cbranch_scc1 .LBB125_21
; %bb.1:
	v_cmp_lt_i64_e64 s0, s[14:15], 1
	s_and_b32 vcc_lo, exec_lo, s0
	s_cbranch_vccnz .LBB125_20
; %bb.2:
	s_load_dword s0, s[4:5], 0xf54
	v_cmp_gt_i64_e64 s1, 0x10000, s[14:15]
	v_cmp_gt_u64_e64 s2, 0x10000, s[14:15]
	v_lshlrev_b32_e32 v1, 3, v0
	s_and_b32 s1, s1, exec_lo
	s_cselect_b32 s7, s15, 0
	s_cselect_b32 s6, s14, 0x10000
	s_waitcnt lgkmcnt(0)
	s_and_b32 s0, s0, 0xffff
	s_and_b32 s1, s2, exec_lo
	v_add_co_u32 v13, s3, v0, s0
	s_cselect_b32 s17, s15, 0
	s_cselect_b32 s16, s14, 0x10000
	s_lshl_b32 s1, s0, 1
	v_lshlrev_b32_e32 v3, 3, v13
	s_mul_i32 s2, s0, 3
	s_lshl_b32 s20, s0, 2
	s_add_u32 s18, s10, s12
	v_add_co_u32 v14, s2, s2, v0
	v_add_co_u32 v17, s1, s1, v0
	s_addc_u32 s19, s11, s13
	v_add_co_ci_u32_e64 v15, null, 0, 0, s2
	v_add_co_u32 v1, s2, s18, v1
	v_add_co_ci_u32_e64 v18, null, 0, 0, s1
	v_add_co_u32 v3, s1, s18, v3
	v_add_co_ci_u32_e64 v2, null, s19, 0, s2
	v_add_co_ci_u32_e64 v16, null, 0, 0, s3
	;; [unrolled: 1-line block ×3, first 2 shown]
	s_lshl_b32 s21, s0, 5
	s_mul_i32 s22, s0, 24
	s_lshl_b32 s23, s0, 4
	s_mov_b64 s[18:19], 0
	s_branch .LBB125_4
.LBB125_3:                              ;   in Loop: Header=BB125_4 Depth=1
	s_or_b32 exec_lo, exec_lo, s1
	s_add_u32 s18, s18, s20
	s_addc_u32 s19, s19, 0
	v_add_co_u32 v1, vcc_lo, v1, s21
	v_cmp_lt_i64_e64 s0, s[18:19], s[6:7]
	v_add_co_ci_u32_e64 v2, null, 0, v2, vcc_lo
	v_add_co_u32 v3, vcc_lo, v3, s21
	v_add_co_ci_u32_e64 v4, null, 0, v4, vcc_lo
	s_and_b32 vcc_lo, exec_lo, s0
	s_cbranch_vccz .LBB125_20
.LBB125_4:                              ; =>This Inner Loop Header: Depth=1
	s_waitcnt vmcnt(0)
	v_add_co_u32 v7, s0, v0, s18
	v_add_co_ci_u32_e64 v8, null, 0, s19, s0
	v_mov_b32_e32 v5, 0
	v_mov_b32_e32 v9, 0
	;; [unrolled: 1-line block ×3, first 2 shown]
	v_cmp_gt_u64_e32 vcc_lo, s[16:17], v[7:8]
	v_mov_b32_e32 v10, 0
	s_and_saveexec_b32 s0, vcc_lo
	s_cbranch_execz .LBB125_6
; %bb.5:                                ;   in Loop: Header=BB125_4 Depth=1
	global_load_dwordx2 v[9:10], v[1:2], off
.LBB125_6:                              ;   in Loop: Header=BB125_4 Depth=1
	s_or_b32 exec_lo, exec_lo, s0
	v_add_co_u32 v7, s0, v13, s18
	v_add_co_ci_u32_e64 v8, null, s19, v16, s0
	v_cmp_gt_u64_e64 s0, s[16:17], v[7:8]
	s_and_saveexec_b32 s1, s0
	s_cbranch_execz .LBB125_8
; %bb.7:                                ;   in Loop: Header=BB125_4 Depth=1
	global_load_dwordx2 v[5:6], v[3:4], off
.LBB125_8:                              ;   in Loop: Header=BB125_4 Depth=1
	s_or_b32 exec_lo, exec_lo, s1
	v_add_co_u32 v11, s1, v17, s18
	v_add_co_ci_u32_e64 v12, null, s19, v18, s1
	v_mov_b32_e32 v7, 0
	v_mov_b32_e32 v8, 0
	v_cmp_gt_u64_e64 s1, s[16:17], v[11:12]
	v_mov_b32_e32 v11, 0
	v_mov_b32_e32 v12, 0
	s_and_saveexec_b32 s3, s1
	s_cbranch_execz .LBB125_10
; %bb.9:                                ;   in Loop: Header=BB125_4 Depth=1
	v_add_co_u32 v11, s2, v1, s23
	v_add_co_ci_u32_e64 v12, null, 0, v2, s2
	global_load_dwordx2 v[11:12], v[11:12], off
.LBB125_10:                             ;   in Loop: Header=BB125_4 Depth=1
	s_or_b32 exec_lo, exec_lo, s3
	v_add_co_u32 v19, s2, v14, s18
	v_add_co_ci_u32_e64 v20, null, s19, v15, s2
	v_cmp_gt_u64_e64 s2, s[16:17], v[19:20]
	s_and_saveexec_b32 s24, s2
	s_cbranch_execnz .LBB125_15
; %bb.11:                               ;   in Loop: Header=BB125_4 Depth=1
	s_or_b32 exec_lo, exec_lo, s24
	s_and_saveexec_b32 s24, vcc_lo
	s_cbranch_execnz .LBB125_16
.LBB125_12:                             ;   in Loop: Header=BB125_4 Depth=1
	s_or_b32 exec_lo, exec_lo, s24
	s_and_saveexec_b32 s3, s0
	s_cbranch_execnz .LBB125_17
.LBB125_13:                             ;   in Loop: Header=BB125_4 Depth=1
	s_or_b32 exec_lo, exec_lo, s3
	s_and_saveexec_b32 s3, s1
	s_cbranch_execnz .LBB125_18
.LBB125_14:                             ;   in Loop: Header=BB125_4 Depth=1
	s_or_b32 exec_lo, exec_lo, s3
	s_and_saveexec_b32 s1, s2
	s_cbranch_execz .LBB125_3
	s_branch .LBB125_19
.LBB125_15:                             ;   in Loop: Header=BB125_4 Depth=1
	v_add_co_u32 v7, s3, v1, s22
	v_add_co_ci_u32_e64 v8, null, 0, v2, s3
	global_load_dwordx2 v[7:8], v[7:8], off
	s_or_b32 exec_lo, exec_lo, s24
	s_and_saveexec_b32 s24, vcc_lo
	s_cbranch_execz .LBB125_12
.LBB125_16:                             ;   in Loop: Header=BB125_4 Depth=1
	s_waitcnt vmcnt(0)
	v_cmp_u_f64_e32 vcc_lo, v[9:10], v[9:10]
	v_cmp_gt_f64_e64 s3, s[8:9], v[9:10]
	s_or_b32 vcc_lo, vcc_lo, s3
	v_cndmask_b32_e32 v10, s9, v10, vcc_lo
	v_cndmask_b32_e32 v9, s8, v9, vcc_lo
	global_store_dwordx2 v[1:2], v[9:10], off
	s_or_b32 exec_lo, exec_lo, s24
	s_and_saveexec_b32 s3, s0
	s_cbranch_execz .LBB125_13
.LBB125_17:                             ;   in Loop: Header=BB125_4 Depth=1
	s_waitcnt vmcnt(0)
	v_cmp_u_f64_e32 vcc_lo, v[5:6], v[5:6]
	v_cmp_gt_f64_e64 s0, s[8:9], v[5:6]
	s_or_b32 vcc_lo, vcc_lo, s0
	v_cndmask_b32_e32 v6, s9, v6, vcc_lo
	v_cndmask_b32_e32 v5, s8, v5, vcc_lo
	global_store_dwordx2 v[3:4], v[5:6], off
	s_or_b32 exec_lo, exec_lo, s3
	s_and_saveexec_b32 s3, s1
	s_cbranch_execz .LBB125_14
.LBB125_18:                             ;   in Loop: Header=BB125_4 Depth=1
	s_waitcnt vmcnt(0)
	v_cmp_u_f64_e32 vcc_lo, v[11:12], v[11:12]
	v_cmp_gt_f64_e64 s0, s[8:9], v[11:12]
	s_or_b32 vcc_lo, vcc_lo, s0
	v_cndmask_b32_e32 v6, s9, v12, vcc_lo
	v_cndmask_b32_e32 v5, s8, v11, vcc_lo
	v_add_co_u32 v9, vcc_lo, v1, s23
	v_add_co_ci_u32_e64 v10, null, 0, v2, vcc_lo
	global_store_dwordx2 v[9:10], v[5:6], off
	s_or_b32 exec_lo, exec_lo, s3
	s_and_saveexec_b32 s1, s2
	s_cbranch_execz .LBB125_3
.LBB125_19:                             ;   in Loop: Header=BB125_4 Depth=1
	s_waitcnt vmcnt(0)
	v_cmp_u_f64_e32 vcc_lo, v[7:8], v[7:8]
	v_cmp_gt_f64_e64 s0, s[8:9], v[7:8]
	s_or_b32 vcc_lo, vcc_lo, s0
	v_cndmask_b32_e32 v6, s9, v8, vcc_lo
	v_cndmask_b32_e32 v5, s8, v7, vcc_lo
	v_add_co_u32 v7, vcc_lo, v1, s22
	v_add_co_ci_u32_e64 v8, null, 0, v2, vcc_lo
	global_store_dwordx2 v[7:8], v[5:6], off
	s_branch .LBB125_3
.LBB125_20:
	s_cbranch_execz .LBB125_22
	s_branch .LBB125_25
.LBB125_21:
.LBB125_22:
	v_cmp_gt_i64_e64 s0, 0x10000, s[14:15]
	v_mov_b32_e32 v2, 0
	v_lshlrev_b32_e32 v1, 2, v0
	s_mov_b32 s16, 0
	s_and_b32 s0, s0, exec_lo
	s_cselect_b32 s15, s15, 0
	s_cselect_b32 s14, s14, 0x10000
	s_mov_b32 s0, exec_lo
	v_cmpx_gt_i64_e64 s[14:15], v[1:2]
	s_cbranch_execz .LBB125_25
; %bb.23:
	s_load_dword s0, s[4:5], 0xf54
	v_lshlrev_b32_e32 v1, 5, v0
	s_waitcnt lgkmcnt(0)
	s_and_b32 s17, s0, 0xffff
	s_add_u32 s0, s10, s12
	s_addc_u32 s1, s11, s13
	v_add_co_u32 v3, s0, s0, v1
	v_add_co_ci_u32_e64 v4, null, s1, 0, s0
	v_mov_b32_e32 v1, v2
	v_add_co_u32 v2, vcc_lo, v3, 16
	v_add_co_ci_u32_e64 v3, null, 0, v4, vcc_lo
	s_lshl_b32 s10, s17, 5
.LBB125_24:                             ; =>This Inner Loop Header: Depth=1
	s_clause 0x1
	global_load_dwordx4 v[4:7], v[2:3], off offset:-16
	global_load_dwordx4 v[8:11], v[2:3], off
	v_add_co_u32 v0, s7, v0, s17
	v_add_co_ci_u32_e64 v1, null, 0, v1, s7
	s_waitcnt vmcnt(2)
	v_lshlrev_b64 v[12:13], 2, v[0:1]
	s_waitcnt vmcnt(1)
	v_cmp_u_f64_e32 vcc_lo, v[4:5], v[4:5]
	v_cmp_gt_f64_e64 s0, s[8:9], v[4:5]
	v_cmp_u_f64_e64 s1, v[6:7], v[6:7]
	v_cmp_gt_f64_e64 s2, s[8:9], v[6:7]
	s_waitcnt vmcnt(0)
	v_cmp_u_f64_e64 s3, v[8:9], v[8:9]
	v_cmp_gt_f64_e64 s4, s[8:9], v[8:9]
	v_cmp_u_f64_e64 s5, v[10:11], v[10:11]
	v_cmp_gt_f64_e64 s6, s[8:9], v[10:11]
	s_or_b32 vcc_lo, vcc_lo, s0
	s_or_b32 s0, s1, s2
	v_cndmask_b32_e32 v5, s9, v5, vcc_lo
	s_or_b32 s1, s3, s4
	v_cndmask_b32_e64 v7, s9, v7, s0
	s_or_b32 s2, s5, s6
	v_cndmask_b32_e32 v4, s8, v4, vcc_lo
	v_cndmask_b32_e64 v6, s8, v6, s0
	v_cndmask_b32_e64 v9, s9, v9, s1
	;; [unrolled: 1-line block ×5, first 2 shown]
	v_cmp_le_i64_e32 vcc_lo, s[14:15], v[12:13]
	global_store_dwordx4 v[2:3], v[4:7], off offset:-16
	global_store_dwordx4 v[2:3], v[8:11], off
	v_add_co_u32 v2, s0, v2, s10
	v_add_co_ci_u32_e64 v3, null, 0, v3, s0
	s_or_b32 s16, vcc_lo, s16
	s_andn2_b32 exec_lo, exec_lo, s16
	s_cbranch_execnz .LBB125_24
.LBB125_25:
	s_endpgm
	.section	.rodata,"a",@progbits
	.p2align	6, 0x0
	.amdhsa_kernel _ZN2at6native12_GLOBAL__N_125multi_tensor_apply_kernelINS1_28TensorListScalarListMetadataIdLi1EEENS1_25BinaryOpScalarListFunctorIdLi1ELi1ELi0EEEJNS0_7minimumIdEEEEEvT_T0_DpT1_
		.amdhsa_group_segment_fixed_size 0
		.amdhsa_private_segment_fixed_size 0
		.amdhsa_kernarg_size 4168
		.amdhsa_user_sgpr_count 6
		.amdhsa_user_sgpr_private_segment_buffer 1
		.amdhsa_user_sgpr_dispatch_ptr 0
		.amdhsa_user_sgpr_queue_ptr 0
		.amdhsa_user_sgpr_kernarg_segment_ptr 1
		.amdhsa_user_sgpr_dispatch_id 0
		.amdhsa_user_sgpr_flat_scratch_init 0
		.amdhsa_user_sgpr_private_segment_size 0
		.amdhsa_wavefront_size32 1
		.amdhsa_uses_dynamic_stack 0
		.amdhsa_system_sgpr_private_segment_wavefront_offset 0
		.amdhsa_system_sgpr_workgroup_id_x 1
		.amdhsa_system_sgpr_workgroup_id_y 0
		.amdhsa_system_sgpr_workgroup_id_z 0
		.amdhsa_system_sgpr_workgroup_info 0
		.amdhsa_system_vgpr_workitem_id 0
		.amdhsa_next_free_vgpr 21
		.amdhsa_next_free_sgpr 25
		.amdhsa_reserve_vcc 1
		.amdhsa_reserve_flat_scratch 0
		.amdhsa_float_round_mode_32 0
		.amdhsa_float_round_mode_16_64 0
		.amdhsa_float_denorm_mode_32 3
		.amdhsa_float_denorm_mode_16_64 3
		.amdhsa_dx10_clamp 1
		.amdhsa_ieee_mode 1
		.amdhsa_fp16_overflow 0
		.amdhsa_workgroup_processor_mode 1
		.amdhsa_memory_ordered 1
		.amdhsa_forward_progress 1
		.amdhsa_shared_vgpr_count 0
		.amdhsa_exception_fp_ieee_invalid_op 0
		.amdhsa_exception_fp_denorm_src 0
		.amdhsa_exception_fp_ieee_div_zero 0
		.amdhsa_exception_fp_ieee_overflow 0
		.amdhsa_exception_fp_ieee_underflow 0
		.amdhsa_exception_fp_ieee_inexact 0
		.amdhsa_exception_int_div_zero 0
	.end_amdhsa_kernel
	.section	.text._ZN2at6native12_GLOBAL__N_125multi_tensor_apply_kernelINS1_28TensorListScalarListMetadataIdLi1EEENS1_25BinaryOpScalarListFunctorIdLi1ELi1ELi0EEEJNS0_7minimumIdEEEEEvT_T0_DpT1_,"axG",@progbits,_ZN2at6native12_GLOBAL__N_125multi_tensor_apply_kernelINS1_28TensorListScalarListMetadataIdLi1EEENS1_25BinaryOpScalarListFunctorIdLi1ELi1ELi0EEEJNS0_7minimumIdEEEEEvT_T0_DpT1_,comdat
.Lfunc_end125:
	.size	_ZN2at6native12_GLOBAL__N_125multi_tensor_apply_kernelINS1_28TensorListScalarListMetadataIdLi1EEENS1_25BinaryOpScalarListFunctorIdLi1ELi1ELi0EEEJNS0_7minimumIdEEEEEvT_T0_DpT1_, .Lfunc_end125-_ZN2at6native12_GLOBAL__N_125multi_tensor_apply_kernelINS1_28TensorListScalarListMetadataIdLi1EEENS1_25BinaryOpScalarListFunctorIdLi1ELi1ELi0EEEJNS0_7minimumIdEEEEEvT_T0_DpT1_
                                        ; -- End function
	.set _ZN2at6native12_GLOBAL__N_125multi_tensor_apply_kernelINS1_28TensorListScalarListMetadataIdLi1EEENS1_25BinaryOpScalarListFunctorIdLi1ELi1ELi0EEEJNS0_7minimumIdEEEEEvT_T0_DpT1_.num_vgpr, 21
	.set _ZN2at6native12_GLOBAL__N_125multi_tensor_apply_kernelINS1_28TensorListScalarListMetadataIdLi1EEENS1_25BinaryOpScalarListFunctorIdLi1ELi1ELi0EEEJNS0_7minimumIdEEEEEvT_T0_DpT1_.num_agpr, 0
	.set _ZN2at6native12_GLOBAL__N_125multi_tensor_apply_kernelINS1_28TensorListScalarListMetadataIdLi1EEENS1_25BinaryOpScalarListFunctorIdLi1ELi1ELi0EEEJNS0_7minimumIdEEEEEvT_T0_DpT1_.numbered_sgpr, 25
	.set _ZN2at6native12_GLOBAL__N_125multi_tensor_apply_kernelINS1_28TensorListScalarListMetadataIdLi1EEENS1_25BinaryOpScalarListFunctorIdLi1ELi1ELi0EEEJNS0_7minimumIdEEEEEvT_T0_DpT1_.num_named_barrier, 0
	.set _ZN2at6native12_GLOBAL__N_125multi_tensor_apply_kernelINS1_28TensorListScalarListMetadataIdLi1EEENS1_25BinaryOpScalarListFunctorIdLi1ELi1ELi0EEEJNS0_7minimumIdEEEEEvT_T0_DpT1_.private_seg_size, 0
	.set _ZN2at6native12_GLOBAL__N_125multi_tensor_apply_kernelINS1_28TensorListScalarListMetadataIdLi1EEENS1_25BinaryOpScalarListFunctorIdLi1ELi1ELi0EEEJNS0_7minimumIdEEEEEvT_T0_DpT1_.uses_vcc, 1
	.set _ZN2at6native12_GLOBAL__N_125multi_tensor_apply_kernelINS1_28TensorListScalarListMetadataIdLi1EEENS1_25BinaryOpScalarListFunctorIdLi1ELi1ELi0EEEJNS0_7minimumIdEEEEEvT_T0_DpT1_.uses_flat_scratch, 0
	.set _ZN2at6native12_GLOBAL__N_125multi_tensor_apply_kernelINS1_28TensorListScalarListMetadataIdLi1EEENS1_25BinaryOpScalarListFunctorIdLi1ELi1ELi0EEEJNS0_7minimumIdEEEEEvT_T0_DpT1_.has_dyn_sized_stack, 0
	.set _ZN2at6native12_GLOBAL__N_125multi_tensor_apply_kernelINS1_28TensorListScalarListMetadataIdLi1EEENS1_25BinaryOpScalarListFunctorIdLi1ELi1ELi0EEEJNS0_7minimumIdEEEEEvT_T0_DpT1_.has_recursion, 0
	.set _ZN2at6native12_GLOBAL__N_125multi_tensor_apply_kernelINS1_28TensorListScalarListMetadataIdLi1EEENS1_25BinaryOpScalarListFunctorIdLi1ELi1ELi0EEEJNS0_7minimumIdEEEEEvT_T0_DpT1_.has_indirect_call, 0
	.section	.AMDGPU.csdata,"",@progbits
; Kernel info:
; codeLenInByte = 1308
; TotalNumSgprs: 27
; NumVgprs: 21
; ScratchSize: 0
; MemoryBound: 0
; FloatMode: 240
; IeeeMode: 1
; LDSByteSize: 0 bytes/workgroup (compile time only)
; SGPRBlocks: 0
; VGPRBlocks: 2
; NumSGPRsForWavesPerEU: 27
; NumVGPRsForWavesPerEU: 21
; Occupancy: 16
; WaveLimiterHint : 1
; COMPUTE_PGM_RSRC2:SCRATCH_EN: 0
; COMPUTE_PGM_RSRC2:USER_SGPR: 6
; COMPUTE_PGM_RSRC2:TRAP_HANDLER: 0
; COMPUTE_PGM_RSRC2:TGID_X_EN: 1
; COMPUTE_PGM_RSRC2:TGID_Y_EN: 0
; COMPUTE_PGM_RSRC2:TGID_Z_EN: 0
; COMPUTE_PGM_RSRC2:TIDIG_COMP_CNT: 0
	.section	.text._ZN2at6native12_GLOBAL__N_125multi_tensor_apply_kernelINS1_28TensorListScalarListMetadataIfLi1EEENS1_25BinaryOpScalarListFunctorIfLi1ELi1ELi0EEEJNS0_7minimumIfEEEEEvT_T0_DpT1_,"axG",@progbits,_ZN2at6native12_GLOBAL__N_125multi_tensor_apply_kernelINS1_28TensorListScalarListMetadataIfLi1EEENS1_25BinaryOpScalarListFunctorIfLi1ELi1ELi0EEEJNS0_7minimumIfEEEEEvT_T0_DpT1_,comdat
	.globl	_ZN2at6native12_GLOBAL__N_125multi_tensor_apply_kernelINS1_28TensorListScalarListMetadataIfLi1EEENS1_25BinaryOpScalarListFunctorIfLi1ELi1ELi0EEEJNS0_7minimumIfEEEEEvT_T0_DpT1_ ; -- Begin function _ZN2at6native12_GLOBAL__N_125multi_tensor_apply_kernelINS1_28TensorListScalarListMetadataIfLi1EEENS1_25BinaryOpScalarListFunctorIfLi1ELi1ELi0EEEJNS0_7minimumIfEEEEEvT_T0_DpT1_
	.p2align	8
	.type	_ZN2at6native12_GLOBAL__N_125multi_tensor_apply_kernelINS1_28TensorListScalarListMetadataIfLi1EEENS1_25BinaryOpScalarListFunctorIfLi1ELi1ELi0EEEJNS0_7minimumIfEEEEEvT_T0_DpT1_,@function
_ZN2at6native12_GLOBAL__N_125multi_tensor_apply_kernelINS1_28TensorListScalarListMetadataIfLi1EEENS1_25BinaryOpScalarListFunctorIfLi1ELi1ELi0EEEJNS0_7minimumIfEEEEEvT_T0_DpT1_: ; @_ZN2at6native12_GLOBAL__N_125multi_tensor_apply_kernelINS1_28TensorListScalarListMetadataIfLi1EEENS1_25BinaryOpScalarListFunctorIfLi1ELi1ELi0EEEJNS0_7minimumIfEEEEEvT_T0_DpT1_
; %bb.0:
	v_mov_b32_e32 v1, s6
	s_add_u32 s0, s4, s6
	s_mul_i32 s1, s6, 3
	s_mul_hi_u32 s2, s6, 3
	s_addc_u32 s3, s5, 0
	global_load_ubyte v1, v1, s[4:5] offset:1920
	s_add_u32 s0, s0, s1
	s_addc_u32 s1, s3, s2
	s_mov_b32 s13, 0
	s_load_dword s0, s[0:1], 0x8c0
	s_waitcnt vmcnt(0)
	v_readfirstlane_b32 s1, v1
	v_lshlrev_b32_e32 v1, 2, v1
	s_lshl_b32 s8, s1, 3
	v_sub_co_u32 v1, s1, 0, v1
	v_sub_co_ci_u32_e64 v2, null, 0, 0, s1
	s_waitcnt lgkmcnt(0)
	s_ashr_i32 s1, s0, 31
	s_clause 0x1
	s_load_dwordx2 s[2:3], s[4:5], s8 offset:0x300
	s_load_dwordx2 s[6:7], s[4:5], s8 offset:0x0
	s_add_u32 s8, s4, s8
	s_addc_u32 s9, s5, 0
	v_add_co_u32 v1, vcc_lo, s8, v1
	v_add_co_ci_u32_e64 v2, null, s9, v2, vcc_lo
	v_readfirstlane_b32 s8, v1
	v_readfirstlane_b32 s9, v2
	s_load_dword s18, s[8:9], 0x600
	s_lshl_b64 s[8:9], s[0:1], 18
	s_lshl_b64 s[0:1], s[0:1], 16
	s_waitcnt lgkmcnt(0)
	s_and_b32 s12, s6, 15
	s_sub_u32 s10, s2, s0
	s_subb_u32 s11, s3, s1
	s_and_b32 s0, s2, 3
	s_mov_b32 s1, s13
	s_or_b64 s[0:1], s[12:13], s[0:1]
	s_cmp_eq_u64 s[0:1], 0
	s_cbranch_scc1 .LBB126_21
; %bb.1:
	v_cmp_lt_i64_e64 s0, s[10:11], 1
	s_and_b32 vcc_lo, exec_lo, s0
	s_cbranch_vccnz .LBB126_20
; %bb.2:
	s_load_dword s0, s[4:5], 0xdd4
	v_cmp_gt_i64_e64 s1, 0x10000, s[10:11]
	v_cmp_gt_u64_e64 s2, 0x10000, s[10:11]
	v_lshlrev_b32_e32 v1, 2, v0
	s_and_b32 s1, s1, exec_lo
	s_cselect_b32 s13, s11, 0
	s_cselect_b32 s12, s10, 0x10000
	s_waitcnt lgkmcnt(0)
	s_and_b32 s0, s0, 0xffff
	s_and_b32 s1, s2, exec_lo
	v_add_co_u32 v5, s3, v0, s0
	s_cselect_b32 s15, s11, 0
	s_cselect_b32 s14, s10, 0x10000
	s_lshl_b32 s1, s0, 1
	v_lshlrev_b32_e32 v3, 2, v5
	s_mul_i32 s2, s0, 3
	s_lshl_b32 s19, s0, 2
	s_add_u32 s16, s6, s8
	v_add_co_u32 v6, s2, s2, v0
	v_add_co_u32 v9, s1, s1, v0
	s_addc_u32 s17, s7, s9
	v_add_co_ci_u32_e64 v7, null, 0, 0, s2
	v_add_co_u32 v1, s2, s16, v1
	v_add_co_ci_u32_e64 v10, null, 0, 0, s1
	v_add_co_u32 v3, s1, s16, v3
	v_add_co_ci_u32_e64 v2, null, s17, 0, s2
	v_add_co_ci_u32_e64 v8, null, 0, 0, s3
	;; [unrolled: 1-line block ×3, first 2 shown]
	s_lshl_b32 s20, s0, 4
	s_mul_i32 s21, s0, 12
	s_lshl_b32 s22, s0, 3
	s_mov_b64 s[16:17], 0
	s_branch .LBB126_4
.LBB126_3:                              ;   in Loop: Header=BB126_4 Depth=1
	s_or_b32 exec_lo, exec_lo, s1
	s_add_u32 s16, s16, s19
	s_addc_u32 s17, s17, 0
	v_add_co_u32 v1, vcc_lo, v1, s20
	v_cmp_lt_i64_e64 s0, s[16:17], s[12:13]
	v_add_co_ci_u32_e64 v2, null, 0, v2, vcc_lo
	v_add_co_u32 v3, vcc_lo, v3, s20
	v_add_co_ci_u32_e64 v4, null, 0, v4, vcc_lo
	s_and_b32 vcc_lo, exec_lo, s0
	s_cbranch_vccz .LBB126_20
.LBB126_4:                              ; =>This Inner Loop Header: Depth=1
	s_waitcnt vmcnt(0)
	v_add_co_u32 v11, s0, v0, s16
	v_add_co_ci_u32_e64 v12, null, 0, s17, s0
	v_cmp_gt_u64_e32 vcc_lo, s[14:15], v[11:12]
	v_mov_b32_e32 v12, 0
	s_and_saveexec_b32 s0, vcc_lo
	s_cbranch_execz .LBB126_6
; %bb.5:                                ;   in Loop: Header=BB126_4 Depth=1
	global_load_dword v12, v[1:2], off
.LBB126_6:                              ;   in Loop: Header=BB126_4 Depth=1
	s_or_b32 exec_lo, exec_lo, s0
	v_add_co_u32 v13, s0, v5, s16
	v_add_co_ci_u32_e64 v14, null, s17, v8, s0
	v_mov_b32_e32 v11, 0
	v_cmp_gt_u64_e64 s0, s[14:15], v[13:14]
	v_mov_b32_e32 v13, 0
	s_and_saveexec_b32 s1, s0
	s_cbranch_execz .LBB126_8
; %bb.7:                                ;   in Loop: Header=BB126_4 Depth=1
	global_load_dword v13, v[3:4], off
.LBB126_8:                              ;   in Loop: Header=BB126_4 Depth=1
	s_or_b32 exec_lo, exec_lo, s1
	v_add_co_u32 v14, s1, v9, s16
	v_add_co_ci_u32_e64 v15, null, s17, v10, s1
	v_cmp_gt_u64_e64 s1, s[14:15], v[14:15]
	s_and_saveexec_b32 s3, s1
	s_cbranch_execz .LBB126_10
; %bb.9:                                ;   in Loop: Header=BB126_4 Depth=1
	v_add_co_u32 v14, s2, v1, s22
	v_add_co_ci_u32_e64 v15, null, 0, v2, s2
	global_load_dword v11, v[14:15], off
.LBB126_10:                             ;   in Loop: Header=BB126_4 Depth=1
	s_or_b32 exec_lo, exec_lo, s3
	v_add_co_u32 v14, s2, v6, s16
	v_add_co_ci_u32_e64 v15, null, s17, v7, s2
	v_cmp_gt_u64_e64 s2, s[14:15], v[14:15]
	v_mov_b32_e32 v14, 0
	s_and_saveexec_b32 s23, s2
	s_cbranch_execnz .LBB126_15
; %bb.11:                               ;   in Loop: Header=BB126_4 Depth=1
	s_or_b32 exec_lo, exec_lo, s23
	s_and_saveexec_b32 s23, vcc_lo
	s_cbranch_execnz .LBB126_16
.LBB126_12:                             ;   in Loop: Header=BB126_4 Depth=1
	s_or_b32 exec_lo, exec_lo, s23
	s_and_saveexec_b32 s3, s0
	s_cbranch_execnz .LBB126_17
.LBB126_13:                             ;   in Loop: Header=BB126_4 Depth=1
	s_or_b32 exec_lo, exec_lo, s3
	s_and_saveexec_b32 s3, s1
	s_cbranch_execnz .LBB126_18
.LBB126_14:                             ;   in Loop: Header=BB126_4 Depth=1
	s_or_b32 exec_lo, exec_lo, s3
	s_and_saveexec_b32 s1, s2
	s_cbranch_execz .LBB126_3
	s_branch .LBB126_19
.LBB126_15:                             ;   in Loop: Header=BB126_4 Depth=1
	v_add_co_u32 v14, s3, v1, s21
	v_add_co_ci_u32_e64 v15, null, 0, v2, s3
	global_load_dword v14, v[14:15], off
	s_or_b32 exec_lo, exec_lo, s23
	s_and_saveexec_b32 s23, vcc_lo
	s_cbranch_execz .LBB126_12
.LBB126_16:                             ;   in Loop: Header=BB126_4 Depth=1
	s_waitcnt vmcnt(0)
	v_cmp_u_f32_e32 vcc_lo, v12, v12
	v_cmp_gt_f32_e64 s3, s18, v12
	s_or_b32 vcc_lo, vcc_lo, s3
	v_cndmask_b32_e32 v12, s18, v12, vcc_lo
	global_store_dword v[1:2], v12, off
	s_or_b32 exec_lo, exec_lo, s23
	s_and_saveexec_b32 s3, s0
	s_cbranch_execz .LBB126_13
.LBB126_17:                             ;   in Loop: Header=BB126_4 Depth=1
	s_waitcnt vmcnt(0)
	v_cmp_u_f32_e32 vcc_lo, v13, v13
	v_cmp_gt_f32_e64 s0, s18, v13
	s_or_b32 vcc_lo, vcc_lo, s0
	v_cndmask_b32_e32 v12, s18, v13, vcc_lo
	global_store_dword v[3:4], v12, off
	s_or_b32 exec_lo, exec_lo, s3
	s_and_saveexec_b32 s3, s1
	s_cbranch_execz .LBB126_14
.LBB126_18:                             ;   in Loop: Header=BB126_4 Depth=1
	s_waitcnt vmcnt(0)
	v_cmp_u_f32_e32 vcc_lo, v11, v11
	v_cmp_gt_f32_e64 s0, s18, v11
	s_or_b32 vcc_lo, vcc_lo, s0
	v_cndmask_b32_e32 v13, s18, v11, vcc_lo
	v_add_co_u32 v11, vcc_lo, v1, s22
	v_add_co_ci_u32_e64 v12, null, 0, v2, vcc_lo
	global_store_dword v[11:12], v13, off
	s_or_b32 exec_lo, exec_lo, s3
	s_and_saveexec_b32 s1, s2
	s_cbranch_execz .LBB126_3
.LBB126_19:                             ;   in Loop: Header=BB126_4 Depth=1
	s_waitcnt vmcnt(0)
	v_cmp_u_f32_e32 vcc_lo, v14, v14
	v_cmp_gt_f32_e64 s0, s18, v14
	s_or_b32 vcc_lo, vcc_lo, s0
	v_cndmask_b32_e32 v13, s18, v14, vcc_lo
	v_add_co_u32 v11, vcc_lo, v1, s21
	v_add_co_ci_u32_e64 v12, null, 0, v2, vcc_lo
	global_store_dword v[11:12], v13, off
	s_branch .LBB126_3
.LBB126_20:
	s_cbranch_execz .LBB126_22
	s_branch .LBB126_25
.LBB126_21:
.LBB126_22:
	v_cmp_gt_i64_e64 s0, 0x10000, s[10:11]
	v_mov_b32_e32 v2, 0
	v_lshlrev_b32_e32 v1, 2, v0
	s_mov_b32 s12, 0
	s_and_b32 s0, s0, exec_lo
	s_cselect_b32 s11, s11, 0
	s_cselect_b32 s10, s10, 0x10000
	s_mov_b32 s0, exec_lo
	v_cmpx_gt_i64_e64 s[10:11], v[1:2]
	s_cbranch_execz .LBB126_25
; %bb.23:
	s_load_dword s0, s[4:5], 0xdd4
	v_lshlrev_b32_e32 v1, 4, v0
	s_waitcnt lgkmcnt(0)
	s_and_b32 s13, s0, 0xffff
	s_add_u32 s0, s6, s8
	s_addc_u32 s1, s7, s9
	v_add_co_u32 v3, s0, s0, v1
	v_add_co_ci_u32_e64 v4, null, s1, 0, s0
	v_mov_b32_e32 v1, v2
	v_add_co_u32 v2, vcc_lo, v3, 8
	v_add_co_ci_u32_e64 v3, null, 0, v4, vcc_lo
	s_lshl_b32 s7, s13, 4
	s_inst_prefetch 0x1
	.p2align	6
.LBB126_24:                             ; =>This Inner Loop Header: Depth=1
	global_load_dwordx4 v[4:7], v[2:3], off offset:-8
	v_add_co_u32 v0, vcc_lo, v0, s13
	v_add_co_ci_u32_e64 v1, null, 0, v1, vcc_lo
	v_lshlrev_b64 v[8:9], 2, v[0:1]
	s_waitcnt vmcnt(0)
	v_cmp_u_f32_e32 vcc_lo, v4, v4
	v_cmp_gt_f32_e64 s0, s18, v4
	v_cmp_u_f32_e64 s1, v5, v5
	v_cmp_gt_f32_e64 s2, s18, v5
	v_cmp_u_f32_e64 s3, v6, v6
	v_cmp_gt_f32_e64 s4, s18, v6
	s_or_b32 vcc_lo, vcc_lo, s0
	v_cmp_u_f32_e64 s5, v7, v7
	v_cmp_gt_f32_e64 s6, s18, v7
	v_cndmask_b32_e32 v4, s18, v4, vcc_lo
	s_or_b32 vcc_lo, s1, s2
	v_cndmask_b32_e32 v5, s18, v5, vcc_lo
	s_or_b32 vcc_lo, s3, s4
	v_cndmask_b32_e32 v6, s18, v6, vcc_lo
	s_or_b32 vcc_lo, s5, s6
	v_cndmask_b32_e32 v7, s18, v7, vcc_lo
	v_cmp_le_i64_e32 vcc_lo, s[10:11], v[8:9]
	global_store_dwordx4 v[2:3], v[4:7], off offset:-8
	v_add_co_u32 v2, s0, v2, s7
	v_add_co_ci_u32_e64 v3, null, 0, v3, s0
	s_or_b32 s12, vcc_lo, s12
	s_andn2_b32 exec_lo, exec_lo, s12
	s_cbranch_execnz .LBB126_24
.LBB126_25:
	s_inst_prefetch 0x2
	s_endpgm
	.section	.rodata,"a",@progbits
	.p2align	6, 0x0
	.amdhsa_kernel _ZN2at6native12_GLOBAL__N_125multi_tensor_apply_kernelINS1_28TensorListScalarListMetadataIfLi1EEENS1_25BinaryOpScalarListFunctorIfLi1ELi1ELi0EEEJNS0_7minimumIfEEEEEvT_T0_DpT1_
		.amdhsa_group_segment_fixed_size 0
		.amdhsa_private_segment_fixed_size 0
		.amdhsa_kernarg_size 3784
		.amdhsa_user_sgpr_count 6
		.amdhsa_user_sgpr_private_segment_buffer 1
		.amdhsa_user_sgpr_dispatch_ptr 0
		.amdhsa_user_sgpr_queue_ptr 0
		.amdhsa_user_sgpr_kernarg_segment_ptr 1
		.amdhsa_user_sgpr_dispatch_id 0
		.amdhsa_user_sgpr_flat_scratch_init 0
		.amdhsa_user_sgpr_private_segment_size 0
		.amdhsa_wavefront_size32 1
		.amdhsa_uses_dynamic_stack 0
		.amdhsa_system_sgpr_private_segment_wavefront_offset 0
		.amdhsa_system_sgpr_workgroup_id_x 1
		.amdhsa_system_sgpr_workgroup_id_y 0
		.amdhsa_system_sgpr_workgroup_id_z 0
		.amdhsa_system_sgpr_workgroup_info 0
		.amdhsa_system_vgpr_workitem_id 0
		.amdhsa_next_free_vgpr 16
		.amdhsa_next_free_sgpr 24
		.amdhsa_reserve_vcc 1
		.amdhsa_reserve_flat_scratch 0
		.amdhsa_float_round_mode_32 0
		.amdhsa_float_round_mode_16_64 0
		.amdhsa_float_denorm_mode_32 3
		.amdhsa_float_denorm_mode_16_64 3
		.amdhsa_dx10_clamp 1
		.amdhsa_ieee_mode 1
		.amdhsa_fp16_overflow 0
		.amdhsa_workgroup_processor_mode 1
		.amdhsa_memory_ordered 1
		.amdhsa_forward_progress 1
		.amdhsa_shared_vgpr_count 0
		.amdhsa_exception_fp_ieee_invalid_op 0
		.amdhsa_exception_fp_denorm_src 0
		.amdhsa_exception_fp_ieee_div_zero 0
		.amdhsa_exception_fp_ieee_overflow 0
		.amdhsa_exception_fp_ieee_underflow 0
		.amdhsa_exception_fp_ieee_inexact 0
		.amdhsa_exception_int_div_zero 0
	.end_amdhsa_kernel
	.section	.text._ZN2at6native12_GLOBAL__N_125multi_tensor_apply_kernelINS1_28TensorListScalarListMetadataIfLi1EEENS1_25BinaryOpScalarListFunctorIfLi1ELi1ELi0EEEJNS0_7minimumIfEEEEEvT_T0_DpT1_,"axG",@progbits,_ZN2at6native12_GLOBAL__N_125multi_tensor_apply_kernelINS1_28TensorListScalarListMetadataIfLi1EEENS1_25BinaryOpScalarListFunctorIfLi1ELi1ELi0EEEJNS0_7minimumIfEEEEEvT_T0_DpT1_,comdat
.Lfunc_end126:
	.size	_ZN2at6native12_GLOBAL__N_125multi_tensor_apply_kernelINS1_28TensorListScalarListMetadataIfLi1EEENS1_25BinaryOpScalarListFunctorIfLi1ELi1ELi0EEEJNS0_7minimumIfEEEEEvT_T0_DpT1_, .Lfunc_end126-_ZN2at6native12_GLOBAL__N_125multi_tensor_apply_kernelINS1_28TensorListScalarListMetadataIfLi1EEENS1_25BinaryOpScalarListFunctorIfLi1ELi1ELi0EEEJNS0_7minimumIfEEEEEvT_T0_DpT1_
                                        ; -- End function
	.set _ZN2at6native12_GLOBAL__N_125multi_tensor_apply_kernelINS1_28TensorListScalarListMetadataIfLi1EEENS1_25BinaryOpScalarListFunctorIfLi1ELi1ELi0EEEJNS0_7minimumIfEEEEEvT_T0_DpT1_.num_vgpr, 16
	.set _ZN2at6native12_GLOBAL__N_125multi_tensor_apply_kernelINS1_28TensorListScalarListMetadataIfLi1EEENS1_25BinaryOpScalarListFunctorIfLi1ELi1ELi0EEEJNS0_7minimumIfEEEEEvT_T0_DpT1_.num_agpr, 0
	.set _ZN2at6native12_GLOBAL__N_125multi_tensor_apply_kernelINS1_28TensorListScalarListMetadataIfLi1EEENS1_25BinaryOpScalarListFunctorIfLi1ELi1ELi0EEEJNS0_7minimumIfEEEEEvT_T0_DpT1_.numbered_sgpr, 24
	.set _ZN2at6native12_GLOBAL__N_125multi_tensor_apply_kernelINS1_28TensorListScalarListMetadataIfLi1EEENS1_25BinaryOpScalarListFunctorIfLi1ELi1ELi0EEEJNS0_7minimumIfEEEEEvT_T0_DpT1_.num_named_barrier, 0
	.set _ZN2at6native12_GLOBAL__N_125multi_tensor_apply_kernelINS1_28TensorListScalarListMetadataIfLi1EEENS1_25BinaryOpScalarListFunctorIfLi1ELi1ELi0EEEJNS0_7minimumIfEEEEEvT_T0_DpT1_.private_seg_size, 0
	.set _ZN2at6native12_GLOBAL__N_125multi_tensor_apply_kernelINS1_28TensorListScalarListMetadataIfLi1EEENS1_25BinaryOpScalarListFunctorIfLi1ELi1ELi0EEEJNS0_7minimumIfEEEEEvT_T0_DpT1_.uses_vcc, 1
	.set _ZN2at6native12_GLOBAL__N_125multi_tensor_apply_kernelINS1_28TensorListScalarListMetadataIfLi1EEENS1_25BinaryOpScalarListFunctorIfLi1ELi1ELi0EEEJNS0_7minimumIfEEEEEvT_T0_DpT1_.uses_flat_scratch, 0
	.set _ZN2at6native12_GLOBAL__N_125multi_tensor_apply_kernelINS1_28TensorListScalarListMetadataIfLi1EEENS1_25BinaryOpScalarListFunctorIfLi1ELi1ELi0EEEJNS0_7minimumIfEEEEEvT_T0_DpT1_.has_dyn_sized_stack, 0
	.set _ZN2at6native12_GLOBAL__N_125multi_tensor_apply_kernelINS1_28TensorListScalarListMetadataIfLi1EEENS1_25BinaryOpScalarListFunctorIfLi1ELi1ELi0EEEJNS0_7minimumIfEEEEEvT_T0_DpT1_.has_recursion, 0
	.set _ZN2at6native12_GLOBAL__N_125multi_tensor_apply_kernelINS1_28TensorListScalarListMetadataIfLi1EEENS1_25BinaryOpScalarListFunctorIfLi1ELi1ELi0EEEJNS0_7minimumIfEEEEEvT_T0_DpT1_.has_indirect_call, 0
	.section	.AMDGPU.csdata,"",@progbits
; Kernel info:
; codeLenInByte = 1328
; TotalNumSgprs: 26
; NumVgprs: 16
; ScratchSize: 0
; MemoryBound: 0
; FloatMode: 240
; IeeeMode: 1
; LDSByteSize: 0 bytes/workgroup (compile time only)
; SGPRBlocks: 0
; VGPRBlocks: 1
; NumSGPRsForWavesPerEU: 26
; NumVGPRsForWavesPerEU: 16
; Occupancy: 16
; WaveLimiterHint : 0
; COMPUTE_PGM_RSRC2:SCRATCH_EN: 0
; COMPUTE_PGM_RSRC2:USER_SGPR: 6
; COMPUTE_PGM_RSRC2:TRAP_HANDLER: 0
; COMPUTE_PGM_RSRC2:TGID_X_EN: 1
; COMPUTE_PGM_RSRC2:TGID_Y_EN: 0
; COMPUTE_PGM_RSRC2:TGID_Z_EN: 0
; COMPUTE_PGM_RSRC2:TIDIG_COMP_CNT: 0
	.section	.text._ZN2at6native12_GLOBAL__N_125multi_tensor_apply_kernelINS1_28TensorListScalarListMetadataIfLi1EEENS1_25BinaryOpScalarListFunctorIN3c104HalfELi1ELi1ELi0EEEJNS0_7minimumIfEEEEEvT_T0_DpT1_,"axG",@progbits,_ZN2at6native12_GLOBAL__N_125multi_tensor_apply_kernelINS1_28TensorListScalarListMetadataIfLi1EEENS1_25BinaryOpScalarListFunctorIN3c104HalfELi1ELi1ELi0EEEJNS0_7minimumIfEEEEEvT_T0_DpT1_,comdat
	.globl	_ZN2at6native12_GLOBAL__N_125multi_tensor_apply_kernelINS1_28TensorListScalarListMetadataIfLi1EEENS1_25BinaryOpScalarListFunctorIN3c104HalfELi1ELi1ELi0EEEJNS0_7minimumIfEEEEEvT_T0_DpT1_ ; -- Begin function _ZN2at6native12_GLOBAL__N_125multi_tensor_apply_kernelINS1_28TensorListScalarListMetadataIfLi1EEENS1_25BinaryOpScalarListFunctorIN3c104HalfELi1ELi1ELi0EEEJNS0_7minimumIfEEEEEvT_T0_DpT1_
	.p2align	8
	.type	_ZN2at6native12_GLOBAL__N_125multi_tensor_apply_kernelINS1_28TensorListScalarListMetadataIfLi1EEENS1_25BinaryOpScalarListFunctorIN3c104HalfELi1ELi1ELi0EEEJNS0_7minimumIfEEEEEvT_T0_DpT1_,@function
_ZN2at6native12_GLOBAL__N_125multi_tensor_apply_kernelINS1_28TensorListScalarListMetadataIfLi1EEENS1_25BinaryOpScalarListFunctorIN3c104HalfELi1ELi1ELi0EEEJNS0_7minimumIfEEEEEvT_T0_DpT1_: ; @_ZN2at6native12_GLOBAL__N_125multi_tensor_apply_kernelINS1_28TensorListScalarListMetadataIfLi1EEENS1_25BinaryOpScalarListFunctorIN3c104HalfELi1ELi1ELi0EEEJNS0_7minimumIfEEEEEvT_T0_DpT1_
; %bb.0:
	v_mov_b32_e32 v1, s6
	s_add_u32 s0, s4, s6
	s_mul_i32 s1, s6, 3
	s_mul_hi_u32 s2, s6, 3
	s_addc_u32 s3, s5, 0
	global_load_ubyte v1, v1, s[4:5] offset:1920
	s_add_u32 s0, s0, s1
	s_addc_u32 s1, s3, s2
	s_mov_b32 s13, 0
	s_load_dword s0, s[0:1], 0x8c0
	s_waitcnt vmcnt(0)
	v_readfirstlane_b32 s1, v1
	v_lshlrev_b32_e32 v1, 2, v1
	s_lshl_b32 s8, s1, 3
	v_sub_co_u32 v1, s1, 0, v1
	v_sub_co_ci_u32_e64 v2, null, 0, 0, s1
	s_waitcnt lgkmcnt(0)
	s_ashr_i32 s1, s0, 31
	s_clause 0x1
	s_load_dwordx2 s[2:3], s[4:5], s8 offset:0x300
	s_load_dwordx2 s[6:7], s[4:5], s8 offset:0x0
	s_add_u32 s8, s4, s8
	s_addc_u32 s9, s5, 0
	v_add_co_u32 v1, vcc_lo, s8, v1
	v_add_co_ci_u32_e64 v2, null, s9, v2, vcc_lo
	v_readfirstlane_b32 s8, v1
	v_readfirstlane_b32 s9, v2
	s_load_dword s18, s[8:9], 0x600
	s_lshl_b64 s[8:9], s[0:1], 17
	s_lshl_b64 s[0:1], s[0:1], 16
	s_waitcnt lgkmcnt(0)
	s_and_b32 s12, s6, 7
	s_sub_u32 s10, s2, s0
	s_subb_u32 s11, s3, s1
	s_and_b32 s0, s2, 3
	s_mov_b32 s1, s13
	s_or_b64 s[0:1], s[12:13], s[0:1]
	s_cmp_eq_u64 s[0:1], 0
	s_cbranch_scc1 .LBB127_21
; %bb.1:
	v_cmp_lt_i64_e64 s0, s[10:11], 1
	s_and_b32 vcc_lo, exec_lo, s0
	s_cbranch_vccnz .LBB127_20
; %bb.2:
	s_load_dword s0, s[4:5], 0xdd4
	v_cmp_gt_i64_e64 s1, 0x10000, s[10:11]
	v_cmp_gt_u64_e64 s2, 0x10000, s[10:11]
	v_lshlrev_b32_e32 v1, 1, v0
	v_cvt_f16_f32_e32 v5, s18
	s_and_b32 s1, s1, exec_lo
	s_cselect_b32 s13, s11, 0
	s_cselect_b32 s12, s10, 0x10000
	s_waitcnt lgkmcnt(0)
	s_and_b32 s0, s0, 0xffff
	s_and_b32 s1, s2, exec_lo
	v_add_co_u32 v6, s3, v0, s0
	s_cselect_b32 s15, s11, 0
	s_cselect_b32 s14, s10, 0x10000
	s_lshl_b32 s1, s0, 1
	v_lshlrev_b32_e32 v3, 1, v6
	s_mul_i32 s2, s0, 3
	s_lshl_b32 s19, s0, 2
	s_add_u32 s16, s6, s8
	v_add_co_u32 v7, s2, s2, v0
	v_add_co_u32 v10, s1, s1, v0
	s_addc_u32 s17, s7, s9
	v_add_co_ci_u32_e64 v8, null, 0, 0, s2
	v_add_co_u32 v1, s2, s16, v1
	v_add_co_ci_u32_e64 v11, null, 0, 0, s1
	v_add_co_u32 v3, s1, s16, v3
	v_add_co_ci_u32_e64 v2, null, s17, 0, s2
	v_add_co_ci_u32_e64 v9, null, 0, 0, s3
	;; [unrolled: 1-line block ×3, first 2 shown]
	s_lshl_b32 s20, s0, 3
	s_mul_i32 s21, s0, 6
	s_mov_b64 s[16:17], 0
	s_branch .LBB127_4
.LBB127_3:                              ;   in Loop: Header=BB127_4 Depth=1
	s_or_b32 exec_lo, exec_lo, s1
	s_add_u32 s16, s16, s19
	s_addc_u32 s17, s17, 0
	v_add_co_u32 v1, vcc_lo, v1, s20
	v_cmp_lt_i64_e64 s0, s[16:17], s[12:13]
	v_add_co_ci_u32_e64 v2, null, 0, v2, vcc_lo
	v_add_co_u32 v3, vcc_lo, v3, s20
	v_add_co_ci_u32_e64 v4, null, 0, v4, vcc_lo
	s_and_b32 vcc_lo, exec_lo, s0
	s_cbranch_vccz .LBB127_20
.LBB127_4:                              ; =>This Inner Loop Header: Depth=1
	s_waitcnt vmcnt(0)
	v_add_co_u32 v12, s0, v0, s16
	v_add_co_ci_u32_e64 v13, null, 0, s17, s0
	v_cmp_gt_u64_e32 vcc_lo, s[14:15], v[12:13]
	v_mov_b32_e32 v13, 0
	s_and_saveexec_b32 s0, vcc_lo
	s_cbranch_execz .LBB127_6
; %bb.5:                                ;   in Loop: Header=BB127_4 Depth=1
	global_load_ushort v13, v[1:2], off
.LBB127_6:                              ;   in Loop: Header=BB127_4 Depth=1
	s_or_b32 exec_lo, exec_lo, s0
	v_add_co_u32 v14, s0, v6, s16
	v_add_co_ci_u32_e64 v15, null, s17, v9, s0
	v_mov_b32_e32 v12, 0
	v_cmp_gt_u64_e64 s0, s[14:15], v[14:15]
	v_mov_b32_e32 v14, 0
	s_and_saveexec_b32 s1, s0
	s_cbranch_execz .LBB127_8
; %bb.7:                                ;   in Loop: Header=BB127_4 Depth=1
	global_load_ushort v14, v[3:4], off
.LBB127_8:                              ;   in Loop: Header=BB127_4 Depth=1
	s_or_b32 exec_lo, exec_lo, s1
	v_add_co_u32 v15, s1, v10, s16
	v_add_co_ci_u32_e64 v16, null, s17, v11, s1
	v_cmp_gt_u64_e64 s1, s[14:15], v[15:16]
	s_and_saveexec_b32 s3, s1
	s_cbranch_execz .LBB127_10
; %bb.9:                                ;   in Loop: Header=BB127_4 Depth=1
	v_add_co_u32 v15, s2, v1, s19
	v_add_co_ci_u32_e64 v16, null, 0, v2, s2
	global_load_ushort v12, v[15:16], off
.LBB127_10:                             ;   in Loop: Header=BB127_4 Depth=1
	s_or_b32 exec_lo, exec_lo, s3
	v_add_co_u32 v15, s2, v7, s16
	v_add_co_ci_u32_e64 v16, null, s17, v8, s2
	v_cmp_gt_u64_e64 s2, s[14:15], v[15:16]
	v_mov_b32_e32 v15, 0
	s_and_saveexec_b32 s22, s2
	s_cbranch_execnz .LBB127_15
; %bb.11:                               ;   in Loop: Header=BB127_4 Depth=1
	s_or_b32 exec_lo, exec_lo, s22
	s_and_saveexec_b32 s22, vcc_lo
	s_cbranch_execnz .LBB127_16
.LBB127_12:                             ;   in Loop: Header=BB127_4 Depth=1
	s_or_b32 exec_lo, exec_lo, s22
	s_and_saveexec_b32 s3, s0
	s_cbranch_execnz .LBB127_17
.LBB127_13:                             ;   in Loop: Header=BB127_4 Depth=1
	s_or_b32 exec_lo, exec_lo, s3
	s_and_saveexec_b32 s3, s1
	s_cbranch_execnz .LBB127_18
.LBB127_14:                             ;   in Loop: Header=BB127_4 Depth=1
	s_or_b32 exec_lo, exec_lo, s3
	s_and_saveexec_b32 s1, s2
	s_cbranch_execz .LBB127_3
	s_branch .LBB127_19
.LBB127_15:                             ;   in Loop: Header=BB127_4 Depth=1
	v_add_co_u32 v15, s3, v1, s21
	v_add_co_ci_u32_e64 v16, null, 0, v2, s3
	global_load_ushort v15, v[15:16], off
	s_or_b32 exec_lo, exec_lo, s22
	s_and_saveexec_b32 s22, vcc_lo
	s_cbranch_execz .LBB127_12
.LBB127_16:                             ;   in Loop: Header=BB127_4 Depth=1
	s_waitcnt vmcnt(0)
	v_cvt_f32_f16_e32 v16, v13
	v_cmp_u_f16_e32 vcc_lo, v13, v13
	v_cmp_gt_f32_e64 s3, s18, v16
	s_or_b32 vcc_lo, vcc_lo, s3
	v_cndmask_b32_e32 v13, v5, v13, vcc_lo
	global_store_short v[1:2], v13, off
	s_or_b32 exec_lo, exec_lo, s22
	s_and_saveexec_b32 s3, s0
	s_cbranch_execz .LBB127_13
.LBB127_17:                             ;   in Loop: Header=BB127_4 Depth=1
	s_waitcnt vmcnt(0)
	v_cvt_f32_f16_e32 v13, v14
	v_cmp_u_f16_e32 vcc_lo, v14, v14
	v_cmp_gt_f32_e64 s0, s18, v13
	s_or_b32 vcc_lo, vcc_lo, s0
	v_cndmask_b32_e32 v13, v5, v14, vcc_lo
	global_store_short v[3:4], v13, off
	s_or_b32 exec_lo, exec_lo, s3
	s_and_saveexec_b32 s3, s1
	s_cbranch_execz .LBB127_14
.LBB127_18:                             ;   in Loop: Header=BB127_4 Depth=1
	s_waitcnt vmcnt(0)
	v_cvt_f32_f16_e32 v13, v12
	v_cmp_u_f16_e32 vcc_lo, v12, v12
	v_cmp_gt_f32_e64 s0, s18, v13
	s_or_b32 vcc_lo, vcc_lo, s0
	v_cndmask_b32_e32 v14, v5, v12, vcc_lo
	v_add_co_u32 v12, vcc_lo, v1, s19
	v_add_co_ci_u32_e64 v13, null, 0, v2, vcc_lo
	global_store_short v[12:13], v14, off
	s_or_b32 exec_lo, exec_lo, s3
	s_and_saveexec_b32 s1, s2
	s_cbranch_execz .LBB127_3
.LBB127_19:                             ;   in Loop: Header=BB127_4 Depth=1
	s_waitcnt vmcnt(0)
	v_cvt_f32_f16_e32 v12, v15
	v_cmp_u_f16_e32 vcc_lo, v15, v15
	v_cmp_gt_f32_e64 s0, s18, v12
	s_or_b32 vcc_lo, vcc_lo, s0
	v_cndmask_b32_e32 v14, v5, v15, vcc_lo
	v_add_co_u32 v12, vcc_lo, v1, s21
	v_add_co_ci_u32_e64 v13, null, 0, v2, vcc_lo
	global_store_short v[12:13], v14, off
	s_branch .LBB127_3
.LBB127_20:
	s_cbranch_execz .LBB127_22
	s_branch .LBB127_25
.LBB127_21:
.LBB127_22:
	v_cmp_gt_i64_e64 s0, 0x10000, s[10:11]
	v_mov_b32_e32 v2, 0
	v_lshlrev_b32_e32 v1, 2, v0
	s_mov_b32 s12, 0
	s_and_b32 s0, s0, exec_lo
	s_cselect_b32 s11, s11, 0
	s_cselect_b32 s10, s10, 0x10000
	s_mov_b32 s0, exec_lo
	v_cmpx_gt_i64_e64 s[10:11], v[1:2]
	s_cbranch_execz .LBB127_25
; %bb.23:
	s_load_dword s0, s[4:5], 0xdd4
	v_cvt_f16_f32_e32 v4, s18
	v_mov_b32_e32 v1, v2
	v_lshlrev_b32_e32 v2, 3, v0
	v_and_b32_e32 v3, 0xffff, v4
	v_lshl_or_b32 v5, v4, 16, v3
	s_waitcnt lgkmcnt(0)
	s_and_b32 s13, s0, 0xffff
	s_add_u32 s0, s6, s8
	s_addc_u32 s1, s7, s9
	v_add_co_u32 v2, s0, s0, v2
	v_add_co_ci_u32_e64 v6, null, s1, 0, s0
	s_mov_b32 s6, s18
	v_add_co_u32 v2, vcc_lo, v2, 6
	v_add_co_ci_u32_e64 v3, null, 0, v6, vcc_lo
	v_lshrrev_b32_e32 v6, 16, v5
	s_lshl_b32 s7, s13, 3
.LBB127_24:                             ; =>This Inner Loop Header: Depth=1
	global_load_dwordx2 v[7:8], v[2:3], off offset:-6
	v_add_co_u32 v0, vcc_lo, v0, s13
	v_add_co_ci_u32_e64 v1, null, 0, v1, vcc_lo
	s_waitcnt vmcnt(0)
	v_cvt_f32_f16_e32 v9, v7
	v_lshrrev_b32_e32 v10, 16, v8
	v_lshrrev_b32_e32 v11, 16, v7
	v_cmp_u_f16_e32 vcc_lo, v7, v7
	v_cvt_f32_f16_e32 v12, v8
	v_cmp_gt_f32_e64 s1, s18, v9
	v_cvt_f32_f16_e32 v9, v10
	v_cvt_f32_f16_e32 v13, v11
	v_cmp_u_f16_e64 s0, v8, v8
	v_cmp_gt_f32_e64 s4, s6, v12
	s_or_b32 vcc_lo, vcc_lo, s1
	v_cmp_u_f16_e64 s2, v10, v10
	v_cmp_u_f16_e64 s3, v11, v11
	v_cmp_gt_f32_e64 s5, s18, v9
	v_cndmask_b32_e32 v9, v4, v7, vcc_lo
	v_cmp_gt_f32_e32 vcc_lo, s18, v13
	s_or_b32 s0, s0, s4
	v_cndmask_b32_e64 v12, v6, v8, s0
	s_or_b32 s0, s2, s5
	s_or_b32 vcc_lo, s3, vcc_lo
	v_cndmask_b32_e64 v10, v4, v10, s0
	v_cndmask_b32_e32 v11, v5, v11, vcc_lo
	v_lshlrev_b64 v[7:8], 2, v[0:1]
	v_perm_b32 v10, v10, v12, 0x5040100
	v_perm_b32 v9, v11, v9, 0x5040100
	v_cmp_le_i64_e32 vcc_lo, s[10:11], v[7:8]
	global_store_dwordx2 v[2:3], v[9:10], off offset:-6
	v_add_co_u32 v2, s0, v2, s7
	v_add_co_ci_u32_e64 v3, null, 0, v3, s0
	s_or_b32 s12, vcc_lo, s12
	s_andn2_b32 exec_lo, exec_lo, s12
	s_cbranch_execnz .LBB127_24
.LBB127_25:
	s_endpgm
	.section	.rodata,"a",@progbits
	.p2align	6, 0x0
	.amdhsa_kernel _ZN2at6native12_GLOBAL__N_125multi_tensor_apply_kernelINS1_28TensorListScalarListMetadataIfLi1EEENS1_25BinaryOpScalarListFunctorIN3c104HalfELi1ELi1ELi0EEEJNS0_7minimumIfEEEEEvT_T0_DpT1_
		.amdhsa_group_segment_fixed_size 0
		.amdhsa_private_segment_fixed_size 0
		.amdhsa_kernarg_size 3784
		.amdhsa_user_sgpr_count 6
		.amdhsa_user_sgpr_private_segment_buffer 1
		.amdhsa_user_sgpr_dispatch_ptr 0
		.amdhsa_user_sgpr_queue_ptr 0
		.amdhsa_user_sgpr_kernarg_segment_ptr 1
		.amdhsa_user_sgpr_dispatch_id 0
		.amdhsa_user_sgpr_flat_scratch_init 0
		.amdhsa_user_sgpr_private_segment_size 0
		.amdhsa_wavefront_size32 1
		.amdhsa_uses_dynamic_stack 0
		.amdhsa_system_sgpr_private_segment_wavefront_offset 0
		.amdhsa_system_sgpr_workgroup_id_x 1
		.amdhsa_system_sgpr_workgroup_id_y 0
		.amdhsa_system_sgpr_workgroup_id_z 0
		.amdhsa_system_sgpr_workgroup_info 0
		.amdhsa_system_vgpr_workitem_id 0
		.amdhsa_next_free_vgpr 17
		.amdhsa_next_free_sgpr 23
		.amdhsa_reserve_vcc 1
		.amdhsa_reserve_flat_scratch 0
		.amdhsa_float_round_mode_32 0
		.amdhsa_float_round_mode_16_64 0
		.amdhsa_float_denorm_mode_32 3
		.amdhsa_float_denorm_mode_16_64 3
		.amdhsa_dx10_clamp 1
		.amdhsa_ieee_mode 1
		.amdhsa_fp16_overflow 0
		.amdhsa_workgroup_processor_mode 1
		.amdhsa_memory_ordered 1
		.amdhsa_forward_progress 1
		.amdhsa_shared_vgpr_count 0
		.amdhsa_exception_fp_ieee_invalid_op 0
		.amdhsa_exception_fp_denorm_src 0
		.amdhsa_exception_fp_ieee_div_zero 0
		.amdhsa_exception_fp_ieee_overflow 0
		.amdhsa_exception_fp_ieee_underflow 0
		.amdhsa_exception_fp_ieee_inexact 0
		.amdhsa_exception_int_div_zero 0
	.end_amdhsa_kernel
	.section	.text._ZN2at6native12_GLOBAL__N_125multi_tensor_apply_kernelINS1_28TensorListScalarListMetadataIfLi1EEENS1_25BinaryOpScalarListFunctorIN3c104HalfELi1ELi1ELi0EEEJNS0_7minimumIfEEEEEvT_T0_DpT1_,"axG",@progbits,_ZN2at6native12_GLOBAL__N_125multi_tensor_apply_kernelINS1_28TensorListScalarListMetadataIfLi1EEENS1_25BinaryOpScalarListFunctorIN3c104HalfELi1ELi1ELi0EEEJNS0_7minimumIfEEEEEvT_T0_DpT1_,comdat
.Lfunc_end127:
	.size	_ZN2at6native12_GLOBAL__N_125multi_tensor_apply_kernelINS1_28TensorListScalarListMetadataIfLi1EEENS1_25BinaryOpScalarListFunctorIN3c104HalfELi1ELi1ELi0EEEJNS0_7minimumIfEEEEEvT_T0_DpT1_, .Lfunc_end127-_ZN2at6native12_GLOBAL__N_125multi_tensor_apply_kernelINS1_28TensorListScalarListMetadataIfLi1EEENS1_25BinaryOpScalarListFunctorIN3c104HalfELi1ELi1ELi0EEEJNS0_7minimumIfEEEEEvT_T0_DpT1_
                                        ; -- End function
	.set _ZN2at6native12_GLOBAL__N_125multi_tensor_apply_kernelINS1_28TensorListScalarListMetadataIfLi1EEENS1_25BinaryOpScalarListFunctorIN3c104HalfELi1ELi1ELi0EEEJNS0_7minimumIfEEEEEvT_T0_DpT1_.num_vgpr, 17
	.set _ZN2at6native12_GLOBAL__N_125multi_tensor_apply_kernelINS1_28TensorListScalarListMetadataIfLi1EEENS1_25BinaryOpScalarListFunctorIN3c104HalfELi1ELi1ELi0EEEJNS0_7minimumIfEEEEEvT_T0_DpT1_.num_agpr, 0
	.set _ZN2at6native12_GLOBAL__N_125multi_tensor_apply_kernelINS1_28TensorListScalarListMetadataIfLi1EEENS1_25BinaryOpScalarListFunctorIN3c104HalfELi1ELi1ELi0EEEJNS0_7minimumIfEEEEEvT_T0_DpT1_.numbered_sgpr, 23
	.set _ZN2at6native12_GLOBAL__N_125multi_tensor_apply_kernelINS1_28TensorListScalarListMetadataIfLi1EEENS1_25BinaryOpScalarListFunctorIN3c104HalfELi1ELi1ELi0EEEJNS0_7minimumIfEEEEEvT_T0_DpT1_.num_named_barrier, 0
	.set _ZN2at6native12_GLOBAL__N_125multi_tensor_apply_kernelINS1_28TensorListScalarListMetadataIfLi1EEENS1_25BinaryOpScalarListFunctorIN3c104HalfELi1ELi1ELi0EEEJNS0_7minimumIfEEEEEvT_T0_DpT1_.private_seg_size, 0
	.set _ZN2at6native12_GLOBAL__N_125multi_tensor_apply_kernelINS1_28TensorListScalarListMetadataIfLi1EEENS1_25BinaryOpScalarListFunctorIN3c104HalfELi1ELi1ELi0EEEJNS0_7minimumIfEEEEEvT_T0_DpT1_.uses_vcc, 1
	.set _ZN2at6native12_GLOBAL__N_125multi_tensor_apply_kernelINS1_28TensorListScalarListMetadataIfLi1EEENS1_25BinaryOpScalarListFunctorIN3c104HalfELi1ELi1ELi0EEEJNS0_7minimumIfEEEEEvT_T0_DpT1_.uses_flat_scratch, 0
	.set _ZN2at6native12_GLOBAL__N_125multi_tensor_apply_kernelINS1_28TensorListScalarListMetadataIfLi1EEENS1_25BinaryOpScalarListFunctorIN3c104HalfELi1ELi1ELi0EEEJNS0_7minimumIfEEEEEvT_T0_DpT1_.has_dyn_sized_stack, 0
	.set _ZN2at6native12_GLOBAL__N_125multi_tensor_apply_kernelINS1_28TensorListScalarListMetadataIfLi1EEENS1_25BinaryOpScalarListFunctorIN3c104HalfELi1ELi1ELi0EEEJNS0_7minimumIfEEEEEvT_T0_DpT1_.has_recursion, 0
	.set _ZN2at6native12_GLOBAL__N_125multi_tensor_apply_kernelINS1_28TensorListScalarListMetadataIfLi1EEENS1_25BinaryOpScalarListFunctorIN3c104HalfELi1ELi1ELi0EEEJNS0_7minimumIfEEEEEvT_T0_DpT1_.has_indirect_call, 0
	.section	.AMDGPU.csdata,"",@progbits
; Kernel info:
; codeLenInByte = 1360
; TotalNumSgprs: 25
; NumVgprs: 17
; ScratchSize: 0
; MemoryBound: 0
; FloatMode: 240
; IeeeMode: 1
; LDSByteSize: 0 bytes/workgroup (compile time only)
; SGPRBlocks: 0
; VGPRBlocks: 2
; NumSGPRsForWavesPerEU: 25
; NumVGPRsForWavesPerEU: 17
; Occupancy: 16
; WaveLimiterHint : 0
; COMPUTE_PGM_RSRC2:SCRATCH_EN: 0
; COMPUTE_PGM_RSRC2:USER_SGPR: 6
; COMPUTE_PGM_RSRC2:TRAP_HANDLER: 0
; COMPUTE_PGM_RSRC2:TGID_X_EN: 1
; COMPUTE_PGM_RSRC2:TGID_Y_EN: 0
; COMPUTE_PGM_RSRC2:TGID_Z_EN: 0
; COMPUTE_PGM_RSRC2:TIDIG_COMP_CNT: 0
	.section	.text._ZN2at6native12_GLOBAL__N_125multi_tensor_apply_kernelINS1_28TensorListScalarListMetadataIfLi1EEENS1_25BinaryOpScalarListFunctorIN3c108BFloat16ELi1ELi1ELi0EEEJNS0_7minimumIfEEEEEvT_T0_DpT1_,"axG",@progbits,_ZN2at6native12_GLOBAL__N_125multi_tensor_apply_kernelINS1_28TensorListScalarListMetadataIfLi1EEENS1_25BinaryOpScalarListFunctorIN3c108BFloat16ELi1ELi1ELi0EEEJNS0_7minimumIfEEEEEvT_T0_DpT1_,comdat
	.globl	_ZN2at6native12_GLOBAL__N_125multi_tensor_apply_kernelINS1_28TensorListScalarListMetadataIfLi1EEENS1_25BinaryOpScalarListFunctorIN3c108BFloat16ELi1ELi1ELi0EEEJNS0_7minimumIfEEEEEvT_T0_DpT1_ ; -- Begin function _ZN2at6native12_GLOBAL__N_125multi_tensor_apply_kernelINS1_28TensorListScalarListMetadataIfLi1EEENS1_25BinaryOpScalarListFunctorIN3c108BFloat16ELi1ELi1ELi0EEEJNS0_7minimumIfEEEEEvT_T0_DpT1_
	.p2align	8
	.type	_ZN2at6native12_GLOBAL__N_125multi_tensor_apply_kernelINS1_28TensorListScalarListMetadataIfLi1EEENS1_25BinaryOpScalarListFunctorIN3c108BFloat16ELi1ELi1ELi0EEEJNS0_7minimumIfEEEEEvT_T0_DpT1_,@function
_ZN2at6native12_GLOBAL__N_125multi_tensor_apply_kernelINS1_28TensorListScalarListMetadataIfLi1EEENS1_25BinaryOpScalarListFunctorIN3c108BFloat16ELi1ELi1ELi0EEEJNS0_7minimumIfEEEEEvT_T0_DpT1_: ; @_ZN2at6native12_GLOBAL__N_125multi_tensor_apply_kernelINS1_28TensorListScalarListMetadataIfLi1EEENS1_25BinaryOpScalarListFunctorIN3c108BFloat16ELi1ELi1ELi0EEEJNS0_7minimumIfEEEEEvT_T0_DpT1_
; %bb.0:
	v_mov_b32_e32 v1, s6
	s_add_u32 s0, s4, s6
	s_mul_i32 s1, s6, 3
	s_mul_hi_u32 s2, s6, 3
	s_addc_u32 s3, s5, 0
	global_load_ubyte v1, v1, s[4:5] offset:1920
	s_add_u32 s0, s0, s1
	s_addc_u32 s1, s3, s2
	s_mov_b32 s13, 0
	s_load_dword s0, s[0:1], 0x8c0
	s_waitcnt vmcnt(0)
	v_readfirstlane_b32 s1, v1
	v_lshlrev_b32_e32 v1, 2, v1
	s_lshl_b32 s8, s1, 3
	v_sub_co_u32 v1, s1, 0, v1
	v_sub_co_ci_u32_e64 v2, null, 0, 0, s1
	s_waitcnt lgkmcnt(0)
	s_ashr_i32 s1, s0, 31
	s_clause 0x1
	s_load_dwordx2 s[2:3], s[4:5], s8 offset:0x300
	s_load_dwordx2 s[6:7], s[4:5], s8 offset:0x0
	s_add_u32 s8, s4, s8
	s_addc_u32 s9, s5, 0
	v_add_co_u32 v1, vcc_lo, s8, v1
	v_add_co_ci_u32_e64 v2, null, s9, v2, vcc_lo
	v_readfirstlane_b32 s8, v1
	v_readfirstlane_b32 s9, v2
	s_load_dword s18, s[8:9], 0x600
	s_lshl_b64 s[8:9], s[0:1], 17
	s_lshl_b64 s[0:1], s[0:1], 16
	s_waitcnt lgkmcnt(0)
	s_and_b32 s12, s6, 7
	s_sub_u32 s10, s2, s0
	s_subb_u32 s11, s3, s1
	s_and_b32 s0, s2, 3
	s_mov_b32 s1, s13
	s_or_b64 s[0:1], s[12:13], s[0:1]
	s_cmp_eq_u64 s[0:1], 0
	s_cbranch_scc1 .LBB128_21
; %bb.1:
	v_cmp_lt_i64_e64 s0, s[10:11], 1
	s_and_b32 vcc_lo, exec_lo, s0
	s_cbranch_vccnz .LBB128_20
; %bb.2:
	s_load_dword s0, s[4:5], 0xdd4
	v_cmp_gt_i64_e64 s1, 0x10000, s[10:11]
	v_cmp_gt_u64_e64 s2, 0x10000, s[10:11]
	v_lshlrev_b32_e32 v1, 1, v0
	v_mov_b32_e32 v11, 0x7fc0
	s_and_b32 s1, s1, exec_lo
	s_cselect_b32 s13, s11, 0
	s_cselect_b32 s12, s10, 0x10000
	s_waitcnt lgkmcnt(0)
	s_and_b32 s0, s0, 0xffff
	s_and_b32 s1, s2, exec_lo
	v_add_co_u32 v5, s3, v0, s0
	s_cselect_b32 s15, s11, 0
	s_cselect_b32 s14, s10, 0x10000
	s_lshl_b32 s1, s0, 1
	v_lshlrev_b32_e32 v3, 1, v5
	s_mul_i32 s2, s0, 3
	s_lshl_b32 s19, s0, 2
	s_add_u32 s16, s6, s8
	v_add_co_u32 v6, s2, s2, v0
	v_add_co_u32 v9, s1, s1, v0
	s_addc_u32 s17, s7, s9
	v_add_co_ci_u32_e64 v7, null, 0, 0, s2
	v_add_co_u32 v1, s2, s16, v1
	v_add_co_ci_u32_e64 v10, null, 0, 0, s1
	v_add_co_u32 v3, s1, s16, v3
	v_add_co_ci_u32_e64 v2, null, s17, 0, s2
	v_add_co_ci_u32_e64 v8, null, 0, 0, s3
	;; [unrolled: 1-line block ×3, first 2 shown]
	s_lshl_b32 s20, s0, 3
	s_mul_i32 s21, s0, 6
	s_mov_b64 s[16:17], 0
	s_branch .LBB128_4
.LBB128_3:                              ;   in Loop: Header=BB128_4 Depth=1
	s_or_b32 exec_lo, exec_lo, s1
	s_add_u32 s16, s16, s19
	s_addc_u32 s17, s17, 0
	v_add_co_u32 v1, vcc_lo, v1, s20
	v_cmp_lt_i64_e64 s0, s[16:17], s[12:13]
	v_add_co_ci_u32_e64 v2, null, 0, v2, vcc_lo
	v_add_co_u32 v3, vcc_lo, v3, s20
	v_add_co_ci_u32_e64 v4, null, 0, v4, vcc_lo
	s_and_b32 vcc_lo, exec_lo, s0
	s_cbranch_vccz .LBB128_20
.LBB128_4:                              ; =>This Inner Loop Header: Depth=1
	v_add_co_u32 v12, s0, v0, s16
	v_add_co_ci_u32_e64 v13, null, 0, s17, s0
	v_cmp_gt_u64_e32 vcc_lo, s[14:15], v[12:13]
	v_mov_b32_e32 v13, 0
	s_and_saveexec_b32 s0, vcc_lo
	s_cbranch_execz .LBB128_6
; %bb.5:                                ;   in Loop: Header=BB128_4 Depth=1
	global_load_ushort v12, v[1:2], off
	s_waitcnt vmcnt(0)
	v_lshlrev_b32_e32 v13, 16, v12
.LBB128_6:                              ;   in Loop: Header=BB128_4 Depth=1
	s_or_b32 exec_lo, exec_lo, s0
	v_add_co_u32 v14, s0, v5, s16
	v_add_co_ci_u32_e64 v15, null, s17, v8, s0
	v_mov_b32_e32 v12, 0
	v_cmp_gt_u64_e64 s1, s[14:15], v[14:15]
	v_mov_b32_e32 v14, 0
	s_and_saveexec_b32 s0, s1
	s_cbranch_execz .LBB128_8
; %bb.7:                                ;   in Loop: Header=BB128_4 Depth=1
	global_load_ushort v14, v[3:4], off
	s_waitcnt vmcnt(0)
	v_lshlrev_b32_e32 v14, 16, v14
.LBB128_8:                              ;   in Loop: Header=BB128_4 Depth=1
	s_or_b32 exec_lo, exec_lo, s0
	v_add_co_u32 v15, s0, v9, s16
	v_add_co_ci_u32_e64 v16, null, s17, v10, s0
	v_cmp_gt_u64_e64 s2, s[14:15], v[15:16]
	s_and_saveexec_b32 s3, s2
	s_cbranch_execz .LBB128_10
; %bb.9:                                ;   in Loop: Header=BB128_4 Depth=1
	v_add_co_u32 v15, s0, v1, s19
	v_add_co_ci_u32_e64 v16, null, 0, v2, s0
	global_load_ushort v12, v[15:16], off
	s_waitcnt vmcnt(0)
	v_lshlrev_b32_e32 v12, 16, v12
.LBB128_10:                             ;   in Loop: Header=BB128_4 Depth=1
	s_or_b32 exec_lo, exec_lo, s3
	v_add_co_u32 v15, s0, v6, s16
	v_add_co_ci_u32_e64 v16, null, s17, v7, s0
	v_cmp_gt_u64_e64 s0, s[14:15], v[15:16]
	v_mov_b32_e32 v15, 0
	s_and_saveexec_b32 s22, s0
	s_cbranch_execnz .LBB128_15
; %bb.11:                               ;   in Loop: Header=BB128_4 Depth=1
	s_or_b32 exec_lo, exec_lo, s22
	s_and_saveexec_b32 s22, vcc_lo
	s_cbranch_execnz .LBB128_16
.LBB128_12:                             ;   in Loop: Header=BB128_4 Depth=1
	s_or_b32 exec_lo, exec_lo, s22
	s_and_saveexec_b32 s3, s1
	s_cbranch_execnz .LBB128_17
.LBB128_13:                             ;   in Loop: Header=BB128_4 Depth=1
	s_or_b32 exec_lo, exec_lo, s3
	s_and_saveexec_b32 s3, s2
	s_cbranch_execnz .LBB128_18
.LBB128_14:                             ;   in Loop: Header=BB128_4 Depth=1
	s_or_b32 exec_lo, exec_lo, s3
	s_and_saveexec_b32 s1, s0
	s_cbranch_execz .LBB128_3
	s_branch .LBB128_19
.LBB128_15:                             ;   in Loop: Header=BB128_4 Depth=1
	v_add_co_u32 v15, s3, v1, s21
	v_add_co_ci_u32_e64 v16, null, 0, v2, s3
	global_load_ushort v15, v[15:16], off
	s_waitcnt vmcnt(0)
	v_lshlrev_b32_e32 v15, 16, v15
	s_or_b32 exec_lo, exec_lo, s22
	s_and_saveexec_b32 s22, vcc_lo
	s_cbranch_execz .LBB128_12
.LBB128_16:                             ;   in Loop: Header=BB128_4 Depth=1
	v_cmp_u_f32_e32 vcc_lo, v13, v13
	v_cmp_gt_f32_e64 s3, s18, v13
	s_or_b32 vcc_lo, vcc_lo, s3
	v_cndmask_b32_e32 v13, s18, v13, vcc_lo
	v_bfe_u32 v16, v13, 16, 1
	v_cmp_o_f32_e32 vcc_lo, v13, v13
	v_add3_u32 v13, v13, v16, 0x7fff
	v_cndmask_b32_sdwa v13, v11, v13, vcc_lo dst_sel:DWORD dst_unused:UNUSED_PAD src0_sel:DWORD src1_sel:WORD_1
	global_store_short v[1:2], v13, off
	s_or_b32 exec_lo, exec_lo, s22
	s_and_saveexec_b32 s3, s1
	s_cbranch_execz .LBB128_13
.LBB128_17:                             ;   in Loop: Header=BB128_4 Depth=1
	v_cmp_u_f32_e32 vcc_lo, v14, v14
	v_cmp_gt_f32_e64 s1, s18, v14
	s_or_b32 vcc_lo, vcc_lo, s1
	v_cndmask_b32_e32 v13, s18, v14, vcc_lo
	v_bfe_u32 v14, v13, 16, 1
	v_cmp_o_f32_e32 vcc_lo, v13, v13
	v_add3_u32 v13, v13, v14, 0x7fff
	v_cndmask_b32_sdwa v13, v11, v13, vcc_lo dst_sel:DWORD dst_unused:UNUSED_PAD src0_sel:DWORD src1_sel:WORD_1
	global_store_short v[3:4], v13, off
	s_or_b32 exec_lo, exec_lo, s3
	s_and_saveexec_b32 s3, s2
	s_cbranch_execz .LBB128_14
.LBB128_18:                             ;   in Loop: Header=BB128_4 Depth=1
	v_cmp_u_f32_e32 vcc_lo, v12, v12
	v_cmp_gt_f32_e64 s1, s18, v12
	s_or_b32 vcc_lo, vcc_lo, s1
	v_cndmask_b32_e32 v12, s18, v12, vcc_lo
	v_bfe_u32 v13, v12, 16, 1
	v_cmp_o_f32_e32 vcc_lo, v12, v12
	v_add3_u32 v12, v12, v13, 0x7fff
	v_cndmask_b32_sdwa v14, v11, v12, vcc_lo dst_sel:DWORD dst_unused:UNUSED_PAD src0_sel:DWORD src1_sel:WORD_1
	v_add_co_u32 v12, vcc_lo, v1, s19
	v_add_co_ci_u32_e64 v13, null, 0, v2, vcc_lo
	global_store_short v[12:13], v14, off
	s_or_b32 exec_lo, exec_lo, s3
	s_and_saveexec_b32 s1, s0
	s_cbranch_execz .LBB128_3
.LBB128_19:                             ;   in Loop: Header=BB128_4 Depth=1
	v_cmp_u_f32_e32 vcc_lo, v15, v15
	v_cmp_gt_f32_e64 s0, s18, v15
	s_or_b32 vcc_lo, vcc_lo, s0
	v_cndmask_b32_e32 v12, s18, v15, vcc_lo
	v_bfe_u32 v13, v12, 16, 1
	v_cmp_o_f32_e32 vcc_lo, v12, v12
	v_add3_u32 v12, v12, v13, 0x7fff
	v_cndmask_b32_sdwa v14, v11, v12, vcc_lo dst_sel:DWORD dst_unused:UNUSED_PAD src0_sel:DWORD src1_sel:WORD_1
	v_add_co_u32 v12, vcc_lo, v1, s21
	v_add_co_ci_u32_e64 v13, null, 0, v2, vcc_lo
	global_store_short v[12:13], v14, off
	s_branch .LBB128_3
.LBB128_20:
	s_cbranch_execz .LBB128_22
	s_branch .LBB128_25
.LBB128_21:
.LBB128_22:
	v_cmp_gt_i64_e64 s0, 0x10000, s[10:11]
	v_mov_b32_e32 v2, 0
	v_lshlrev_b32_e32 v1, 2, v0
	s_mov_b32 s12, 0
	s_and_b32 s0, s0, exec_lo
	s_cselect_b32 s11, s11, 0
	s_cselect_b32 s10, s10, 0x10000
	s_mov_b32 s0, exec_lo
	v_cmpx_gt_i64_e64 s[10:11], v[1:2]
	s_cbranch_execz .LBB128_25
; %bb.23:
	s_load_dword s0, s[4:5], 0xdd4
	v_mov_b32_e32 v1, v2
	v_lshlrev_b32_e32 v2, 3, v0
	s_waitcnt lgkmcnt(0)
	s_and_b32 s5, s0, 0xffff
	s_add_u32 s0, s6, s8
	s_addc_u32 s1, s7, s9
	v_add_co_u32 v2, s0, s0, v2
	v_add_co_ci_u32_e64 v3, null, s1, 0, s0
	s_lshl_b32 s6, s5, 3
.LBB128_24:                             ; =>This Inner Loop Header: Depth=1
	global_load_dwordx2 v[4:5], v[2:3], off
	s_waitcnt vmcnt(0)
	v_and_b32_e32 v7, 0xffff0000, v4
	v_lshlrev_b32_e32 v6, 16, v4
	v_alignbit_b32 v4, v5, v4, 16
	v_and_b32_e32 v5, 0xffff0000, v5
	v_cmp_u_f32_e64 s1, v7, v7
	v_cmp_gt_f32_e64 s2, s18, v7
	v_cmp_u_f32_e32 vcc_lo, v6, v6
	v_cmp_gt_f32_e64 s0, s18, v6
	v_and_b32_e32 v4, 0xffff0000, v4
	v_cmp_u_f32_e64 s3, v5, v5
	s_or_b32 s1, s1, s2
	v_cmp_gt_f32_e64 s4, s18, v5
	v_cndmask_b32_e64 v7, s18, v7, s1
	s_or_b32 vcc_lo, vcc_lo, s0
	v_cmp_gt_f32_e64 s0, s18, v4
	v_cndmask_b32_e32 v6, s18, v6, vcc_lo
	v_cmp_u_f32_e32 vcc_lo, v4, v4
	v_bfe_u32 v9, v7, 16, 1
	s_or_b32 s1, s3, s4
	v_cndmask_b32_e64 v5, s18, v5, s1
	v_bfe_u32 v8, v6, 16, 1
	v_add3_u32 v9, v7, v9, 0x7fff
	s_or_b32 vcc_lo, vcc_lo, s0
	v_cndmask_b32_e32 v4, s18, v4, vcc_lo
	v_add_co_u32 v0, vcc_lo, v0, s5
	v_bfe_u32 v10, v5, 16, 1
	v_add3_u32 v8, v6, v8, 0x7fff
	v_add_co_ci_u32_e64 v1, null, 0, v1, vcc_lo
	v_and_b32_e32 v9, 0xffff0000, v9
	v_cmp_o_f32_e32 vcc_lo, v7, v7
	v_bfe_u32 v11, v4, 16, 1
	v_add3_u32 v10, v5, v10, 0x7fff
	v_lshrrev_b32_e32 v8, 16, v8
	v_cndmask_b32_e32 v7, 0x7fc00000, v9, vcc_lo
	v_cmp_o_f32_e32 vcc_lo, v6, v6
	v_add3_u32 v11, v4, v11, 0x7fff
	v_and_b32_e32 v10, 0xffff0000, v10
	v_cndmask_b32_e32 v6, 0x7fc0, v8, vcc_lo
	v_cmp_o_f32_e32 vcc_lo, v5, v5
	v_lshrrev_b32_e32 v11, 16, v11
	v_or_b32_e32 v6, v6, v7
	v_cndmask_b32_e32 v8, 0x7fc00000, v10, vcc_lo
	v_cmp_o_f32_e32 vcc_lo, v4, v4
	v_lshlrev_b64 v[4:5], 2, v[0:1]
	v_or3_b32 v6, v6, 0, 0
	v_cndmask_b32_e32 v9, 0x7fc0, v11, vcc_lo
	v_cmp_le_i64_e32 vcc_lo, s[10:11], v[4:5]
	v_or3_b32 v7, 0, v9, v8
	s_or_b32 s12, vcc_lo, s12
	global_store_dwordx2 v[2:3], v[6:7], off
	v_add_co_u32 v2, s0, v2, s6
	v_add_co_ci_u32_e64 v3, null, 0, v3, s0
	s_andn2_b32 exec_lo, exec_lo, s12
	s_cbranch_execnz .LBB128_24
.LBB128_25:
	s_endpgm
	.section	.rodata,"a",@progbits
	.p2align	6, 0x0
	.amdhsa_kernel _ZN2at6native12_GLOBAL__N_125multi_tensor_apply_kernelINS1_28TensorListScalarListMetadataIfLi1EEENS1_25BinaryOpScalarListFunctorIN3c108BFloat16ELi1ELi1ELi0EEEJNS0_7minimumIfEEEEEvT_T0_DpT1_
		.amdhsa_group_segment_fixed_size 0
		.amdhsa_private_segment_fixed_size 0
		.amdhsa_kernarg_size 3784
		.amdhsa_user_sgpr_count 6
		.amdhsa_user_sgpr_private_segment_buffer 1
		.amdhsa_user_sgpr_dispatch_ptr 0
		.amdhsa_user_sgpr_queue_ptr 0
		.amdhsa_user_sgpr_kernarg_segment_ptr 1
		.amdhsa_user_sgpr_dispatch_id 0
		.amdhsa_user_sgpr_flat_scratch_init 0
		.amdhsa_user_sgpr_private_segment_size 0
		.amdhsa_wavefront_size32 1
		.amdhsa_uses_dynamic_stack 0
		.amdhsa_system_sgpr_private_segment_wavefront_offset 0
		.amdhsa_system_sgpr_workgroup_id_x 1
		.amdhsa_system_sgpr_workgroup_id_y 0
		.amdhsa_system_sgpr_workgroup_id_z 0
		.amdhsa_system_sgpr_workgroup_info 0
		.amdhsa_system_vgpr_workitem_id 0
		.amdhsa_next_free_vgpr 17
		.amdhsa_next_free_sgpr 23
		.amdhsa_reserve_vcc 1
		.amdhsa_reserve_flat_scratch 0
		.amdhsa_float_round_mode_32 0
		.amdhsa_float_round_mode_16_64 0
		.amdhsa_float_denorm_mode_32 3
		.amdhsa_float_denorm_mode_16_64 3
		.amdhsa_dx10_clamp 1
		.amdhsa_ieee_mode 1
		.amdhsa_fp16_overflow 0
		.amdhsa_workgroup_processor_mode 1
		.amdhsa_memory_ordered 1
		.amdhsa_forward_progress 1
		.amdhsa_shared_vgpr_count 0
		.amdhsa_exception_fp_ieee_invalid_op 0
		.amdhsa_exception_fp_denorm_src 0
		.amdhsa_exception_fp_ieee_div_zero 0
		.amdhsa_exception_fp_ieee_overflow 0
		.amdhsa_exception_fp_ieee_underflow 0
		.amdhsa_exception_fp_ieee_inexact 0
		.amdhsa_exception_int_div_zero 0
	.end_amdhsa_kernel
	.section	.text._ZN2at6native12_GLOBAL__N_125multi_tensor_apply_kernelINS1_28TensorListScalarListMetadataIfLi1EEENS1_25BinaryOpScalarListFunctorIN3c108BFloat16ELi1ELi1ELi0EEEJNS0_7minimumIfEEEEEvT_T0_DpT1_,"axG",@progbits,_ZN2at6native12_GLOBAL__N_125multi_tensor_apply_kernelINS1_28TensorListScalarListMetadataIfLi1EEENS1_25BinaryOpScalarListFunctorIN3c108BFloat16ELi1ELi1ELi0EEEJNS0_7minimumIfEEEEEvT_T0_DpT1_,comdat
.Lfunc_end128:
	.size	_ZN2at6native12_GLOBAL__N_125multi_tensor_apply_kernelINS1_28TensorListScalarListMetadataIfLi1EEENS1_25BinaryOpScalarListFunctorIN3c108BFloat16ELi1ELi1ELi0EEEJNS0_7minimumIfEEEEEvT_T0_DpT1_, .Lfunc_end128-_ZN2at6native12_GLOBAL__N_125multi_tensor_apply_kernelINS1_28TensorListScalarListMetadataIfLi1EEENS1_25BinaryOpScalarListFunctorIN3c108BFloat16ELi1ELi1ELi0EEEJNS0_7minimumIfEEEEEvT_T0_DpT1_
                                        ; -- End function
	.set _ZN2at6native12_GLOBAL__N_125multi_tensor_apply_kernelINS1_28TensorListScalarListMetadataIfLi1EEENS1_25BinaryOpScalarListFunctorIN3c108BFloat16ELi1ELi1ELi0EEEJNS0_7minimumIfEEEEEvT_T0_DpT1_.num_vgpr, 17
	.set _ZN2at6native12_GLOBAL__N_125multi_tensor_apply_kernelINS1_28TensorListScalarListMetadataIfLi1EEENS1_25BinaryOpScalarListFunctorIN3c108BFloat16ELi1ELi1ELi0EEEJNS0_7minimumIfEEEEEvT_T0_DpT1_.num_agpr, 0
	.set _ZN2at6native12_GLOBAL__N_125multi_tensor_apply_kernelINS1_28TensorListScalarListMetadataIfLi1EEENS1_25BinaryOpScalarListFunctorIN3c108BFloat16ELi1ELi1ELi0EEEJNS0_7minimumIfEEEEEvT_T0_DpT1_.numbered_sgpr, 23
	.set _ZN2at6native12_GLOBAL__N_125multi_tensor_apply_kernelINS1_28TensorListScalarListMetadataIfLi1EEENS1_25BinaryOpScalarListFunctorIN3c108BFloat16ELi1ELi1ELi0EEEJNS0_7minimumIfEEEEEvT_T0_DpT1_.num_named_barrier, 0
	.set _ZN2at6native12_GLOBAL__N_125multi_tensor_apply_kernelINS1_28TensorListScalarListMetadataIfLi1EEENS1_25BinaryOpScalarListFunctorIN3c108BFloat16ELi1ELi1ELi0EEEJNS0_7minimumIfEEEEEvT_T0_DpT1_.private_seg_size, 0
	.set _ZN2at6native12_GLOBAL__N_125multi_tensor_apply_kernelINS1_28TensorListScalarListMetadataIfLi1EEENS1_25BinaryOpScalarListFunctorIN3c108BFloat16ELi1ELi1ELi0EEEJNS0_7minimumIfEEEEEvT_T0_DpT1_.uses_vcc, 1
	.set _ZN2at6native12_GLOBAL__N_125multi_tensor_apply_kernelINS1_28TensorListScalarListMetadataIfLi1EEENS1_25BinaryOpScalarListFunctorIN3c108BFloat16ELi1ELi1ELi0EEEJNS0_7minimumIfEEEEEvT_T0_DpT1_.uses_flat_scratch, 0
	.set _ZN2at6native12_GLOBAL__N_125multi_tensor_apply_kernelINS1_28TensorListScalarListMetadataIfLi1EEENS1_25BinaryOpScalarListFunctorIN3c108BFloat16ELi1ELi1ELi0EEEJNS0_7minimumIfEEEEEvT_T0_DpT1_.has_dyn_sized_stack, 0
	.set _ZN2at6native12_GLOBAL__N_125multi_tensor_apply_kernelINS1_28TensorListScalarListMetadataIfLi1EEENS1_25BinaryOpScalarListFunctorIN3c108BFloat16ELi1ELi1ELi0EEEJNS0_7minimumIfEEEEEvT_T0_DpT1_.has_recursion, 0
	.set _ZN2at6native12_GLOBAL__N_125multi_tensor_apply_kernelINS1_28TensorListScalarListMetadataIfLi1EEENS1_25BinaryOpScalarListFunctorIN3c108BFloat16ELi1ELi1ELi0EEEJNS0_7minimumIfEEEEEvT_T0_DpT1_.has_indirect_call, 0
	.section	.AMDGPU.csdata,"",@progbits
; Kernel info:
; codeLenInByte = 1604
; TotalNumSgprs: 25
; NumVgprs: 17
; ScratchSize: 0
; MemoryBound: 0
; FloatMode: 240
; IeeeMode: 1
; LDSByteSize: 0 bytes/workgroup (compile time only)
; SGPRBlocks: 0
; VGPRBlocks: 2
; NumSGPRsForWavesPerEU: 25
; NumVGPRsForWavesPerEU: 17
; Occupancy: 16
; WaveLimiterHint : 0
; COMPUTE_PGM_RSRC2:SCRATCH_EN: 0
; COMPUTE_PGM_RSRC2:USER_SGPR: 6
; COMPUTE_PGM_RSRC2:TRAP_HANDLER: 0
; COMPUTE_PGM_RSRC2:TGID_X_EN: 1
; COMPUTE_PGM_RSRC2:TGID_Y_EN: 0
; COMPUTE_PGM_RSRC2:TGID_Z_EN: 0
; COMPUTE_PGM_RSRC2:TIDIG_COMP_CNT: 0
	.section	.text._ZN2at6native12_GLOBAL__N_125multi_tensor_apply_kernelINS1_28TensorListScalarListMetadataIhLi2EEENS1_25BinaryOpScalarListFunctorIhLi2ELi1ELi1EEEJNS0_7minimumIhEEEEEvT_T0_DpT1_,"axG",@progbits,_ZN2at6native12_GLOBAL__N_125multi_tensor_apply_kernelINS1_28TensorListScalarListMetadataIhLi2EEENS1_25BinaryOpScalarListFunctorIhLi2ELi1ELi1EEEJNS0_7minimumIhEEEEEvT_T0_DpT1_,comdat
	.globl	_ZN2at6native12_GLOBAL__N_125multi_tensor_apply_kernelINS1_28TensorListScalarListMetadataIhLi2EEENS1_25BinaryOpScalarListFunctorIhLi2ELi1ELi1EEEJNS0_7minimumIhEEEEEvT_T0_DpT1_ ; -- Begin function _ZN2at6native12_GLOBAL__N_125multi_tensor_apply_kernelINS1_28TensorListScalarListMetadataIhLi2EEENS1_25BinaryOpScalarListFunctorIhLi2ELi1ELi1EEEJNS0_7minimumIhEEEEEvT_T0_DpT1_
	.p2align	8
	.type	_ZN2at6native12_GLOBAL__N_125multi_tensor_apply_kernelINS1_28TensorListScalarListMetadataIhLi2EEENS1_25BinaryOpScalarListFunctorIhLi2ELi1ELi1EEEJNS0_7minimumIhEEEEEvT_T0_DpT1_,@function
_ZN2at6native12_GLOBAL__N_125multi_tensor_apply_kernelINS1_28TensorListScalarListMetadataIhLi2EEENS1_25BinaryOpScalarListFunctorIhLi2ELi1ELi1EEEJNS0_7minimumIhEEEEEvT_T0_DpT1_: ; @_ZN2at6native12_GLOBAL__N_125multi_tensor_apply_kernelINS1_28TensorListScalarListMetadataIhLi2EEENS1_25BinaryOpScalarListFunctorIhLi2ELi1ELi1EEEJNS0_7minimumIhEEEEEvT_T0_DpT1_
; %bb.0:
	v_mov_b32_e32 v1, s6
	s_mul_hi_u32 s1, s6, 3
	global_load_ubyte v3, v1, s[4:5] offset:1600
	s_waitcnt vmcnt(0)
	v_add_co_u32 v1, s0, s4, v3
	v_add_co_ci_u32_e64 v2, null, s5, 0, s0
	s_add_u32 s0, s4, s6
	s_mul_i32 s6, s6, 3
	s_addc_u32 s2, s5, 0
	global_load_ubyte v1, v[1:2], off offset:1536
	s_add_u32 s0, s0, s6
	s_addc_u32 s1, s2, s1
	v_readfirstlane_b32 s3, v3
	s_load_dword s0, s[0:1], 0x780
	s_lshl_b32 s1, s3, 3
	s_clause 0x2
	s_load_dwordx2 s[6:7], s[4:5], s1 offset:0x0
	s_load_dwordx2 s[2:3], s[4:5], s1 offset:0x400
	;; [unrolled: 1-line block ×3, first 2 shown]
	s_waitcnt lgkmcnt(0)
	s_ashr_i32 s1, s0, 31
	s_lshl_b64 s[10:11], s[0:1], 16
	s_add_u32 s0, s6, s10
	s_sub_u32 s12, s2, s10
	s_subb_u32 s13, s3, s11
	s_or_b32 s1, s2, s8
	s_or_b32 s0, s1, s0
	s_and_b32 s0, s0, 3
	s_cmp_eq_u32 s0, 0
	s_mov_b32 s0, -1
	s_waitcnt vmcnt(0)
	v_readfirstlane_b32 s20, v1
	s_cbranch_scc1 .LBB129_21
; %bb.1:
	v_cmp_lt_i64_e64 s0, s[12:13], 1
	s_and_b32 vcc_lo, exec_lo, s0
	s_cbranch_vccnz .LBB129_20
; %bb.2:
	s_load_dword s0, s[4:5], 0xc94
	v_cmp_gt_i64_e64 s1, 0x10000, s[12:13]
	v_add_co_u32 v15, s2, s10, v0
	v_add_co_ci_u32_e64 v16, null, s11, 0, s2
	v_cmp_gt_u64_e64 s2, 0x10000, s[12:13]
	s_and_b32 s1, s1, exec_lo
	s_cselect_b32 s15, s13, 0
	s_cselect_b32 s14, s12, 0x10000
	v_add_co_u32 v1, vcc_lo, s6, v15
	v_add_co_ci_u32_e64 v2, null, s7, v16, vcc_lo
	v_add_co_u32 v3, vcc_lo, s8, v15
	v_add_co_ci_u32_e64 v4, null, s9, v16, vcc_lo
	s_waitcnt lgkmcnt(0)
	s_and_b32 s0, s0, 0xffff
	s_and_b32 s1, s2, exec_lo
	s_mul_i32 s2, s0, 3
	s_cselect_b32 s17, s13, 0
	s_cselect_b32 s16, s12, 0x10000
	s_lshl_b32 s1, s0, 1
	s_lshl_b32 s21, s0, 2
	s_add_u32 s3, s10, s2
	s_addc_u32 s18, s11, 0
	v_add_co_u32 v7, s3, s3, v0
	v_add_co_ci_u32_e64 v8, null, s18, 0, s3
	s_add_u32 s3, s10, s1
	s_addc_u32 s18, s11, 0
	v_add_co_u32 v13, s3, s3, v0
	v_add_co_u32 v5, vcc_lo, s6, v7
	v_add_co_ci_u32_e64 v14, null, s18, 0, s3
	v_add_co_ci_u32_e64 v6, null, s7, v8, vcc_lo
	v_add_co_u32 v7, vcc_lo, s8, v7
	v_add_co_ci_u32_e64 v8, null, s9, v8, vcc_lo
	v_add_co_u32 v11, vcc_lo, s6, v13
	;; [unrolled: 2-line block ×4, first 2 shown]
	v_add_co_ci_u32_e64 v20, null, 0, v16, vcc_lo
	v_add_co_u32 v9, s2, s2, v0
	v_add_co_u32 v17, vcc_lo, s6, v19
	v_add_co_u32 v15, s1, s1, v0
	v_add_co_ci_u32_e64 v18, null, s7, v20, vcc_lo
	v_add_co_u32 v19, vcc_lo, s8, v19
	v_add_co_u32 v21, s0, v0, s0
	v_add_co_ci_u32_e64 v10, null, 0, 0, s2
	v_add_co_ci_u32_e64 v16, null, 0, 0, s1
	v_add_co_ci_u32_e64 v20, null, s9, v20, vcc_lo
	v_add_co_ci_u32_e64 v22, null, 0, 0, s0
	s_mov_b64 s[18:19], 0
	s_and_b32 s22, s20, 0xff
	s_branch .LBB129_4
.LBB129_3:                              ;   in Loop: Header=BB129_4 Depth=1
	s_or_b32 exec_lo, exec_lo, s0
	s_add_u32 s18, s18, s21
	s_addc_u32 s19, s19, 0
	v_cmp_lt_i64_e64 s0, s[18:19], s[14:15]
	s_and_b32 vcc_lo, exec_lo, s0
	s_cbranch_vccz .LBB129_20
.LBB129_4:                              ; =>This Inner Loop Header: Depth=1
	v_add_co_u32 v23, s0, v0, s18
	v_add_co_ci_u32_e64 v24, null, 0, s19, s0
	v_cmp_gt_u64_e32 vcc_lo, s[16:17], v[23:24]
	v_mov_b32_e32 v24, 0
	s_and_saveexec_b32 s1, vcc_lo
	s_cbranch_execz .LBB129_6
; %bb.5:                                ;   in Loop: Header=BB129_4 Depth=1
	v_add_co_u32 v23, s0, v1, s18
	v_add_co_ci_u32_e64 v24, null, s19, v2, s0
	global_load_ubyte v23, v[23:24], off
	s_waitcnt vmcnt(0)
	v_min_u16 v24, v23, s22
.LBB129_6:                              ;   in Loop: Header=BB129_4 Depth=1
	s_or_b32 exec_lo, exec_lo, s1
	v_add_co_u32 v25, s0, v21, s18
	v_add_co_ci_u32_e64 v26, null, s19, v22, s0
	v_mov_b32_e32 v23, 0
	v_cmp_gt_u64_e64 s0, s[16:17], v[25:26]
	v_mov_b32_e32 v25, 0
	s_and_saveexec_b32 s2, s0
	s_cbranch_execz .LBB129_8
; %bb.7:                                ;   in Loop: Header=BB129_4 Depth=1
	v_add_co_u32 v25, s1, v17, s18
	v_add_co_ci_u32_e64 v26, null, s19, v18, s1
	global_load_ubyte v25, v[25:26], off
	s_waitcnt vmcnt(0)
	v_min_u16 v25, v25, s22
.LBB129_8:                              ;   in Loop: Header=BB129_4 Depth=1
	s_or_b32 exec_lo, exec_lo, s2
	v_add_co_u32 v26, s1, v15, s18
	v_add_co_ci_u32_e64 v27, null, s19, v16, s1
	v_cmp_gt_u64_e64 s1, s[16:17], v[26:27]
	s_and_saveexec_b32 s3, s1
	s_cbranch_execz .LBB129_10
; %bb.9:                                ;   in Loop: Header=BB129_4 Depth=1
	v_add_co_u32 v26, s2, v11, s18
	v_add_co_ci_u32_e64 v27, null, s19, v12, s2
	global_load_ubyte v23, v[26:27], off
	s_waitcnt vmcnt(0)
	v_min_u16 v23, v23, s22
.LBB129_10:                             ;   in Loop: Header=BB129_4 Depth=1
	s_or_b32 exec_lo, exec_lo, s3
	v_add_co_u32 v26, s2, v9, s18
	v_add_co_ci_u32_e64 v27, null, s19, v10, s2
	v_cmp_gt_u64_e64 s2, s[16:17], v[26:27]
	v_mov_b32_e32 v26, 0
	s_and_saveexec_b32 s23, s2
	s_cbranch_execnz .LBB129_15
; %bb.11:                               ;   in Loop: Header=BB129_4 Depth=1
	s_or_b32 exec_lo, exec_lo, s23
	s_and_saveexec_b32 s3, vcc_lo
	s_cbranch_execnz .LBB129_16
.LBB129_12:                             ;   in Loop: Header=BB129_4 Depth=1
	s_or_b32 exec_lo, exec_lo, s3
	s_and_saveexec_b32 s3, s0
	s_cbranch_execnz .LBB129_17
.LBB129_13:                             ;   in Loop: Header=BB129_4 Depth=1
	s_or_b32 exec_lo, exec_lo, s3
	s_and_saveexec_b32 s0, s1
	s_cbranch_execnz .LBB129_18
.LBB129_14:                             ;   in Loop: Header=BB129_4 Depth=1
	s_or_b32 exec_lo, exec_lo, s0
	s_and_saveexec_b32 s0, s2
	s_cbranch_execz .LBB129_3
	s_branch .LBB129_19
.LBB129_15:                             ;   in Loop: Header=BB129_4 Depth=1
	v_add_co_u32 v26, s3, v5, s18
	v_add_co_ci_u32_e64 v27, null, s19, v6, s3
	global_load_ubyte v26, v[26:27], off
	s_waitcnt vmcnt(0)
	v_min_u16 v26, v26, s22
	s_or_b32 exec_lo, exec_lo, s23
	s_and_saveexec_b32 s3, vcc_lo
	s_cbranch_execz .LBB129_12
.LBB129_16:                             ;   in Loop: Header=BB129_4 Depth=1
	v_add_co_u32 v27, vcc_lo, v3, s18
	v_add_co_ci_u32_e64 v28, null, s19, v4, vcc_lo
	global_store_byte v[27:28], v24, off
	s_or_b32 exec_lo, exec_lo, s3
	s_and_saveexec_b32 s3, s0
	s_cbranch_execz .LBB129_13
.LBB129_17:                             ;   in Loop: Header=BB129_4 Depth=1
	v_add_co_u32 v27, vcc_lo, v19, s18
	v_add_co_ci_u32_e64 v28, null, s19, v20, vcc_lo
	global_store_byte v[27:28], v25, off
	s_or_b32 exec_lo, exec_lo, s3
	s_and_saveexec_b32 s0, s1
	s_cbranch_execz .LBB129_14
.LBB129_18:                             ;   in Loop: Header=BB129_4 Depth=1
	v_add_co_u32 v24, vcc_lo, v13, s18
	v_add_co_ci_u32_e64 v25, null, s19, v14, vcc_lo
	global_store_byte v[24:25], v23, off
	s_or_b32 exec_lo, exec_lo, s0
	s_and_saveexec_b32 s0, s2
	s_cbranch_execz .LBB129_3
.LBB129_19:                             ;   in Loop: Header=BB129_4 Depth=1
	v_add_co_u32 v23, vcc_lo, v7, s18
	v_add_co_ci_u32_e64 v24, null, s19, v8, vcc_lo
	global_store_byte v[23:24], v26, off
	s_branch .LBB129_3
.LBB129_20:
	s_mov_b32 s0, 0
.LBB129_21:
	s_andn2_b32 vcc_lo, exec_lo, s0
	s_cbranch_vccnz .LBB129_25
; %bb.22:
	v_cmp_gt_i64_e64 s0, 0x10000, s[12:13]
	v_mov_b32_e32 v3, 0
	v_lshlrev_b32_e32 v2, 2, v0
	s_mov_b32 s1, 0
	s_and_b32 s0, s0, exec_lo
	s_cselect_b32 s3, s13, 0
	s_cselect_b32 s2, s12, 0x10000
	s_mov_b32 s0, exec_lo
	v_cmpx_gt_i64_e64 s[2:3], v[2:3]
	s_cbranch_execz .LBB129_25
; %bb.23:
	s_load_dword s0, s[4:5], 0xc94
	v_add_co_u32 v2, s4, s10, v2
	v_mov_b32_e32 v1, v3
	v_add_co_ci_u32_e64 v3, null, s11, 0, s4
	v_mov_b32_e32 v4, 0xff
	s_and_b32 s10, s20, 0xff
	s_waitcnt lgkmcnt(0)
	s_and_b32 s4, s0, 0xffff
	s_lshl_b32 s5, s4, 2
.LBB129_24:                             ; =>This Inner Loop Header: Depth=1
	v_add_co_u32 v5, vcc_lo, s6, v2
	v_add_co_ci_u32_e64 v6, null, s7, v3, vcc_lo
	v_add_co_u32 v0, vcc_lo, v0, s4
	v_add_co_ci_u32_e64 v1, null, 0, v1, vcc_lo
	global_load_dword v6, v[5:6], off
	v_add_co_u32 v5, vcc_lo, s8, v2
	v_lshlrev_b64 v[7:8], 2, v[0:1]
	v_add_co_u32 v2, s0, v2, s5
	s_waitcnt vmcnt(0)
	v_lshrrev_b32_e32 v9, 8, v6
	v_lshrrev_b32_e32 v10, 24, v6
	v_and_b32_e32 v11, 0xff, v6
	v_and_b32_sdwa v6, v6, v4 dst_sel:DWORD dst_unused:UNUSED_PAD src0_sel:WORD_1 src1_sel:DWORD
	v_and_b32_e32 v9, 0xff, v9
	v_min_u16 v10, v10, s10
	v_min_u16 v11, v11, s10
	;; [unrolled: 1-line block ×3, first 2 shown]
	v_add_co_ci_u32_e64 v6, null, s9, v3, vcc_lo
	v_min_u16 v9, v9, s10
	v_lshlrev_b16 v10, 8, v10
	v_cmp_le_i64_e32 vcc_lo, s[2:3], v[7:8]
	v_add_co_ci_u32_e64 v3, null, 0, v3, s0
	v_lshlrev_b16 v9, 8, v9
	v_or_b32_sdwa v10, v12, v10 dst_sel:WORD_1 dst_unused:UNUSED_PAD src0_sel:DWORD src1_sel:DWORD
	s_or_b32 s1, vcc_lo, s1
	v_or_b32_e32 v9, v11, v9
	v_or_b32_sdwa v7, v9, v10 dst_sel:DWORD dst_unused:UNUSED_PAD src0_sel:WORD_0 src1_sel:DWORD
	global_store_dword v[5:6], v7, off
	s_andn2_b32 exec_lo, exec_lo, s1
	s_cbranch_execnz .LBB129_24
.LBB129_25:
	s_endpgm
	.section	.rodata,"a",@progbits
	.p2align	6, 0x0
	.amdhsa_kernel _ZN2at6native12_GLOBAL__N_125multi_tensor_apply_kernelINS1_28TensorListScalarListMetadataIhLi2EEENS1_25BinaryOpScalarListFunctorIhLi2ELi1ELi1EEEJNS0_7minimumIhEEEEEvT_T0_DpT1_
		.amdhsa_group_segment_fixed_size 0
		.amdhsa_private_segment_fixed_size 0
		.amdhsa_kernarg_size 3464
		.amdhsa_user_sgpr_count 6
		.amdhsa_user_sgpr_private_segment_buffer 1
		.amdhsa_user_sgpr_dispatch_ptr 0
		.amdhsa_user_sgpr_queue_ptr 0
		.amdhsa_user_sgpr_kernarg_segment_ptr 1
		.amdhsa_user_sgpr_dispatch_id 0
		.amdhsa_user_sgpr_flat_scratch_init 0
		.amdhsa_user_sgpr_private_segment_size 0
		.amdhsa_wavefront_size32 1
		.amdhsa_uses_dynamic_stack 0
		.amdhsa_system_sgpr_private_segment_wavefront_offset 0
		.amdhsa_system_sgpr_workgroup_id_x 1
		.amdhsa_system_sgpr_workgroup_id_y 0
		.amdhsa_system_sgpr_workgroup_id_z 0
		.amdhsa_system_sgpr_workgroup_info 0
		.amdhsa_system_vgpr_workitem_id 0
		.amdhsa_next_free_vgpr 29
		.amdhsa_next_free_sgpr 24
		.amdhsa_reserve_vcc 1
		.amdhsa_reserve_flat_scratch 0
		.amdhsa_float_round_mode_32 0
		.amdhsa_float_round_mode_16_64 0
		.amdhsa_float_denorm_mode_32 3
		.amdhsa_float_denorm_mode_16_64 3
		.amdhsa_dx10_clamp 1
		.amdhsa_ieee_mode 1
		.amdhsa_fp16_overflow 0
		.amdhsa_workgroup_processor_mode 1
		.amdhsa_memory_ordered 1
		.amdhsa_forward_progress 1
		.amdhsa_shared_vgpr_count 0
		.amdhsa_exception_fp_ieee_invalid_op 0
		.amdhsa_exception_fp_denorm_src 0
		.amdhsa_exception_fp_ieee_div_zero 0
		.amdhsa_exception_fp_ieee_overflow 0
		.amdhsa_exception_fp_ieee_underflow 0
		.amdhsa_exception_fp_ieee_inexact 0
		.amdhsa_exception_int_div_zero 0
	.end_amdhsa_kernel
	.section	.text._ZN2at6native12_GLOBAL__N_125multi_tensor_apply_kernelINS1_28TensorListScalarListMetadataIhLi2EEENS1_25BinaryOpScalarListFunctorIhLi2ELi1ELi1EEEJNS0_7minimumIhEEEEEvT_T0_DpT1_,"axG",@progbits,_ZN2at6native12_GLOBAL__N_125multi_tensor_apply_kernelINS1_28TensorListScalarListMetadataIhLi2EEENS1_25BinaryOpScalarListFunctorIhLi2ELi1ELi1EEEJNS0_7minimumIhEEEEEvT_T0_DpT1_,comdat
.Lfunc_end129:
	.size	_ZN2at6native12_GLOBAL__N_125multi_tensor_apply_kernelINS1_28TensorListScalarListMetadataIhLi2EEENS1_25BinaryOpScalarListFunctorIhLi2ELi1ELi1EEEJNS0_7minimumIhEEEEEvT_T0_DpT1_, .Lfunc_end129-_ZN2at6native12_GLOBAL__N_125multi_tensor_apply_kernelINS1_28TensorListScalarListMetadataIhLi2EEENS1_25BinaryOpScalarListFunctorIhLi2ELi1ELi1EEEJNS0_7minimumIhEEEEEvT_T0_DpT1_
                                        ; -- End function
	.set _ZN2at6native12_GLOBAL__N_125multi_tensor_apply_kernelINS1_28TensorListScalarListMetadataIhLi2EEENS1_25BinaryOpScalarListFunctorIhLi2ELi1ELi1EEEJNS0_7minimumIhEEEEEvT_T0_DpT1_.num_vgpr, 29
	.set _ZN2at6native12_GLOBAL__N_125multi_tensor_apply_kernelINS1_28TensorListScalarListMetadataIhLi2EEENS1_25BinaryOpScalarListFunctorIhLi2ELi1ELi1EEEJNS0_7minimumIhEEEEEvT_T0_DpT1_.num_agpr, 0
	.set _ZN2at6native12_GLOBAL__N_125multi_tensor_apply_kernelINS1_28TensorListScalarListMetadataIhLi2EEENS1_25BinaryOpScalarListFunctorIhLi2ELi1ELi1EEEJNS0_7minimumIhEEEEEvT_T0_DpT1_.numbered_sgpr, 24
	.set _ZN2at6native12_GLOBAL__N_125multi_tensor_apply_kernelINS1_28TensorListScalarListMetadataIhLi2EEENS1_25BinaryOpScalarListFunctorIhLi2ELi1ELi1EEEJNS0_7minimumIhEEEEEvT_T0_DpT1_.num_named_barrier, 0
	.set _ZN2at6native12_GLOBAL__N_125multi_tensor_apply_kernelINS1_28TensorListScalarListMetadataIhLi2EEENS1_25BinaryOpScalarListFunctorIhLi2ELi1ELi1EEEJNS0_7minimumIhEEEEEvT_T0_DpT1_.private_seg_size, 0
	.set _ZN2at6native12_GLOBAL__N_125multi_tensor_apply_kernelINS1_28TensorListScalarListMetadataIhLi2EEENS1_25BinaryOpScalarListFunctorIhLi2ELi1ELi1EEEJNS0_7minimumIhEEEEEvT_T0_DpT1_.uses_vcc, 1
	.set _ZN2at6native12_GLOBAL__N_125multi_tensor_apply_kernelINS1_28TensorListScalarListMetadataIhLi2EEENS1_25BinaryOpScalarListFunctorIhLi2ELi1ELi1EEEJNS0_7minimumIhEEEEEvT_T0_DpT1_.uses_flat_scratch, 0
	.set _ZN2at6native12_GLOBAL__N_125multi_tensor_apply_kernelINS1_28TensorListScalarListMetadataIhLi2EEENS1_25BinaryOpScalarListFunctorIhLi2ELi1ELi1EEEJNS0_7minimumIhEEEEEvT_T0_DpT1_.has_dyn_sized_stack, 0
	.set _ZN2at6native12_GLOBAL__N_125multi_tensor_apply_kernelINS1_28TensorListScalarListMetadataIhLi2EEENS1_25BinaryOpScalarListFunctorIhLi2ELi1ELi1EEEJNS0_7minimumIhEEEEEvT_T0_DpT1_.has_recursion, 0
	.set _ZN2at6native12_GLOBAL__N_125multi_tensor_apply_kernelINS1_28TensorListScalarListMetadataIhLi2EEENS1_25BinaryOpScalarListFunctorIhLi2ELi1ELi1EEEJNS0_7minimumIhEEEEEvT_T0_DpT1_.has_indirect_call, 0
	.section	.AMDGPU.csdata,"",@progbits
; Kernel info:
; codeLenInByte = 1404
; TotalNumSgprs: 26
; NumVgprs: 29
; ScratchSize: 0
; MemoryBound: 0
; FloatMode: 240
; IeeeMode: 1
; LDSByteSize: 0 bytes/workgroup (compile time only)
; SGPRBlocks: 0
; VGPRBlocks: 3
; NumSGPRsForWavesPerEU: 26
; NumVGPRsForWavesPerEU: 29
; Occupancy: 16
; WaveLimiterHint : 0
; COMPUTE_PGM_RSRC2:SCRATCH_EN: 0
; COMPUTE_PGM_RSRC2:USER_SGPR: 6
; COMPUTE_PGM_RSRC2:TRAP_HANDLER: 0
; COMPUTE_PGM_RSRC2:TGID_X_EN: 1
; COMPUTE_PGM_RSRC2:TGID_Y_EN: 0
; COMPUTE_PGM_RSRC2:TGID_Z_EN: 0
; COMPUTE_PGM_RSRC2:TIDIG_COMP_CNT: 0
	.section	.text._ZN2at6native12_GLOBAL__N_125multi_tensor_apply_kernelINS1_28TensorListScalarListMetadataIaLi2EEENS1_25BinaryOpScalarListFunctorIaLi2ELi1ELi1EEEJNS0_7minimumIaEEEEEvT_T0_DpT1_,"axG",@progbits,_ZN2at6native12_GLOBAL__N_125multi_tensor_apply_kernelINS1_28TensorListScalarListMetadataIaLi2EEENS1_25BinaryOpScalarListFunctorIaLi2ELi1ELi1EEEJNS0_7minimumIaEEEEEvT_T0_DpT1_,comdat
	.globl	_ZN2at6native12_GLOBAL__N_125multi_tensor_apply_kernelINS1_28TensorListScalarListMetadataIaLi2EEENS1_25BinaryOpScalarListFunctorIaLi2ELi1ELi1EEEJNS0_7minimumIaEEEEEvT_T0_DpT1_ ; -- Begin function _ZN2at6native12_GLOBAL__N_125multi_tensor_apply_kernelINS1_28TensorListScalarListMetadataIaLi2EEENS1_25BinaryOpScalarListFunctorIaLi2ELi1ELi1EEEJNS0_7minimumIaEEEEEvT_T0_DpT1_
	.p2align	8
	.type	_ZN2at6native12_GLOBAL__N_125multi_tensor_apply_kernelINS1_28TensorListScalarListMetadataIaLi2EEENS1_25BinaryOpScalarListFunctorIaLi2ELi1ELi1EEEJNS0_7minimumIaEEEEEvT_T0_DpT1_,@function
_ZN2at6native12_GLOBAL__N_125multi_tensor_apply_kernelINS1_28TensorListScalarListMetadataIaLi2EEENS1_25BinaryOpScalarListFunctorIaLi2ELi1ELi1EEEJNS0_7minimumIaEEEEEvT_T0_DpT1_: ; @_ZN2at6native12_GLOBAL__N_125multi_tensor_apply_kernelINS1_28TensorListScalarListMetadataIaLi2EEENS1_25BinaryOpScalarListFunctorIaLi2ELi1ELi1EEEJNS0_7minimumIaEEEEEvT_T0_DpT1_
; %bb.0:
	v_mov_b32_e32 v1, s6
	s_mul_hi_u32 s1, s6, 3
	global_load_ubyte v3, v1, s[4:5] offset:1600
	s_waitcnt vmcnt(0)
	v_add_co_u32 v1, s0, s4, v3
	v_add_co_ci_u32_e64 v2, null, s5, 0, s0
	s_add_u32 s0, s4, s6
	s_mul_i32 s6, s6, 3
	s_addc_u32 s2, s5, 0
	global_load_ubyte v1, v[1:2], off offset:1536
	s_add_u32 s0, s0, s6
	s_addc_u32 s1, s2, s1
	v_readfirstlane_b32 s3, v3
	s_load_dword s0, s[0:1], 0x780
	s_lshl_b32 s1, s3, 3
	s_clause 0x2
	s_load_dwordx2 s[6:7], s[4:5], s1 offset:0x0
	s_load_dwordx2 s[2:3], s[4:5], s1 offset:0x400
	;; [unrolled: 1-line block ×3, first 2 shown]
	s_waitcnt lgkmcnt(0)
	s_ashr_i32 s1, s0, 31
	s_lshl_b64 s[10:11], s[0:1], 16
	s_add_u32 s0, s6, s10
	s_sub_u32 s12, s2, s10
	s_subb_u32 s13, s3, s11
	s_or_b32 s1, s2, s8
	s_or_b32 s0, s1, s0
	s_and_b32 s0, s0, 3
	s_cmp_eq_u32 s0, 0
	s_mov_b32 s0, -1
	s_waitcnt vmcnt(0)
	v_readfirstlane_b32 s20, v1
	s_cbranch_scc1 .LBB130_21
; %bb.1:
	v_cmp_lt_i64_e64 s0, s[12:13], 1
	s_and_b32 vcc_lo, exec_lo, s0
	s_cbranch_vccnz .LBB130_20
; %bb.2:
	s_load_dword s0, s[4:5], 0xc94
	v_cmp_gt_i64_e64 s1, 0x10000, s[12:13]
	v_add_co_u32 v15, s2, s10, v0
	v_add_co_ci_u32_e64 v16, null, s11, 0, s2
	v_cmp_gt_u64_e64 s2, 0x10000, s[12:13]
	s_and_b32 s1, s1, exec_lo
	s_cselect_b32 s15, s13, 0
	s_cselect_b32 s14, s12, 0x10000
	v_add_co_u32 v1, vcc_lo, s6, v15
	v_add_co_ci_u32_e64 v2, null, s7, v16, vcc_lo
	v_add_co_u32 v3, vcc_lo, s8, v15
	v_add_co_ci_u32_e64 v4, null, s9, v16, vcc_lo
	s_waitcnt lgkmcnt(0)
	s_and_b32 s0, s0, 0xffff
	s_and_b32 s1, s2, exec_lo
	s_mul_i32 s2, s0, 3
	s_cselect_b32 s17, s13, 0
	s_cselect_b32 s16, s12, 0x10000
	s_lshl_b32 s1, s0, 1
	s_lshl_b32 s21, s0, 2
	s_add_u32 s3, s10, s2
	s_addc_u32 s18, s11, 0
	v_add_co_u32 v7, s3, s3, v0
	v_add_co_ci_u32_e64 v8, null, s18, 0, s3
	s_add_u32 s3, s10, s1
	s_addc_u32 s18, s11, 0
	v_add_co_u32 v13, s3, s3, v0
	v_add_co_u32 v5, vcc_lo, s6, v7
	v_add_co_ci_u32_e64 v14, null, s18, 0, s3
	v_add_co_ci_u32_e64 v6, null, s7, v8, vcc_lo
	v_add_co_u32 v7, vcc_lo, s8, v7
	v_add_co_ci_u32_e64 v8, null, s9, v8, vcc_lo
	v_add_co_u32 v11, vcc_lo, s6, v13
	;; [unrolled: 2-line block ×4, first 2 shown]
	v_add_co_ci_u32_e64 v20, null, 0, v16, vcc_lo
	v_add_co_u32 v9, s2, s2, v0
	v_add_co_u32 v17, vcc_lo, s6, v19
	v_add_co_u32 v15, s1, s1, v0
	v_add_co_ci_u32_e64 v18, null, s7, v20, vcc_lo
	v_add_co_u32 v19, vcc_lo, s8, v19
	v_add_co_u32 v21, s0, v0, s0
	v_add_co_ci_u32_e64 v10, null, 0, 0, s2
	v_add_co_ci_u32_e64 v16, null, 0, 0, s1
	v_add_co_ci_u32_e64 v20, null, s9, v20, vcc_lo
	v_add_co_ci_u32_e64 v22, null, 0, 0, s0
	s_mov_b64 s[18:19], 0
	s_bfe_i32 s22, s20, 0x80000
	s_branch .LBB130_4
.LBB130_3:                              ;   in Loop: Header=BB130_4 Depth=1
	s_or_b32 exec_lo, exec_lo, s0
	s_add_u32 s18, s18, s21
	s_addc_u32 s19, s19, 0
	v_cmp_lt_i64_e64 s0, s[18:19], s[14:15]
	s_and_b32 vcc_lo, exec_lo, s0
	s_cbranch_vccz .LBB130_20
.LBB130_4:                              ; =>This Inner Loop Header: Depth=1
	s_waitcnt vmcnt(0)
	v_add_co_u32 v23, s0, v0, s18
	v_add_co_ci_u32_e64 v24, null, 0, s19, s0
	v_cmp_gt_u64_e32 vcc_lo, s[16:17], v[23:24]
	v_mov_b32_e32 v24, 0
	s_and_saveexec_b32 s1, vcc_lo
	s_cbranch_execz .LBB130_6
; %bb.5:                                ;   in Loop: Header=BB130_4 Depth=1
	v_add_co_u32 v23, s0, v1, s18
	v_add_co_ci_u32_e64 v24, null, s19, v2, s0
	global_load_ubyte v24, v[23:24], off
.LBB130_6:                              ;   in Loop: Header=BB130_4 Depth=1
	s_or_b32 exec_lo, exec_lo, s1
	v_add_co_u32 v25, s0, v21, s18
	v_add_co_ci_u32_e64 v26, null, s19, v22, s0
	v_mov_b32_e32 v23, 0
	v_cmp_gt_u64_e64 s0, s[16:17], v[25:26]
	v_mov_b32_e32 v25, 0
	s_and_saveexec_b32 s2, s0
	s_cbranch_execz .LBB130_8
; %bb.7:                                ;   in Loop: Header=BB130_4 Depth=1
	v_add_co_u32 v25, s1, v17, s18
	v_add_co_ci_u32_e64 v26, null, s19, v18, s1
	global_load_ubyte v25, v[25:26], off
.LBB130_8:                              ;   in Loop: Header=BB130_4 Depth=1
	s_or_b32 exec_lo, exec_lo, s2
	v_add_co_u32 v26, s1, v15, s18
	v_add_co_ci_u32_e64 v27, null, s19, v16, s1
	v_cmp_gt_u64_e64 s1, s[16:17], v[26:27]
	s_and_saveexec_b32 s3, s1
	s_cbranch_execz .LBB130_10
; %bb.9:                                ;   in Loop: Header=BB130_4 Depth=1
	v_add_co_u32 v26, s2, v11, s18
	v_add_co_ci_u32_e64 v27, null, s19, v12, s2
	global_load_ubyte v23, v[26:27], off
.LBB130_10:                             ;   in Loop: Header=BB130_4 Depth=1
	s_or_b32 exec_lo, exec_lo, s3
	v_add_co_u32 v26, s2, v9, s18
	v_add_co_ci_u32_e64 v27, null, s19, v10, s2
	v_cmp_gt_u64_e64 s2, s[16:17], v[26:27]
	v_mov_b32_e32 v26, 0
	s_and_saveexec_b32 s23, s2
	s_cbranch_execnz .LBB130_15
; %bb.11:                               ;   in Loop: Header=BB130_4 Depth=1
	s_or_b32 exec_lo, exec_lo, s23
	s_and_saveexec_b32 s3, vcc_lo
	s_cbranch_execnz .LBB130_16
.LBB130_12:                             ;   in Loop: Header=BB130_4 Depth=1
	s_or_b32 exec_lo, exec_lo, s3
	s_and_saveexec_b32 s3, s0
	s_cbranch_execnz .LBB130_17
.LBB130_13:                             ;   in Loop: Header=BB130_4 Depth=1
	s_or_b32 exec_lo, exec_lo, s3
	s_and_saveexec_b32 s0, s1
	s_cbranch_execnz .LBB130_18
.LBB130_14:                             ;   in Loop: Header=BB130_4 Depth=1
	s_or_b32 exec_lo, exec_lo, s0
	s_and_saveexec_b32 s0, s2
	s_cbranch_execz .LBB130_3
	s_branch .LBB130_19
.LBB130_15:                             ;   in Loop: Header=BB130_4 Depth=1
	v_add_co_u32 v26, s3, v5, s18
	v_add_co_ci_u32_e64 v27, null, s19, v6, s3
	global_load_ubyte v26, v[26:27], off
	s_or_b32 exec_lo, exec_lo, s23
	s_and_saveexec_b32 s3, vcc_lo
	s_cbranch_execz .LBB130_12
.LBB130_16:                             ;   in Loop: Header=BB130_4 Depth=1
	s_waitcnt vmcnt(0)
	v_bfe_i32 v24, v24, 0, 8
	v_add_co_u32 v27, vcc_lo, v3, s18
	v_add_co_ci_u32_e64 v28, null, s19, v4, vcc_lo
	v_min_i16 v24, v24, s22
	global_store_byte v[27:28], v24, off
	s_or_b32 exec_lo, exec_lo, s3
	s_and_saveexec_b32 s3, s0
	s_cbranch_execz .LBB130_13
.LBB130_17:                             ;   in Loop: Header=BB130_4 Depth=1
	s_waitcnt vmcnt(0)
	v_bfe_i32 v24, v25, 0, 8
	v_min_i16 v27, v24, s22
	v_add_co_u32 v24, vcc_lo, v19, s18
	v_add_co_ci_u32_e64 v25, null, s19, v20, vcc_lo
	global_store_byte v[24:25], v27, off
	s_or_b32 exec_lo, exec_lo, s3
	s_and_saveexec_b32 s0, s1
	s_cbranch_execz .LBB130_14
.LBB130_18:                             ;   in Loop: Header=BB130_4 Depth=1
	s_waitcnt vmcnt(0)
	v_bfe_i32 v23, v23, 0, 8
	v_min_i16 v25, v23, s22
	v_add_co_u32 v23, vcc_lo, v13, s18
	v_add_co_ci_u32_e64 v24, null, s19, v14, vcc_lo
	global_store_byte v[23:24], v25, off
	s_or_b32 exec_lo, exec_lo, s0
	s_and_saveexec_b32 s0, s2
	s_cbranch_execz .LBB130_3
.LBB130_19:                             ;   in Loop: Header=BB130_4 Depth=1
	s_waitcnt vmcnt(0)
	v_bfe_i32 v23, v26, 0, 8
	v_min_i16 v25, v23, s22
	v_add_co_u32 v23, vcc_lo, v7, s18
	v_add_co_ci_u32_e64 v24, null, s19, v8, vcc_lo
	global_store_byte v[23:24], v25, off
	s_branch .LBB130_3
.LBB130_20:
	s_mov_b32 s0, 0
.LBB130_21:
	s_andn2_b32 vcc_lo, exec_lo, s0
	s_cbranch_vccnz .LBB130_25
; %bb.22:
	v_cmp_gt_i64_e64 s0, 0x10000, s[12:13]
	v_mov_b32_e32 v3, 0
	v_lshlrev_b32_e32 v2, 2, v0
	s_mov_b32 s1, 0
	s_and_b32 s0, s0, exec_lo
	s_cselect_b32 s3, s13, 0
	s_cselect_b32 s2, s12, 0x10000
	s_mov_b32 s0, exec_lo
	v_cmpx_gt_i64_e64 s[2:3], v[2:3]
	s_cbranch_execz .LBB130_25
; %bb.23:
	s_load_dword s0, s[4:5], 0xc94
	v_add_co_u32 v2, s4, s10, v2
	v_mov_b32_e32 v1, v3
	v_add_co_ci_u32_e64 v3, null, s11, 0, s4
	s_bfe_i32 s10, s20, 0x80000
	s_waitcnt lgkmcnt(0)
	s_and_b32 s4, s0, 0xffff
	s_lshl_b32 s5, s4, 2
.LBB130_24:                             ; =>This Inner Loop Header: Depth=1
	v_add_co_u32 v4, vcc_lo, s6, v2
	v_add_co_ci_u32_e64 v5, null, s7, v3, vcc_lo
	v_add_co_u32 v0, vcc_lo, v0, s4
	v_add_co_ci_u32_e64 v1, null, 0, v1, vcc_lo
	global_load_dword v5, v[4:5], off
	v_add_co_u32 v4, vcc_lo, s8, v2
	v_lshlrev_b64 v[6:7], 2, v[0:1]
	v_add_co_u32 v2, s0, v2, s5
	s_waitcnt vmcnt(0)
	v_lshrrev_b32_e32 v8, 8, v5
	v_lshrrev_b32_e32 v9, 24, v5
	;; [unrolled: 1-line block ×3, first 2 shown]
	v_bfe_i32 v5, v5, 0, 8
	v_bfe_i32 v8, v8, 0, 8
	;; [unrolled: 1-line block ×4, first 2 shown]
	v_min_i16 v11, v5, s10
	v_add_co_ci_u32_e64 v5, null, s9, v3, vcc_lo
	v_min_i16 v8, v8, s10
	v_min_i16 v9, v9, s10
	;; [unrolled: 1-line block ×3, first 2 shown]
	v_cmp_le_i64_e32 vcc_lo, s[2:3], v[6:7]
	v_add_co_ci_u32_e64 v3, null, 0, v3, s0
	v_lshlrev_b16 v8, 8, v8
	v_lshlrev_b16 v9, 8, v9
	s_or_b32 s1, vcc_lo, s1
	v_or_b32_sdwa v8, v11, v8 dst_sel:DWORD dst_unused:UNUSED_PAD src0_sel:BYTE_0 src1_sel:DWORD
	v_or_b32_sdwa v9, v10, v9 dst_sel:WORD_1 dst_unused:UNUSED_PAD src0_sel:BYTE_0 src1_sel:DWORD
	v_or_b32_sdwa v6, v8, v9 dst_sel:DWORD dst_unused:UNUSED_PAD src0_sel:WORD_0 src1_sel:DWORD
	global_store_dword v[4:5], v6, off
	s_andn2_b32 exec_lo, exec_lo, s1
	s_cbranch_execnz .LBB130_24
.LBB130_25:
	s_endpgm
	.section	.rodata,"a",@progbits
	.p2align	6, 0x0
	.amdhsa_kernel _ZN2at6native12_GLOBAL__N_125multi_tensor_apply_kernelINS1_28TensorListScalarListMetadataIaLi2EEENS1_25BinaryOpScalarListFunctorIaLi2ELi1ELi1EEEJNS0_7minimumIaEEEEEvT_T0_DpT1_
		.amdhsa_group_segment_fixed_size 0
		.amdhsa_private_segment_fixed_size 0
		.amdhsa_kernarg_size 3464
		.amdhsa_user_sgpr_count 6
		.amdhsa_user_sgpr_private_segment_buffer 1
		.amdhsa_user_sgpr_dispatch_ptr 0
		.amdhsa_user_sgpr_queue_ptr 0
		.amdhsa_user_sgpr_kernarg_segment_ptr 1
		.amdhsa_user_sgpr_dispatch_id 0
		.amdhsa_user_sgpr_flat_scratch_init 0
		.amdhsa_user_sgpr_private_segment_size 0
		.amdhsa_wavefront_size32 1
		.amdhsa_uses_dynamic_stack 0
		.amdhsa_system_sgpr_private_segment_wavefront_offset 0
		.amdhsa_system_sgpr_workgroup_id_x 1
		.amdhsa_system_sgpr_workgroup_id_y 0
		.amdhsa_system_sgpr_workgroup_id_z 0
		.amdhsa_system_sgpr_workgroup_info 0
		.amdhsa_system_vgpr_workitem_id 0
		.amdhsa_next_free_vgpr 29
		.amdhsa_next_free_sgpr 24
		.amdhsa_reserve_vcc 1
		.amdhsa_reserve_flat_scratch 0
		.amdhsa_float_round_mode_32 0
		.amdhsa_float_round_mode_16_64 0
		.amdhsa_float_denorm_mode_32 3
		.amdhsa_float_denorm_mode_16_64 3
		.amdhsa_dx10_clamp 1
		.amdhsa_ieee_mode 1
		.amdhsa_fp16_overflow 0
		.amdhsa_workgroup_processor_mode 1
		.amdhsa_memory_ordered 1
		.amdhsa_forward_progress 1
		.amdhsa_shared_vgpr_count 0
		.amdhsa_exception_fp_ieee_invalid_op 0
		.amdhsa_exception_fp_denorm_src 0
		.amdhsa_exception_fp_ieee_div_zero 0
		.amdhsa_exception_fp_ieee_overflow 0
		.amdhsa_exception_fp_ieee_underflow 0
		.amdhsa_exception_fp_ieee_inexact 0
		.amdhsa_exception_int_div_zero 0
	.end_amdhsa_kernel
	.section	.text._ZN2at6native12_GLOBAL__N_125multi_tensor_apply_kernelINS1_28TensorListScalarListMetadataIaLi2EEENS1_25BinaryOpScalarListFunctorIaLi2ELi1ELi1EEEJNS0_7minimumIaEEEEEvT_T0_DpT1_,"axG",@progbits,_ZN2at6native12_GLOBAL__N_125multi_tensor_apply_kernelINS1_28TensorListScalarListMetadataIaLi2EEENS1_25BinaryOpScalarListFunctorIaLi2ELi1ELi1EEEJNS0_7minimumIaEEEEEvT_T0_DpT1_,comdat
.Lfunc_end130:
	.size	_ZN2at6native12_GLOBAL__N_125multi_tensor_apply_kernelINS1_28TensorListScalarListMetadataIaLi2EEENS1_25BinaryOpScalarListFunctorIaLi2ELi1ELi1EEEJNS0_7minimumIaEEEEEvT_T0_DpT1_, .Lfunc_end130-_ZN2at6native12_GLOBAL__N_125multi_tensor_apply_kernelINS1_28TensorListScalarListMetadataIaLi2EEENS1_25BinaryOpScalarListFunctorIaLi2ELi1ELi1EEEJNS0_7minimumIaEEEEEvT_T0_DpT1_
                                        ; -- End function
	.set _ZN2at6native12_GLOBAL__N_125multi_tensor_apply_kernelINS1_28TensorListScalarListMetadataIaLi2EEENS1_25BinaryOpScalarListFunctorIaLi2ELi1ELi1EEEJNS0_7minimumIaEEEEEvT_T0_DpT1_.num_vgpr, 29
	.set _ZN2at6native12_GLOBAL__N_125multi_tensor_apply_kernelINS1_28TensorListScalarListMetadataIaLi2EEENS1_25BinaryOpScalarListFunctorIaLi2ELi1ELi1EEEJNS0_7minimumIaEEEEEvT_T0_DpT1_.num_agpr, 0
	.set _ZN2at6native12_GLOBAL__N_125multi_tensor_apply_kernelINS1_28TensorListScalarListMetadataIaLi2EEENS1_25BinaryOpScalarListFunctorIaLi2ELi1ELi1EEEJNS0_7minimumIaEEEEEvT_T0_DpT1_.numbered_sgpr, 24
	.set _ZN2at6native12_GLOBAL__N_125multi_tensor_apply_kernelINS1_28TensorListScalarListMetadataIaLi2EEENS1_25BinaryOpScalarListFunctorIaLi2ELi1ELi1EEEJNS0_7minimumIaEEEEEvT_T0_DpT1_.num_named_barrier, 0
	.set _ZN2at6native12_GLOBAL__N_125multi_tensor_apply_kernelINS1_28TensorListScalarListMetadataIaLi2EEENS1_25BinaryOpScalarListFunctorIaLi2ELi1ELi1EEEJNS0_7minimumIaEEEEEvT_T0_DpT1_.private_seg_size, 0
	.set _ZN2at6native12_GLOBAL__N_125multi_tensor_apply_kernelINS1_28TensorListScalarListMetadataIaLi2EEENS1_25BinaryOpScalarListFunctorIaLi2ELi1ELi1EEEJNS0_7minimumIaEEEEEvT_T0_DpT1_.uses_vcc, 1
	.set _ZN2at6native12_GLOBAL__N_125multi_tensor_apply_kernelINS1_28TensorListScalarListMetadataIaLi2EEENS1_25BinaryOpScalarListFunctorIaLi2ELi1ELi1EEEJNS0_7minimumIaEEEEEvT_T0_DpT1_.uses_flat_scratch, 0
	.set _ZN2at6native12_GLOBAL__N_125multi_tensor_apply_kernelINS1_28TensorListScalarListMetadataIaLi2EEENS1_25BinaryOpScalarListFunctorIaLi2ELi1ELi1EEEJNS0_7minimumIaEEEEEvT_T0_DpT1_.has_dyn_sized_stack, 0
	.set _ZN2at6native12_GLOBAL__N_125multi_tensor_apply_kernelINS1_28TensorListScalarListMetadataIaLi2EEENS1_25BinaryOpScalarListFunctorIaLi2ELi1ELi1EEEJNS0_7minimumIaEEEEEvT_T0_DpT1_.has_recursion, 0
	.set _ZN2at6native12_GLOBAL__N_125multi_tensor_apply_kernelINS1_28TensorListScalarListMetadataIaLi2EEENS1_25BinaryOpScalarListFunctorIaLi2ELi1ELi1EEEJNS0_7minimumIaEEEEEvT_T0_DpT1_.has_indirect_call, 0
	.section	.AMDGPU.csdata,"",@progbits
; Kernel info:
; codeLenInByte = 1448
; TotalNumSgprs: 26
; NumVgprs: 29
; ScratchSize: 0
; MemoryBound: 0
; FloatMode: 240
; IeeeMode: 1
; LDSByteSize: 0 bytes/workgroup (compile time only)
; SGPRBlocks: 0
; VGPRBlocks: 3
; NumSGPRsForWavesPerEU: 26
; NumVGPRsForWavesPerEU: 29
; Occupancy: 16
; WaveLimiterHint : 0
; COMPUTE_PGM_RSRC2:SCRATCH_EN: 0
; COMPUTE_PGM_RSRC2:USER_SGPR: 6
; COMPUTE_PGM_RSRC2:TRAP_HANDLER: 0
; COMPUTE_PGM_RSRC2:TGID_X_EN: 1
; COMPUTE_PGM_RSRC2:TGID_Y_EN: 0
; COMPUTE_PGM_RSRC2:TGID_Z_EN: 0
; COMPUTE_PGM_RSRC2:TIDIG_COMP_CNT: 0
	.section	.text._ZN2at6native12_GLOBAL__N_125multi_tensor_apply_kernelINS1_28TensorListScalarListMetadataIiLi2EEENS1_25BinaryOpScalarListFunctorIiLi2ELi1ELi1EEEJNS0_7minimumIiEEEEEvT_T0_DpT1_,"axG",@progbits,_ZN2at6native12_GLOBAL__N_125multi_tensor_apply_kernelINS1_28TensorListScalarListMetadataIiLi2EEENS1_25BinaryOpScalarListFunctorIiLi2ELi1ELi1EEEJNS0_7minimumIiEEEEEvT_T0_DpT1_,comdat
	.globl	_ZN2at6native12_GLOBAL__N_125multi_tensor_apply_kernelINS1_28TensorListScalarListMetadataIiLi2EEENS1_25BinaryOpScalarListFunctorIiLi2ELi1ELi1EEEJNS0_7minimumIiEEEEEvT_T0_DpT1_ ; -- Begin function _ZN2at6native12_GLOBAL__N_125multi_tensor_apply_kernelINS1_28TensorListScalarListMetadataIiLi2EEENS1_25BinaryOpScalarListFunctorIiLi2ELi1ELi1EEEJNS0_7minimumIiEEEEEvT_T0_DpT1_
	.p2align	8
	.type	_ZN2at6native12_GLOBAL__N_125multi_tensor_apply_kernelINS1_28TensorListScalarListMetadataIiLi2EEENS1_25BinaryOpScalarListFunctorIiLi2ELi1ELi1EEEJNS0_7minimumIiEEEEEvT_T0_DpT1_,@function
_ZN2at6native12_GLOBAL__N_125multi_tensor_apply_kernelINS1_28TensorListScalarListMetadataIiLi2EEENS1_25BinaryOpScalarListFunctorIiLi2ELi1ELi1EEEJNS0_7minimumIiEEEEEvT_T0_DpT1_: ; @_ZN2at6native12_GLOBAL__N_125multi_tensor_apply_kernelINS1_28TensorListScalarListMetadataIiLi2EEENS1_25BinaryOpScalarListFunctorIiLi2ELi1ELi1EEEJNS0_7minimumIiEEEEEvT_T0_DpT1_
; %bb.0:
	v_mov_b32_e32 v1, s6
	s_add_u32 s0, s4, s6
	s_mul_hi_u32 s1, s6, 3
	s_mul_i32 s6, s6, 3
	s_addc_u32 s2, s5, 0
	global_load_ubyte v1, v1, s[4:5] offset:1792
	s_add_u32 s0, s0, s6
	s_addc_u32 s1, s2, s1
	s_mov_b32 s15, 0
	s_load_dword s0, s[0:1], 0x840
	s_mov_b32 s17, s15
	s_waitcnt vmcnt(0)
	v_readfirstlane_b32 s1, v1
	v_lshlrev_b32_e32 v1, 2, v1
	s_lshl_b32 s10, s1, 3
	v_sub_co_u32 v1, s1, 0, v1
	v_sub_co_ci_u32_e64 v2, null, 0, 0, s1
	s_waitcnt lgkmcnt(0)
	s_ashr_i32 s1, s0, 31
	s_clause 0x2
	s_load_dwordx2 s[2:3], s[4:5], s10 offset:0x400
	s_load_dwordx2 s[6:7], s[4:5], s10 offset:0x0
	;; [unrolled: 1-line block ×3, first 2 shown]
	s_add_u32 s10, s4, s10
	s_addc_u32 s11, s5, 0
	v_add_co_u32 v1, vcc_lo, s10, v1
	v_add_co_ci_u32_e64 v2, null, s11, v2, vcc_lo
	v_readfirstlane_b32 s10, v1
	v_readfirstlane_b32 s11, v2
	s_load_dword s20, s[10:11], 0x600
	s_lshl_b64 s[10:11], s[0:1], 18
	s_lshl_b64 s[0:1], s[0:1], 16
	s_waitcnt lgkmcnt(0)
	s_add_u32 s12, s6, s10
	s_and_b32 s16, s8, 15
	s_and_b32 s14, s12, 15
	s_sub_u32 s12, s2, s0
	s_subb_u32 s13, s3, s1
	s_and_b32 s0, s2, 3
	s_mov_b32 s1, s15
	s_or_b64 s[0:1], s[16:17], s[0:1]
	s_or_b64 s[0:1], s[0:1], s[14:15]
	s_cmp_eq_u64 s[0:1], 0
	s_mov_b32 s0, -1
	s_cbranch_scc1 .LBB131_21
; %bb.1:
	v_cmp_lt_i64_e64 s0, s[12:13], 1
	s_and_b32 vcc_lo, exec_lo, s0
	s_cbranch_vccnz .LBB131_20
; %bb.2:
	s_load_dword s0, s[4:5], 0xd54
	v_cmp_gt_i64_e64 s1, 0x10000, s[12:13]
	v_lshlrev_b32_e32 v9, 2, v0
	v_cmp_gt_u64_e64 s2, 0x10000, s[12:13]
	v_mov_b32_e32 v10, 0
	s_mov_b64 s[18:19], 0
	s_and_b32 s1, s1, exec_lo
	v_add_co_u32 v3, s1, s8, v9
	v_add_co_u32 v1, s3, s6, v9
	s_cselect_b32 s15, s13, 0
	s_cselect_b32 s14, s12, 0x10000
	v_add_co_ci_u32_e64 v4, null, s9, 0, s1
	v_add_co_ci_u32_e64 v2, null, s7, 0, s3
	s_waitcnt lgkmcnt(0)
	s_and_b32 s0, s0, 0xffff
	s_and_b32 s1, s2, exec_lo
	s_cselect_b32 s17, s13, 0
	s_cselect_b32 s16, s12, 0x10000
	s_mul_i32 s2, s0, 3
	s_lshl_b32 s3, s0, 3
	v_mad_u64_u32 v[7:8], null, s0, 12, v[9:10]
	v_add_co_u32 v14, s3, s3, v9
	v_add_co_u32 v9, s2, s2, v0
	v_add_co_ci_u32_e64 v10, null, 0, 0, s2
	v_add_co_u32 v13, s2, v0, s0
	s_lshl_b32 s1, s0, 1
	v_add_co_u32 v5, vcc_lo, s6, v7
	v_lshlrev_b32_e32 v21, 2, v13
	v_add_co_ci_u32_e64 v15, null, 0, 0, s3
	v_add_co_ci_u32_e64 v6, null, s7, v8, vcc_lo
	v_add_co_u32 v7, vcc_lo, s8, v7
	v_add_co_u32 v17, s1, s1, v0
	v_add_co_ci_u32_e64 v8, null, s9, v8, vcc_lo
	v_add_co_u32 v11, vcc_lo, s6, v14
	v_add_co_ci_u32_e64 v18, null, 0, 0, s1
	v_add_co_u32 v19, s1, s6, v21
	v_add_co_ci_u32_e64 v12, null, s7, v15, vcc_lo
	v_add_co_u32 v14, vcc_lo, s8, v14
	v_add_co_ci_u32_e64 v20, null, s7, 0, s1
	v_add_co_u32 v21, s1, s8, v21
	v_add_co_ci_u32_e64 v15, null, s9, v15, vcc_lo
	v_add_co_ci_u32_e64 v16, null, 0, 0, s2
	v_add_co_ci_u32_e64 v22, null, s9, 0, s1
	s_lshl_b32 s21, s0, 2
	s_lshl_b32 s22, s0, 4
	s_branch .LBB131_4
.LBB131_3:                              ;   in Loop: Header=BB131_4 Depth=1
	s_or_b32 exec_lo, exec_lo, s0
	v_add_co_u32 v1, vcc_lo, v1, s22
	v_add_co_ci_u32_e64 v2, null, 0, v2, vcc_lo
	v_add_co_u32 v3, vcc_lo, v3, s22
	v_add_co_ci_u32_e64 v4, null, 0, v4, vcc_lo
	;; [unrolled: 2-line block ×4, first 2 shown]
	v_add_co_u32 v11, vcc_lo, v11, s22
	s_add_u32 s18, s18, s21
	v_add_co_ci_u32_e64 v12, null, 0, v12, vcc_lo
	v_add_co_u32 v14, vcc_lo, v14, s22
	s_addc_u32 s19, s19, 0
	v_add_co_ci_u32_e64 v15, null, 0, v15, vcc_lo
	v_add_co_u32 v19, vcc_lo, v19, s22
	v_cmp_lt_i64_e64 s0, s[18:19], s[14:15]
	v_add_co_ci_u32_e64 v20, null, 0, v20, vcc_lo
	v_add_co_u32 v21, vcc_lo, v21, s22
	v_add_co_ci_u32_e64 v22, null, 0, v22, vcc_lo
	s_and_b32 vcc_lo, exec_lo, s0
	s_cbranch_vccz .LBB131_20
.LBB131_4:                              ; =>This Inner Loop Header: Depth=1
	s_waitcnt vmcnt(0)
	v_add_co_u32 v23, s0, v0, s18
	v_add_co_ci_u32_e64 v24, null, 0, s19, s0
	v_cmp_gt_u64_e32 vcc_lo, s[16:17], v[23:24]
	v_mov_b32_e32 v24, 0
	s_and_saveexec_b32 s1, vcc_lo
	s_cbranch_execz .LBB131_6
; %bb.5:                                ;   in Loop: Header=BB131_4 Depth=1
	v_add_co_u32 v23, s0, v1, s10
	v_add_co_ci_u32_e64 v24, null, s11, v2, s0
	global_load_dword v24, v[23:24], off
.LBB131_6:                              ;   in Loop: Header=BB131_4 Depth=1
	s_or_b32 exec_lo, exec_lo, s1
	v_add_co_u32 v25, s0, v13, s18
	v_add_co_ci_u32_e64 v26, null, s19, v16, s0
	v_mov_b32_e32 v23, 0
	v_cmp_gt_u64_e64 s0, s[16:17], v[25:26]
	v_mov_b32_e32 v25, 0
	s_and_saveexec_b32 s2, s0
	s_cbranch_execz .LBB131_8
; %bb.7:                                ;   in Loop: Header=BB131_4 Depth=1
	v_add_co_u32 v25, s1, v19, s10
	v_add_co_ci_u32_e64 v26, null, s11, v20, s1
	global_load_dword v25, v[25:26], off
.LBB131_8:                              ;   in Loop: Header=BB131_4 Depth=1
	s_or_b32 exec_lo, exec_lo, s2
	v_add_co_u32 v26, s1, v17, s18
	v_add_co_ci_u32_e64 v27, null, s19, v18, s1
	v_cmp_gt_u64_e64 s1, s[16:17], v[26:27]
	s_and_saveexec_b32 s3, s1
	s_cbranch_execz .LBB131_10
; %bb.9:                                ;   in Loop: Header=BB131_4 Depth=1
	v_add_co_u32 v26, s2, v11, s10
	v_add_co_ci_u32_e64 v27, null, s11, v12, s2
	global_load_dword v23, v[26:27], off
.LBB131_10:                             ;   in Loop: Header=BB131_4 Depth=1
	s_or_b32 exec_lo, exec_lo, s3
	v_add_co_u32 v26, s2, v9, s18
	v_add_co_ci_u32_e64 v27, null, s19, v10, s2
	v_cmp_gt_u64_e64 s2, s[16:17], v[26:27]
	v_mov_b32_e32 v26, 0
	s_and_saveexec_b32 s23, s2
	s_cbranch_execnz .LBB131_15
; %bb.11:                               ;   in Loop: Header=BB131_4 Depth=1
	s_or_b32 exec_lo, exec_lo, s23
	s_and_saveexec_b32 s3, vcc_lo
	s_cbranch_execnz .LBB131_16
.LBB131_12:                             ;   in Loop: Header=BB131_4 Depth=1
	s_or_b32 exec_lo, exec_lo, s3
	s_and_saveexec_b32 s3, s0
	s_cbranch_execnz .LBB131_17
.LBB131_13:                             ;   in Loop: Header=BB131_4 Depth=1
	s_or_b32 exec_lo, exec_lo, s3
	s_and_saveexec_b32 s0, s1
	s_cbranch_execnz .LBB131_18
.LBB131_14:                             ;   in Loop: Header=BB131_4 Depth=1
	s_or_b32 exec_lo, exec_lo, s0
	s_and_saveexec_b32 s0, s2
	s_cbranch_execz .LBB131_3
	s_branch .LBB131_19
.LBB131_15:                             ;   in Loop: Header=BB131_4 Depth=1
	v_add_co_u32 v26, s3, v5, s10
	v_add_co_ci_u32_e64 v27, null, s11, v6, s3
	global_load_dword v26, v[26:27], off
	s_or_b32 exec_lo, exec_lo, s23
	s_and_saveexec_b32 s3, vcc_lo
	s_cbranch_execz .LBB131_12
.LBB131_16:                             ;   in Loop: Header=BB131_4 Depth=1
	v_add_co_u32 v27, vcc_lo, v3, s10
	s_waitcnt vmcnt(0)
	v_min_i32_e32 v24, s20, v24
	v_add_co_ci_u32_e64 v28, null, s11, v4, vcc_lo
	global_store_dword v[27:28], v24, off
	s_or_b32 exec_lo, exec_lo, s3
	s_and_saveexec_b32 s3, s0
	s_cbranch_execz .LBB131_13
.LBB131_17:                             ;   in Loop: Header=BB131_4 Depth=1
	s_waitcnt vmcnt(0)
	v_add_co_u32 v24, vcc_lo, v21, s10
	v_min_i32_e32 v27, s20, v25
	v_add_co_ci_u32_e64 v25, null, s11, v22, vcc_lo
	global_store_dword v[24:25], v27, off
	s_or_b32 exec_lo, exec_lo, s3
	s_and_saveexec_b32 s0, s1
	s_cbranch_execz .LBB131_14
.LBB131_18:                             ;   in Loop: Header=BB131_4 Depth=1
	s_waitcnt vmcnt(0)
	v_min_i32_e32 v25, s20, v23
	v_add_co_u32 v23, vcc_lo, v14, s10
	v_add_co_ci_u32_e64 v24, null, s11, v15, vcc_lo
	global_store_dword v[23:24], v25, off
	s_or_b32 exec_lo, exec_lo, s0
	s_and_saveexec_b32 s0, s2
	s_cbranch_execz .LBB131_3
.LBB131_19:                             ;   in Loop: Header=BB131_4 Depth=1
	s_waitcnt vmcnt(0)
	v_add_co_u32 v23, vcc_lo, v7, s10
	v_min_i32_e32 v25, s20, v26
	v_add_co_ci_u32_e64 v24, null, s11, v8, vcc_lo
	global_store_dword v[23:24], v25, off
	s_branch .LBB131_3
.LBB131_20:
	s_mov_b32 s0, 0
.LBB131_21:
	s_andn2_b32 vcc_lo, exec_lo, s0
	s_cbranch_vccnz .LBB131_25
; %bb.22:
	v_cmp_gt_i64_e64 s0, 0x10000, s[12:13]
	v_mov_b32_e32 v2, 0
	v_lshlrev_b32_e32 v1, 2, v0
	s_mov_b32 s1, 0
	s_and_b32 s0, s0, exec_lo
	s_cselect_b32 s3, s13, 0
	s_cselect_b32 s2, s12, 0x10000
	s_mov_b32 s0, exec_lo
	v_cmpx_gt_i64_e64 s[2:3], v[1:2]
	s_cbranch_execz .LBB131_25
; %bb.23:
	s_load_dword s0, s[4:5], 0xd54
	v_lshlrev_b32_e32 v3, 4, v0
	v_mov_b32_e32 v1, v2
	v_add_co_u32 v2, s4, s10, v3
	v_add_co_ci_u32_e64 v3, null, s11, 0, s4
	s_waitcnt lgkmcnt(0)
	s_and_b32 s4, s0, 0xffff
	s_lshl_b32 s5, s4, 4
	.p2align	6
.LBB131_24:                             ; =>This Inner Loop Header: Depth=1
	v_add_co_u32 v4, vcc_lo, s6, v2
	v_add_co_ci_u32_e64 v5, null, s7, v3, vcc_lo
	v_add_co_u32 v0, vcc_lo, v0, s4
	v_add_co_ci_u32_e64 v1, null, 0, v1, vcc_lo
	global_load_dwordx4 v[4:7], v[4:5], off
	v_add_co_u32 v8, vcc_lo, s8, v2
	v_lshlrev_b64 v[10:11], 2, v[0:1]
	v_add_co_ci_u32_e64 v9, null, s9, v3, vcc_lo
	v_add_co_u32 v2, vcc_lo, v2, s5
	v_add_co_ci_u32_e64 v3, null, 0, v3, vcc_lo
	v_cmp_le_i64_e64 s0, s[2:3], v[10:11]
	s_or_b32 s1, s0, s1
	s_waitcnt vmcnt(0)
	v_min_i32_e32 v4, s20, v4
	v_min_i32_e32 v5, s20, v5
	;; [unrolled: 1-line block ×4, first 2 shown]
	global_store_dwordx4 v[8:9], v[4:7], off
	s_andn2_b32 exec_lo, exec_lo, s1
	s_cbranch_execnz .LBB131_24
.LBB131_25:
	s_endpgm
	.section	.rodata,"a",@progbits
	.p2align	6, 0x0
	.amdhsa_kernel _ZN2at6native12_GLOBAL__N_125multi_tensor_apply_kernelINS1_28TensorListScalarListMetadataIiLi2EEENS1_25BinaryOpScalarListFunctorIiLi2ELi1ELi1EEEJNS0_7minimumIiEEEEEvT_T0_DpT1_
		.amdhsa_group_segment_fixed_size 0
		.amdhsa_private_segment_fixed_size 0
		.amdhsa_kernarg_size 3656
		.amdhsa_user_sgpr_count 6
		.amdhsa_user_sgpr_private_segment_buffer 1
		.amdhsa_user_sgpr_dispatch_ptr 0
		.amdhsa_user_sgpr_queue_ptr 0
		.amdhsa_user_sgpr_kernarg_segment_ptr 1
		.amdhsa_user_sgpr_dispatch_id 0
		.amdhsa_user_sgpr_flat_scratch_init 0
		.amdhsa_user_sgpr_private_segment_size 0
		.amdhsa_wavefront_size32 1
		.amdhsa_uses_dynamic_stack 0
		.amdhsa_system_sgpr_private_segment_wavefront_offset 0
		.amdhsa_system_sgpr_workgroup_id_x 1
		.amdhsa_system_sgpr_workgroup_id_y 0
		.amdhsa_system_sgpr_workgroup_id_z 0
		.amdhsa_system_sgpr_workgroup_info 0
		.amdhsa_system_vgpr_workitem_id 0
		.amdhsa_next_free_vgpr 29
		.amdhsa_next_free_sgpr 24
		.amdhsa_reserve_vcc 1
		.amdhsa_reserve_flat_scratch 0
		.amdhsa_float_round_mode_32 0
		.amdhsa_float_round_mode_16_64 0
		.amdhsa_float_denorm_mode_32 3
		.amdhsa_float_denorm_mode_16_64 3
		.amdhsa_dx10_clamp 1
		.amdhsa_ieee_mode 1
		.amdhsa_fp16_overflow 0
		.amdhsa_workgroup_processor_mode 1
		.amdhsa_memory_ordered 1
		.amdhsa_forward_progress 1
		.amdhsa_shared_vgpr_count 0
		.amdhsa_exception_fp_ieee_invalid_op 0
		.amdhsa_exception_fp_denorm_src 0
		.amdhsa_exception_fp_ieee_div_zero 0
		.amdhsa_exception_fp_ieee_overflow 0
		.amdhsa_exception_fp_ieee_underflow 0
		.amdhsa_exception_fp_ieee_inexact 0
		.amdhsa_exception_int_div_zero 0
	.end_amdhsa_kernel
	.section	.text._ZN2at6native12_GLOBAL__N_125multi_tensor_apply_kernelINS1_28TensorListScalarListMetadataIiLi2EEENS1_25BinaryOpScalarListFunctorIiLi2ELi1ELi1EEEJNS0_7minimumIiEEEEEvT_T0_DpT1_,"axG",@progbits,_ZN2at6native12_GLOBAL__N_125multi_tensor_apply_kernelINS1_28TensorListScalarListMetadataIiLi2EEENS1_25BinaryOpScalarListFunctorIiLi2ELi1ELi1EEEJNS0_7minimumIiEEEEEvT_T0_DpT1_,comdat
.Lfunc_end131:
	.size	_ZN2at6native12_GLOBAL__N_125multi_tensor_apply_kernelINS1_28TensorListScalarListMetadataIiLi2EEENS1_25BinaryOpScalarListFunctorIiLi2ELi1ELi1EEEJNS0_7minimumIiEEEEEvT_T0_DpT1_, .Lfunc_end131-_ZN2at6native12_GLOBAL__N_125multi_tensor_apply_kernelINS1_28TensorListScalarListMetadataIiLi2EEENS1_25BinaryOpScalarListFunctorIiLi2ELi1ELi1EEEJNS0_7minimumIiEEEEEvT_T0_DpT1_
                                        ; -- End function
	.set _ZN2at6native12_GLOBAL__N_125multi_tensor_apply_kernelINS1_28TensorListScalarListMetadataIiLi2EEENS1_25BinaryOpScalarListFunctorIiLi2ELi1ELi1EEEJNS0_7minimumIiEEEEEvT_T0_DpT1_.num_vgpr, 29
	.set _ZN2at6native12_GLOBAL__N_125multi_tensor_apply_kernelINS1_28TensorListScalarListMetadataIiLi2EEENS1_25BinaryOpScalarListFunctorIiLi2ELi1ELi1EEEJNS0_7minimumIiEEEEEvT_T0_DpT1_.num_agpr, 0
	.set _ZN2at6native12_GLOBAL__N_125multi_tensor_apply_kernelINS1_28TensorListScalarListMetadataIiLi2EEENS1_25BinaryOpScalarListFunctorIiLi2ELi1ELi1EEEJNS0_7minimumIiEEEEEvT_T0_DpT1_.numbered_sgpr, 24
	.set _ZN2at6native12_GLOBAL__N_125multi_tensor_apply_kernelINS1_28TensorListScalarListMetadataIiLi2EEENS1_25BinaryOpScalarListFunctorIiLi2ELi1ELi1EEEJNS0_7minimumIiEEEEEvT_T0_DpT1_.num_named_barrier, 0
	.set _ZN2at6native12_GLOBAL__N_125multi_tensor_apply_kernelINS1_28TensorListScalarListMetadataIiLi2EEENS1_25BinaryOpScalarListFunctorIiLi2ELi1ELi1EEEJNS0_7minimumIiEEEEEvT_T0_DpT1_.private_seg_size, 0
	.set _ZN2at6native12_GLOBAL__N_125multi_tensor_apply_kernelINS1_28TensorListScalarListMetadataIiLi2EEENS1_25BinaryOpScalarListFunctorIiLi2ELi1ELi1EEEJNS0_7minimumIiEEEEEvT_T0_DpT1_.uses_vcc, 1
	.set _ZN2at6native12_GLOBAL__N_125multi_tensor_apply_kernelINS1_28TensorListScalarListMetadataIiLi2EEENS1_25BinaryOpScalarListFunctorIiLi2ELi1ELi1EEEJNS0_7minimumIiEEEEEvT_T0_DpT1_.uses_flat_scratch, 0
	.set _ZN2at6native12_GLOBAL__N_125multi_tensor_apply_kernelINS1_28TensorListScalarListMetadataIiLi2EEENS1_25BinaryOpScalarListFunctorIiLi2ELi1ELi1EEEJNS0_7minimumIiEEEEEvT_T0_DpT1_.has_dyn_sized_stack, 0
	.set _ZN2at6native12_GLOBAL__N_125multi_tensor_apply_kernelINS1_28TensorListScalarListMetadataIiLi2EEENS1_25BinaryOpScalarListFunctorIiLi2ELi1ELi1EEEJNS0_7minimumIiEEEEEvT_T0_DpT1_.has_recursion, 0
	.set _ZN2at6native12_GLOBAL__N_125multi_tensor_apply_kernelINS1_28TensorListScalarListMetadataIiLi2EEENS1_25BinaryOpScalarListFunctorIiLi2ELi1ELi1EEEJNS0_7minimumIiEEEEEvT_T0_DpT1_.has_indirect_call, 0
	.section	.AMDGPU.csdata,"",@progbits
; Kernel info:
; codeLenInByte = 1476
; TotalNumSgprs: 26
; NumVgprs: 29
; ScratchSize: 0
; MemoryBound: 0
; FloatMode: 240
; IeeeMode: 1
; LDSByteSize: 0 bytes/workgroup (compile time only)
; SGPRBlocks: 0
; VGPRBlocks: 3
; NumSGPRsForWavesPerEU: 26
; NumVGPRsForWavesPerEU: 29
; Occupancy: 16
; WaveLimiterHint : 0
; COMPUTE_PGM_RSRC2:SCRATCH_EN: 0
; COMPUTE_PGM_RSRC2:USER_SGPR: 6
; COMPUTE_PGM_RSRC2:TRAP_HANDLER: 0
; COMPUTE_PGM_RSRC2:TGID_X_EN: 1
; COMPUTE_PGM_RSRC2:TGID_Y_EN: 0
; COMPUTE_PGM_RSRC2:TGID_Z_EN: 0
; COMPUTE_PGM_RSRC2:TIDIG_COMP_CNT: 0
	.section	.text._ZN2at6native12_GLOBAL__N_125multi_tensor_apply_kernelINS1_28TensorListScalarListMetadataIlLi2EEENS1_25BinaryOpScalarListFunctorIlLi2ELi1ELi1EEEJNS0_7minimumIlEEEEEvT_T0_DpT1_,"axG",@progbits,_ZN2at6native12_GLOBAL__N_125multi_tensor_apply_kernelINS1_28TensorListScalarListMetadataIlLi2EEENS1_25BinaryOpScalarListFunctorIlLi2ELi1ELi1EEEJNS0_7minimumIlEEEEEvT_T0_DpT1_,comdat
	.globl	_ZN2at6native12_GLOBAL__N_125multi_tensor_apply_kernelINS1_28TensorListScalarListMetadataIlLi2EEENS1_25BinaryOpScalarListFunctorIlLi2ELi1ELi1EEEJNS0_7minimumIlEEEEEvT_T0_DpT1_ ; -- Begin function _ZN2at6native12_GLOBAL__N_125multi_tensor_apply_kernelINS1_28TensorListScalarListMetadataIlLi2EEENS1_25BinaryOpScalarListFunctorIlLi2ELi1ELi1EEEJNS0_7minimumIlEEEEEvT_T0_DpT1_
	.p2align	8
	.type	_ZN2at6native12_GLOBAL__N_125multi_tensor_apply_kernelINS1_28TensorListScalarListMetadataIlLi2EEENS1_25BinaryOpScalarListFunctorIlLi2ELi1ELi1EEEJNS0_7minimumIlEEEEEvT_T0_DpT1_,@function
_ZN2at6native12_GLOBAL__N_125multi_tensor_apply_kernelINS1_28TensorListScalarListMetadataIlLi2EEENS1_25BinaryOpScalarListFunctorIlLi2ELi1ELi1EEEJNS0_7minimumIlEEEEEvT_T0_DpT1_: ; @_ZN2at6native12_GLOBAL__N_125multi_tensor_apply_kernelINS1_28TensorListScalarListMetadataIlLi2EEENS1_25BinaryOpScalarListFunctorIlLi2ELi1ELi1EEEJNS0_7minimumIlEEEEEvT_T0_DpT1_
; %bb.0:
	v_mov_b32_e32 v1, 0x800
	s_add_u32 s0, s4, s6
	s_addc_u32 s1, s5, 0
	s_mov_b32 s7, 0
	s_mov_b32 s19, s7
	global_load_ubyte v1, v1, s[0:1]
	s_lshl_b64 s[0:1], s[6:7], 2
	s_add_u32 s0, s4, s0
	s_addc_u32 s1, s5, s1
	s_load_dword s0, s[0:1], 0x940
	s_waitcnt vmcnt(0)
	v_readfirstlane_b32 s1, v1
	s_lshl_b32 s1, s1, 3
	s_clause 0x3
	s_load_dwordx2 s[8:9], s[4:5], s1 offset:0x0
	s_load_dwordx2 s[10:11], s[4:5], s1 offset:0x600
	;; [unrolled: 1-line block ×4, first 2 shown]
	s_waitcnt lgkmcnt(0)
	s_ashr_i32 s1, s0, 31
	s_lshl_b64 s[14:15], s[0:1], 19
	s_lshl_b64 s[0:1], s[0:1], 16
	s_add_u32 s6, s8, s14
	s_and_b32 s18, s12, 31
	s_and_b32 s6, s6, 31
	s_sub_u32 s16, s2, s0
	s_subb_u32 s17, s3, s1
	s_and_b32 s0, s2, 3
	s_mov_b32 s1, s7
	s_or_b64 s[0:1], s[18:19], s[0:1]
	s_or_b64 s[0:1], s[0:1], s[6:7]
	s_cmp_eq_u64 s[0:1], 0
	s_mov_b32 s0, -1
	s_cbranch_scc1 .LBB132_21
; %bb.1:
	v_cmp_lt_i64_e64 s0, s[16:17], 1
	s_and_b32 vcc_lo, exec_lo, s0
	s_cbranch_vccnz .LBB132_20
; %bb.2:
	s_load_dword s0, s[4:5], 0xe54
	v_cmp_gt_i64_e64 s1, 0x10000, s[16:17]
	v_lshlrev_b32_e32 v1, 3, v0
	v_mov_b32_e32 v2, 0
	v_cmp_gt_u64_e64 s2, 0x10000, s[16:17]
	s_mov_b64 s[20:21], 0
	s_and_b32 s1, s1, exec_lo
	s_cselect_b32 s7, s17, 0
	s_cselect_b32 s6, s16, 0x10000
	v_add_co_u32 v11, s1, s12, v1
	v_add_co_u32 v9, s3, s8, v1
	v_add_co_ci_u32_e64 v12, null, s13, 0, s1
	v_add_co_ci_u32_e64 v10, null, s9, 0, s3
	s_waitcnt lgkmcnt(0)
	s_and_b32 s0, s0, 0xffff
	s_and_b32 s1, s2, exec_lo
	v_mad_u64_u32 v[2:3], null, s0, 24, v[1:2]
	s_cselect_b32 s19, s17, 0
	s_cselect_b32 s18, s16, 0x10000
	s_mul_i32 s2, s0, 3
	s_lshl_b32 s3, s0, 4
	v_add_co_u32 v17, s2, s2, v0
	v_add_co_u32 v13, vcc_lo, s8, v2
	v_add_co_u32 v1, s3, s3, v1
	v_add_co_ci_u32_e64 v14, null, s9, v3, vcc_lo
	v_add_co_u32 v15, vcc_lo, s12, v2
	v_add_co_ci_u32_e64 v2, null, 0, 0, s3
	v_add_co_ci_u32_e64 v18, null, 0, 0, s2
	v_add_co_u32 v21, s2, v0, s0
	v_add_co_ci_u32_e64 v16, null, s13, v3, vcc_lo
	v_add_co_u32 v19, vcc_lo, s8, v1
	v_add_co_ci_u32_e64 v20, null, s9, v2, vcc_lo
	v_add_co_u32 v22, vcc_lo, s12, v1
	v_lshlrev_b32_e32 v1, 3, v21
	s_lshl_b32 s1, s0, 1
	v_add_co_ci_u32_e64 v23, null, s13, v2, vcc_lo
	v_add_co_u32 v25, s1, s1, v0
	v_add_co_ci_u32_e64 v26, null, 0, 0, s1
	v_add_co_u32 v27, s1, s8, v1
	v_add_co_ci_u32_e64 v28, null, s9, 0, s1
	v_add_co_u32 v29, s1, s12, v1
	v_add_co_ci_u32_e64 v24, null, 0, 0, s2
	v_add_co_ci_u32_e64 v30, null, s13, 0, s1
	s_lshl_b32 s22, s0, 2
	s_lshl_b32 s23, s0, 5
	s_branch .LBB132_4
.LBB132_3:                              ;   in Loop: Header=BB132_4 Depth=1
	s_or_b32 exec_lo, exec_lo, s0
	v_add_co_u32 v9, vcc_lo, v9, s23
	v_add_co_ci_u32_e64 v10, null, 0, v10, vcc_lo
	v_add_co_u32 v11, vcc_lo, v11, s23
	v_add_co_ci_u32_e64 v12, null, 0, v12, vcc_lo
	;; [unrolled: 2-line block ×4, first 2 shown]
	v_add_co_u32 v19, vcc_lo, v19, s23
	s_add_u32 s20, s20, s22
	v_add_co_ci_u32_e64 v20, null, 0, v20, vcc_lo
	v_add_co_u32 v22, vcc_lo, v22, s23
	s_addc_u32 s21, s21, 0
	v_add_co_ci_u32_e64 v23, null, 0, v23, vcc_lo
	v_add_co_u32 v27, vcc_lo, v27, s23
	v_cmp_lt_i64_e64 s0, s[20:21], s[6:7]
	v_add_co_ci_u32_e64 v28, null, 0, v28, vcc_lo
	v_add_co_u32 v29, vcc_lo, v29, s23
	v_add_co_ci_u32_e64 v30, null, 0, v30, vcc_lo
	s_and_b32 vcc_lo, exec_lo, s0
	s_cbranch_vccz .LBB132_20
.LBB132_4:                              ; =>This Inner Loop Header: Depth=1
	s_waitcnt vmcnt(0)
	v_add_co_u32 v3, s0, v0, s20
	v_add_co_ci_u32_e64 v4, null, 0, s21, s0
	v_mov_b32_e32 v1, 0
	v_mov_b32_e32 v5, 0
	;; [unrolled: 1-line block ×3, first 2 shown]
	v_cmp_gt_u64_e32 vcc_lo, s[18:19], v[3:4]
	v_mov_b32_e32 v6, 0
	s_and_saveexec_b32 s1, vcc_lo
	s_cbranch_execz .LBB132_6
; %bb.5:                                ;   in Loop: Header=BB132_4 Depth=1
	v_add_co_u32 v3, s0, v9, s14
	v_add_co_ci_u32_e64 v4, null, s15, v10, s0
	global_load_dwordx2 v[5:6], v[3:4], off
.LBB132_6:                              ;   in Loop: Header=BB132_4 Depth=1
	s_or_b32 exec_lo, exec_lo, s1
	v_add_co_u32 v3, s0, v21, s20
	v_add_co_ci_u32_e64 v4, null, s21, v24, s0
	v_cmp_gt_u64_e64 s0, s[18:19], v[3:4]
	s_and_saveexec_b32 s2, s0
	s_cbranch_execz .LBB132_8
; %bb.7:                                ;   in Loop: Header=BB132_4 Depth=1
	v_add_co_u32 v1, s1, v27, s14
	v_add_co_ci_u32_e64 v2, null, s15, v28, s1
	global_load_dwordx2 v[1:2], v[1:2], off
.LBB132_8:                              ;   in Loop: Header=BB132_4 Depth=1
	s_or_b32 exec_lo, exec_lo, s2
	v_add_co_u32 v7, s1, v25, s20
	v_add_co_ci_u32_e64 v8, null, s21, v26, s1
	v_mov_b32_e32 v3, 0
	v_mov_b32_e32 v4, 0
	v_cmp_gt_u64_e64 s1, s[18:19], v[7:8]
	v_mov_b32_e32 v7, 0
	v_mov_b32_e32 v8, 0
	s_and_saveexec_b32 s3, s1
	s_cbranch_execz .LBB132_10
; %bb.9:                                ;   in Loop: Header=BB132_4 Depth=1
	v_add_co_u32 v7, s2, v19, s14
	v_add_co_ci_u32_e64 v8, null, s15, v20, s2
	global_load_dwordx2 v[7:8], v[7:8], off
.LBB132_10:                             ;   in Loop: Header=BB132_4 Depth=1
	s_or_b32 exec_lo, exec_lo, s3
	v_add_co_u32 v31, s2, v17, s20
	v_add_co_ci_u32_e64 v32, null, s21, v18, s2
	v_cmp_gt_u64_e64 s2, s[18:19], v[31:32]
	s_and_saveexec_b32 s24, s2
	s_cbranch_execnz .LBB132_15
; %bb.11:                               ;   in Loop: Header=BB132_4 Depth=1
	s_or_b32 exec_lo, exec_lo, s24
	s_and_saveexec_b32 s3, vcc_lo
	s_cbranch_execnz .LBB132_16
.LBB132_12:                             ;   in Loop: Header=BB132_4 Depth=1
	s_or_b32 exec_lo, exec_lo, s3
	s_and_saveexec_b32 s3, s0
	s_cbranch_execnz .LBB132_17
.LBB132_13:                             ;   in Loop: Header=BB132_4 Depth=1
	s_or_b32 exec_lo, exec_lo, s3
	s_and_saveexec_b32 s0, s1
	s_cbranch_execnz .LBB132_18
.LBB132_14:                             ;   in Loop: Header=BB132_4 Depth=1
	s_or_b32 exec_lo, exec_lo, s0
	s_and_saveexec_b32 s0, s2
	s_cbranch_execz .LBB132_3
	s_branch .LBB132_19
.LBB132_15:                             ;   in Loop: Header=BB132_4 Depth=1
	v_add_co_u32 v3, s3, v13, s14
	v_add_co_ci_u32_e64 v4, null, s15, v14, s3
	global_load_dwordx2 v[3:4], v[3:4], off
	s_or_b32 exec_lo, exec_lo, s24
	s_and_saveexec_b32 s3, vcc_lo
	s_cbranch_execz .LBB132_12
.LBB132_16:                             ;   in Loop: Header=BB132_4 Depth=1
	s_waitcnt vmcnt(0)
	v_cmp_gt_i64_e32 vcc_lo, s[10:11], v[5:6]
	v_cndmask_b32_e32 v6, s11, v6, vcc_lo
	v_cndmask_b32_e32 v5, s10, v5, vcc_lo
	v_add_co_u32 v31, vcc_lo, v11, s14
	v_add_co_ci_u32_e64 v32, null, s15, v12, vcc_lo
	global_store_dwordx2 v[31:32], v[5:6], off
	s_or_b32 exec_lo, exec_lo, s3
	s_and_saveexec_b32 s3, s0
	s_cbranch_execz .LBB132_13
.LBB132_17:                             ;   in Loop: Header=BB132_4 Depth=1
	s_waitcnt vmcnt(0)
	v_cmp_gt_i64_e32 vcc_lo, s[10:11], v[1:2]
	v_cndmask_b32_e32 v2, s11, v2, vcc_lo
	v_cndmask_b32_e32 v1, s10, v1, vcc_lo
	v_add_co_u32 v5, vcc_lo, v29, s14
	v_add_co_ci_u32_e64 v6, null, s15, v30, vcc_lo
	global_store_dwordx2 v[5:6], v[1:2], off
	s_or_b32 exec_lo, exec_lo, s3
	s_and_saveexec_b32 s0, s1
	s_cbranch_execz .LBB132_14
.LBB132_18:                             ;   in Loop: Header=BB132_4 Depth=1
	s_waitcnt vmcnt(0)
	v_cmp_gt_i64_e32 vcc_lo, s[10:11], v[7:8]
	v_cndmask_b32_e32 v2, s11, v8, vcc_lo
	v_cndmask_b32_e32 v1, s10, v7, vcc_lo
	v_add_co_u32 v5, vcc_lo, v22, s14
	v_add_co_ci_u32_e64 v6, null, s15, v23, vcc_lo
	global_store_dwordx2 v[5:6], v[1:2], off
	s_or_b32 exec_lo, exec_lo, s0
	s_and_saveexec_b32 s0, s2
	s_cbranch_execz .LBB132_3
.LBB132_19:                             ;   in Loop: Header=BB132_4 Depth=1
	s_waitcnt vmcnt(0)
	v_cmp_gt_i64_e32 vcc_lo, s[10:11], v[3:4]
	v_cndmask_b32_e32 v2, s11, v4, vcc_lo
	v_cndmask_b32_e32 v1, s10, v3, vcc_lo
	v_add_co_u32 v3, vcc_lo, v15, s14
	v_add_co_ci_u32_e64 v4, null, s15, v16, vcc_lo
	global_store_dwordx2 v[3:4], v[1:2], off
	s_branch .LBB132_3
.LBB132_20:
	s_mov_b32 s0, 0
.LBB132_21:
	s_andn2_b32 vcc_lo, exec_lo, s0
	s_cbranch_vccnz .LBB132_25
; %bb.22:
	v_cmp_gt_i64_e64 s0, 0x10000, s[16:17]
	s_waitcnt vmcnt(0)
	v_mov_b32_e32 v2, 0
	v_lshlrev_b32_e32 v1, 2, v0
	s_and_b32 s0, s0, exec_lo
	s_cselect_b32 s7, s17, 0
	s_cselect_b32 s6, s16, 0x10000
	s_mov_b32 s16, 0
	s_mov_b32 s0, exec_lo
	v_cmpx_gt_i64_e64 s[6:7], v[1:2]
	s_cbranch_execz .LBB132_25
; %bb.23:
	s_load_dword s0, s[4:5], 0xe54
	v_lshlrev_b32_e32 v3, 5, v0
	v_mov_b32_e32 v1, v2
	v_add_co_u32 v2, s1, s14, v3
	v_add_co_ci_u32_e64 v3, null, s15, 0, s1
	s_waitcnt lgkmcnt(0)
	s_and_b32 s5, s0, 0xffff
	s_lshl_b32 s14, s5, 5
.LBB132_24:                             ; =>This Inner Loop Header: Depth=1
	v_add_co_u32 v8, vcc_lo, s8, v2
	v_add_co_ci_u32_e64 v9, null, s9, v3, vcc_lo
	v_add_co_u32 v0, vcc_lo, v0, s5
	v_add_co_ci_u32_e64 v1, null, 0, v1, vcc_lo
	s_clause 0x1
	global_load_dwordx4 v[4:7], v[8:9], off
	global_load_dwordx4 v[8:11], v[8:9], off offset:16
	v_add_co_u32 v12, vcc_lo, s12, v2
	v_lshlrev_b64 v[14:15], 2, v[0:1]
	v_add_co_ci_u32_e64 v13, null, s13, v3, vcc_lo
	v_add_co_u32 v2, vcc_lo, v2, s14
	v_add_co_ci_u32_e64 v3, null, 0, v3, vcc_lo
	v_cmp_le_i64_e64 s0, s[6:7], v[14:15]
	s_or_b32 s16, s0, s16
	s_waitcnt vmcnt(1)
	v_cmp_gt_i64_e64 s1, s[10:11], v[4:5]
	v_cmp_gt_i64_e64 s2, s[10:11], v[6:7]
	s_waitcnt vmcnt(0)
	v_cmp_gt_i64_e64 s3, s[10:11], v[8:9]
	v_cmp_gt_i64_e64 s4, s[10:11], v[10:11]
	v_cndmask_b32_e64 v5, s11, v5, s1
	v_cndmask_b32_e64 v7, s11, v7, s2
	;; [unrolled: 1-line block ×8, first 2 shown]
	global_store_dwordx4 v[12:13], v[4:7], off
	global_store_dwordx4 v[12:13], v[8:11], off offset:16
	s_andn2_b32 exec_lo, exec_lo, s16
	s_cbranch_execnz .LBB132_24
.LBB132_25:
	s_endpgm
	.section	.rodata,"a",@progbits
	.p2align	6, 0x0
	.amdhsa_kernel _ZN2at6native12_GLOBAL__N_125multi_tensor_apply_kernelINS1_28TensorListScalarListMetadataIlLi2EEENS1_25BinaryOpScalarListFunctorIlLi2ELi1ELi1EEEJNS0_7minimumIlEEEEEvT_T0_DpT1_
		.amdhsa_group_segment_fixed_size 0
		.amdhsa_private_segment_fixed_size 0
		.amdhsa_kernarg_size 3912
		.amdhsa_user_sgpr_count 6
		.amdhsa_user_sgpr_private_segment_buffer 1
		.amdhsa_user_sgpr_dispatch_ptr 0
		.amdhsa_user_sgpr_queue_ptr 0
		.amdhsa_user_sgpr_kernarg_segment_ptr 1
		.amdhsa_user_sgpr_dispatch_id 0
		.amdhsa_user_sgpr_flat_scratch_init 0
		.amdhsa_user_sgpr_private_segment_size 0
		.amdhsa_wavefront_size32 1
		.amdhsa_uses_dynamic_stack 0
		.amdhsa_system_sgpr_private_segment_wavefront_offset 0
		.amdhsa_system_sgpr_workgroup_id_x 1
		.amdhsa_system_sgpr_workgroup_id_y 0
		.amdhsa_system_sgpr_workgroup_id_z 0
		.amdhsa_system_sgpr_workgroup_info 0
		.amdhsa_system_vgpr_workitem_id 0
		.amdhsa_next_free_vgpr 33
		.amdhsa_next_free_sgpr 25
		.amdhsa_reserve_vcc 1
		.amdhsa_reserve_flat_scratch 0
		.amdhsa_float_round_mode_32 0
		.amdhsa_float_round_mode_16_64 0
		.amdhsa_float_denorm_mode_32 3
		.amdhsa_float_denorm_mode_16_64 3
		.amdhsa_dx10_clamp 1
		.amdhsa_ieee_mode 1
		.amdhsa_fp16_overflow 0
		.amdhsa_workgroup_processor_mode 1
		.amdhsa_memory_ordered 1
		.amdhsa_forward_progress 1
		.amdhsa_shared_vgpr_count 0
		.amdhsa_exception_fp_ieee_invalid_op 0
		.amdhsa_exception_fp_denorm_src 0
		.amdhsa_exception_fp_ieee_div_zero 0
		.amdhsa_exception_fp_ieee_overflow 0
		.amdhsa_exception_fp_ieee_underflow 0
		.amdhsa_exception_fp_ieee_inexact 0
		.amdhsa_exception_int_div_zero 0
	.end_amdhsa_kernel
	.section	.text._ZN2at6native12_GLOBAL__N_125multi_tensor_apply_kernelINS1_28TensorListScalarListMetadataIlLi2EEENS1_25BinaryOpScalarListFunctorIlLi2ELi1ELi1EEEJNS0_7minimumIlEEEEEvT_T0_DpT1_,"axG",@progbits,_ZN2at6native12_GLOBAL__N_125multi_tensor_apply_kernelINS1_28TensorListScalarListMetadataIlLi2EEENS1_25BinaryOpScalarListFunctorIlLi2ELi1ELi1EEEJNS0_7minimumIlEEEEEvT_T0_DpT1_,comdat
.Lfunc_end132:
	.size	_ZN2at6native12_GLOBAL__N_125multi_tensor_apply_kernelINS1_28TensorListScalarListMetadataIlLi2EEENS1_25BinaryOpScalarListFunctorIlLi2ELi1ELi1EEEJNS0_7minimumIlEEEEEvT_T0_DpT1_, .Lfunc_end132-_ZN2at6native12_GLOBAL__N_125multi_tensor_apply_kernelINS1_28TensorListScalarListMetadataIlLi2EEENS1_25BinaryOpScalarListFunctorIlLi2ELi1ELi1EEEJNS0_7minimumIlEEEEEvT_T0_DpT1_
                                        ; -- End function
	.set _ZN2at6native12_GLOBAL__N_125multi_tensor_apply_kernelINS1_28TensorListScalarListMetadataIlLi2EEENS1_25BinaryOpScalarListFunctorIlLi2ELi1ELi1EEEJNS0_7minimumIlEEEEEvT_T0_DpT1_.num_vgpr, 33
	.set _ZN2at6native12_GLOBAL__N_125multi_tensor_apply_kernelINS1_28TensorListScalarListMetadataIlLi2EEENS1_25BinaryOpScalarListFunctorIlLi2ELi1ELi1EEEJNS0_7minimumIlEEEEEvT_T0_DpT1_.num_agpr, 0
	.set _ZN2at6native12_GLOBAL__N_125multi_tensor_apply_kernelINS1_28TensorListScalarListMetadataIlLi2EEENS1_25BinaryOpScalarListFunctorIlLi2ELi1ELi1EEEJNS0_7minimumIlEEEEEvT_T0_DpT1_.numbered_sgpr, 25
	.set _ZN2at6native12_GLOBAL__N_125multi_tensor_apply_kernelINS1_28TensorListScalarListMetadataIlLi2EEENS1_25BinaryOpScalarListFunctorIlLi2ELi1ELi1EEEJNS0_7minimumIlEEEEEvT_T0_DpT1_.num_named_barrier, 0
	.set _ZN2at6native12_GLOBAL__N_125multi_tensor_apply_kernelINS1_28TensorListScalarListMetadataIlLi2EEENS1_25BinaryOpScalarListFunctorIlLi2ELi1ELi1EEEJNS0_7minimumIlEEEEEvT_T0_DpT1_.private_seg_size, 0
	.set _ZN2at6native12_GLOBAL__N_125multi_tensor_apply_kernelINS1_28TensorListScalarListMetadataIlLi2EEENS1_25BinaryOpScalarListFunctorIlLi2ELi1ELi1EEEJNS0_7minimumIlEEEEEvT_T0_DpT1_.uses_vcc, 1
	.set _ZN2at6native12_GLOBAL__N_125multi_tensor_apply_kernelINS1_28TensorListScalarListMetadataIlLi2EEENS1_25BinaryOpScalarListFunctorIlLi2ELi1ELi1EEEJNS0_7minimumIlEEEEEvT_T0_DpT1_.uses_flat_scratch, 0
	.set _ZN2at6native12_GLOBAL__N_125multi_tensor_apply_kernelINS1_28TensorListScalarListMetadataIlLi2EEENS1_25BinaryOpScalarListFunctorIlLi2ELi1ELi1EEEJNS0_7minimumIlEEEEEvT_T0_DpT1_.has_dyn_sized_stack, 0
	.set _ZN2at6native12_GLOBAL__N_125multi_tensor_apply_kernelINS1_28TensorListScalarListMetadataIlLi2EEENS1_25BinaryOpScalarListFunctorIlLi2ELi1ELi1EEEJNS0_7minimumIlEEEEEvT_T0_DpT1_.has_recursion, 0
	.set _ZN2at6native12_GLOBAL__N_125multi_tensor_apply_kernelINS1_28TensorListScalarListMetadataIlLi2EEENS1_25BinaryOpScalarListFunctorIlLi2ELi1ELi1EEEJNS0_7minimumIlEEEEEvT_T0_DpT1_.has_indirect_call, 0
	.section	.AMDGPU.csdata,"",@progbits
; Kernel info:
; codeLenInByte = 1540
; TotalNumSgprs: 27
; NumVgprs: 33
; ScratchSize: 0
; MemoryBound: 0
; FloatMode: 240
; IeeeMode: 1
; LDSByteSize: 0 bytes/workgroup (compile time only)
; SGPRBlocks: 0
; VGPRBlocks: 4
; NumSGPRsForWavesPerEU: 27
; NumVGPRsForWavesPerEU: 33
; Occupancy: 16
; WaveLimiterHint : 1
; COMPUTE_PGM_RSRC2:SCRATCH_EN: 0
; COMPUTE_PGM_RSRC2:USER_SGPR: 6
; COMPUTE_PGM_RSRC2:TRAP_HANDLER: 0
; COMPUTE_PGM_RSRC2:TGID_X_EN: 1
; COMPUTE_PGM_RSRC2:TGID_Y_EN: 0
; COMPUTE_PGM_RSRC2:TGID_Z_EN: 0
; COMPUTE_PGM_RSRC2:TIDIG_COMP_CNT: 0
	.section	.text._ZN2at6native12_GLOBAL__N_125multi_tensor_apply_kernelINS1_28TensorListScalarListMetadataIsLi2EEENS1_25BinaryOpScalarListFunctorIsLi2ELi1ELi1EEEJNS0_7minimumIsEEEEEvT_T0_DpT1_,"axG",@progbits,_ZN2at6native12_GLOBAL__N_125multi_tensor_apply_kernelINS1_28TensorListScalarListMetadataIsLi2EEENS1_25BinaryOpScalarListFunctorIsLi2ELi1ELi1EEEJNS0_7minimumIsEEEEEvT_T0_DpT1_,comdat
	.globl	_ZN2at6native12_GLOBAL__N_125multi_tensor_apply_kernelINS1_28TensorListScalarListMetadataIsLi2EEENS1_25BinaryOpScalarListFunctorIsLi2ELi1ELi1EEEJNS0_7minimumIsEEEEEvT_T0_DpT1_ ; -- Begin function _ZN2at6native12_GLOBAL__N_125multi_tensor_apply_kernelINS1_28TensorListScalarListMetadataIsLi2EEENS1_25BinaryOpScalarListFunctorIsLi2ELi1ELi1EEEJNS0_7minimumIsEEEEEvT_T0_DpT1_
	.p2align	8
	.type	_ZN2at6native12_GLOBAL__N_125multi_tensor_apply_kernelINS1_28TensorListScalarListMetadataIsLi2EEENS1_25BinaryOpScalarListFunctorIsLi2ELi1ELi1EEEJNS0_7minimumIsEEEEEvT_T0_DpT1_,@function
_ZN2at6native12_GLOBAL__N_125multi_tensor_apply_kernelINS1_28TensorListScalarListMetadataIsLi2EEENS1_25BinaryOpScalarListFunctorIsLi2ELi1ELi1EEEJNS0_7minimumIsEEEEEvT_T0_DpT1_: ; @_ZN2at6native12_GLOBAL__N_125multi_tensor_apply_kernelINS1_28TensorListScalarListMetadataIsLi2EEENS1_25BinaryOpScalarListFunctorIsLi2ELi1ELi1EEEJNS0_7minimumIsEEEEEvT_T0_DpT1_
; %bb.0:
	v_mov_b32_e32 v1, s6
	s_add_u32 s0, s4, s6
	s_mul_hi_u32 s1, s6, 3
	s_mul_i32 s6, s6, 3
	s_addc_u32 s2, s5, 0
	global_load_ubyte v1, v1, s[4:5] offset:1664
	s_add_u32 s0, s0, s6
	s_addc_u32 s1, s2, s1
	s_mov_b32 s15, 0
	s_load_dword s0, s[0:1], 0x7c0
	s_mov_b32 s17, s15
	s_waitcnt vmcnt(0)
	v_readfirstlane_b32 s1, v1
	v_mul_lo_u32 v2, v1, -6
	v_mul_hi_i32 v3, v1, -6
	s_lshl_b32 s8, s1, 3
	s_waitcnt lgkmcnt(0)
	s_ashr_i32 s1, s0, 31
	s_add_u32 s6, s4, s8
	s_addc_u32 s7, s5, 0
	v_add_co_u32 v1, vcc_lo, s6, v2
	v_add_co_ci_u32_e64 v2, null, s7, v3, vcc_lo
	s_load_dwordx2 s[2:3], s[4:5], s8 offset:0x400
	s_lshl_b64 s[10:11], s[0:1], 17
	s_lshl_b64 s[0:1], s[0:1], 16
	global_load_ushort v3, v[1:2], off offset:1536
	s_clause 0x1
	s_load_dwordx2 s[6:7], s[4:5], s8 offset:0x0
	s_load_dwordx2 s[8:9], s[4:5], s8 offset:0x200
	s_waitcnt lgkmcnt(0)
	s_add_u32 s12, s6, s10
	s_and_b32 s16, s8, 7
	s_and_b32 s14, s12, 7
	s_sub_u32 s12, s2, s0
	s_subb_u32 s13, s3, s1
	s_and_b32 s0, s2, 3
	s_mov_b32 s1, s15
	s_or_b64 s[0:1], s[16:17], s[0:1]
	s_or_b64 s[0:1], s[0:1], s[14:15]
	s_cmp_eq_u64 s[0:1], 0
	s_mov_b32 s0, -1
	s_cbranch_scc1 .LBB133_21
; %bb.1:
	v_cmp_lt_i64_e64 s0, s[12:13], 1
	s_and_b32 vcc_lo, exec_lo, s0
	s_cbranch_vccnz .LBB133_20
; %bb.2:
	s_load_dword s0, s[4:5], 0xcd4
	v_cmp_gt_i64_e64 s1, 0x10000, s[12:13]
	v_lshlrev_b32_e32 v10, 1, v0
	v_cmp_gt_u64_e64 s2, 0x10000, s[12:13]
	v_mov_b32_e32 v11, 0
	s_mov_b64 s[18:19], 0
	s_and_b32 s1, s1, exec_lo
	v_add_co_u32 v1, s3, s6, v10
	s_cselect_b32 s15, s13, 0
	s_cselect_b32 s14, s12, 0x10000
	v_add_co_ci_u32_e64 v2, null, s7, 0, s3
	v_add_co_u32 v4, s3, s8, v10
	v_add_co_ci_u32_e64 v5, null, s9, 0, s3
	s_waitcnt lgkmcnt(0)
	s_and_b32 s0, s0, 0xffff
	s_and_b32 s1, s2, exec_lo
	s_cselect_b32 s17, s13, 0
	s_cselect_b32 s16, s12, 0x10000
	s_mul_i32 s2, s0, 3
	s_lshl_b32 s20, s0, 2
	v_mad_u64_u32 v[8:9], null, s0, 6, v[10:11]
	v_add_co_u32 v15, s3, s20, v10
	v_add_co_u32 v10, s2, s2, v0
	v_add_co_ci_u32_e64 v11, null, 0, 0, s2
	v_add_co_u32 v14, s2, v0, s0
	s_lshl_b32 s1, s0, 1
	v_add_co_u32 v6, vcc_lo, s6, v8
	v_lshlrev_b32_e32 v22, 1, v14
	v_add_co_ci_u32_e64 v16, null, 0, 0, s3
	v_add_co_ci_u32_e64 v7, null, s7, v9, vcc_lo
	v_add_co_u32 v8, vcc_lo, s8, v8
	v_add_co_u32 v18, s1, s1, v0
	v_add_co_ci_u32_e64 v9, null, s9, v9, vcc_lo
	v_add_co_u32 v12, vcc_lo, s6, v15
	v_add_co_ci_u32_e64 v19, null, 0, 0, s1
	v_add_co_u32 v20, s1, s6, v22
	v_add_co_ci_u32_e64 v13, null, s7, v16, vcc_lo
	v_add_co_u32 v15, vcc_lo, s8, v15
	v_add_co_ci_u32_e64 v21, null, s7, 0, s1
	v_add_co_u32 v22, s1, s8, v22
	v_add_co_ci_u32_e64 v16, null, s9, v16, vcc_lo
	v_add_co_ci_u32_e64 v17, null, 0, 0, s2
	v_add_co_ci_u32_e64 v23, null, s9, 0, s1
	s_lshl_b32 s21, s0, 3
	s_branch .LBB133_4
.LBB133_3:                              ;   in Loop: Header=BB133_4 Depth=1
	s_or_b32 exec_lo, exec_lo, s0
	v_add_co_u32 v1, vcc_lo, v1, s21
	v_add_co_ci_u32_e64 v2, null, 0, v2, vcc_lo
	v_add_co_u32 v4, vcc_lo, v4, s21
	v_add_co_ci_u32_e64 v5, null, 0, v5, vcc_lo
	;; [unrolled: 2-line block ×4, first 2 shown]
	v_add_co_u32 v12, vcc_lo, v12, s21
	s_add_u32 s18, s18, s20
	v_add_co_ci_u32_e64 v13, null, 0, v13, vcc_lo
	v_add_co_u32 v15, vcc_lo, v15, s21
	s_addc_u32 s19, s19, 0
	v_add_co_ci_u32_e64 v16, null, 0, v16, vcc_lo
	v_add_co_u32 v20, vcc_lo, v20, s21
	v_cmp_lt_i64_e64 s0, s[18:19], s[14:15]
	v_add_co_ci_u32_e64 v21, null, 0, v21, vcc_lo
	v_add_co_u32 v22, vcc_lo, v22, s21
	v_add_co_ci_u32_e64 v23, null, 0, v23, vcc_lo
	s_and_b32 vcc_lo, exec_lo, s0
	s_cbranch_vccz .LBB133_20
.LBB133_4:                              ; =>This Inner Loop Header: Depth=1
	s_waitcnt vmcnt(0)
	v_add_co_u32 v24, s0, v0, s18
	v_add_co_ci_u32_e64 v25, null, 0, s19, s0
	v_cmp_gt_u64_e32 vcc_lo, s[16:17], v[24:25]
	v_mov_b32_e32 v25, 0
	s_and_saveexec_b32 s1, vcc_lo
	s_cbranch_execz .LBB133_6
; %bb.5:                                ;   in Loop: Header=BB133_4 Depth=1
	v_add_co_u32 v24, s0, v1, s10
	v_add_co_ci_u32_e64 v25, null, s11, v2, s0
	global_load_ushort v25, v[24:25], off
.LBB133_6:                              ;   in Loop: Header=BB133_4 Depth=1
	s_or_b32 exec_lo, exec_lo, s1
	v_add_co_u32 v26, s0, v14, s18
	v_add_co_ci_u32_e64 v27, null, s19, v17, s0
	v_mov_b32_e32 v24, 0
	v_cmp_gt_u64_e64 s0, s[16:17], v[26:27]
	v_mov_b32_e32 v26, 0
	s_and_saveexec_b32 s2, s0
	s_cbranch_execz .LBB133_8
; %bb.7:                                ;   in Loop: Header=BB133_4 Depth=1
	v_add_co_u32 v26, s1, v20, s10
	v_add_co_ci_u32_e64 v27, null, s11, v21, s1
	global_load_ushort v26, v[26:27], off
.LBB133_8:                              ;   in Loop: Header=BB133_4 Depth=1
	s_or_b32 exec_lo, exec_lo, s2
	v_add_co_u32 v27, s1, v18, s18
	v_add_co_ci_u32_e64 v28, null, s19, v19, s1
	v_cmp_gt_u64_e64 s1, s[16:17], v[27:28]
	s_and_saveexec_b32 s3, s1
	s_cbranch_execz .LBB133_10
; %bb.9:                                ;   in Loop: Header=BB133_4 Depth=1
	v_add_co_u32 v27, s2, v12, s10
	v_add_co_ci_u32_e64 v28, null, s11, v13, s2
	global_load_ushort v24, v[27:28], off
.LBB133_10:                             ;   in Loop: Header=BB133_4 Depth=1
	s_or_b32 exec_lo, exec_lo, s3
	v_add_co_u32 v27, s2, v10, s18
	v_add_co_ci_u32_e64 v28, null, s19, v11, s2
	v_cmp_gt_u64_e64 s2, s[16:17], v[27:28]
	v_mov_b32_e32 v27, 0
	s_and_saveexec_b32 s22, s2
	s_cbranch_execnz .LBB133_15
; %bb.11:                               ;   in Loop: Header=BB133_4 Depth=1
	s_or_b32 exec_lo, exec_lo, s22
	s_and_saveexec_b32 s3, vcc_lo
	s_cbranch_execnz .LBB133_16
.LBB133_12:                             ;   in Loop: Header=BB133_4 Depth=1
	s_or_b32 exec_lo, exec_lo, s3
	s_and_saveexec_b32 s3, s0
	s_cbranch_execnz .LBB133_17
.LBB133_13:                             ;   in Loop: Header=BB133_4 Depth=1
	s_or_b32 exec_lo, exec_lo, s3
	s_and_saveexec_b32 s0, s1
	s_cbranch_execnz .LBB133_18
.LBB133_14:                             ;   in Loop: Header=BB133_4 Depth=1
	s_or_b32 exec_lo, exec_lo, s0
	s_and_saveexec_b32 s0, s2
	s_cbranch_execz .LBB133_3
	s_branch .LBB133_19
.LBB133_15:                             ;   in Loop: Header=BB133_4 Depth=1
	v_add_co_u32 v27, s3, v6, s10
	v_add_co_ci_u32_e64 v28, null, s11, v7, s3
	global_load_ushort v27, v[27:28], off
	s_or_b32 exec_lo, exec_lo, s22
	s_and_saveexec_b32 s3, vcc_lo
	s_cbranch_execz .LBB133_12
.LBB133_16:                             ;   in Loop: Header=BB133_4 Depth=1
	v_add_co_u32 v28, vcc_lo, v4, s10
	s_waitcnt vmcnt(0)
	v_min_i16 v25, v25, v3
	v_add_co_ci_u32_e64 v29, null, s11, v5, vcc_lo
	global_store_short v[28:29], v25, off
	s_or_b32 exec_lo, exec_lo, s3
	s_and_saveexec_b32 s3, s0
	s_cbranch_execz .LBB133_13
.LBB133_17:                             ;   in Loop: Header=BB133_4 Depth=1
	s_waitcnt vmcnt(0)
	v_add_co_u32 v25, vcc_lo, v22, s10
	v_min_i16 v28, v26, v3
	v_add_co_ci_u32_e64 v26, null, s11, v23, vcc_lo
	global_store_short v[25:26], v28, off
	s_or_b32 exec_lo, exec_lo, s3
	s_and_saveexec_b32 s0, s1
	s_cbranch_execz .LBB133_14
.LBB133_18:                             ;   in Loop: Header=BB133_4 Depth=1
	s_waitcnt vmcnt(0)
	v_min_i16 v26, v24, v3
	v_add_co_u32 v24, vcc_lo, v15, s10
	v_add_co_ci_u32_e64 v25, null, s11, v16, vcc_lo
	global_store_short v[24:25], v26, off
	s_or_b32 exec_lo, exec_lo, s0
	s_and_saveexec_b32 s0, s2
	s_cbranch_execz .LBB133_3
.LBB133_19:                             ;   in Loop: Header=BB133_4 Depth=1
	s_waitcnt vmcnt(0)
	v_add_co_u32 v24, vcc_lo, v8, s10
	v_min_i16 v26, v27, v3
	v_add_co_ci_u32_e64 v25, null, s11, v9, vcc_lo
	global_store_short v[24:25], v26, off
	s_branch .LBB133_3
.LBB133_20:
	s_mov_b32 s0, 0
.LBB133_21:
	s_andn2_b32 vcc_lo, exec_lo, s0
	s_cbranch_vccnz .LBB133_25
; %bb.22:
	v_cmp_gt_i64_e64 s0, 0x10000, s[12:13]
	v_mov_b32_e32 v2, 0
	v_lshlrev_b32_e32 v1, 2, v0
	s_mov_b32 s1, 0
	s_and_b32 s0, s0, exec_lo
	s_cselect_b32 s3, s13, 0
	s_cselect_b32 s2, s12, 0x10000
	s_mov_b32 s0, exec_lo
	v_cmpx_gt_i64_e64 s[2:3], v[1:2]
	s_cbranch_execz .LBB133_25
; %bb.23:
	s_load_dword s0, s[4:5], 0xcd4
	s_waitcnt vmcnt(0)
	v_and_b32_e32 v4, 0xffff, v3
	v_lshlrev_b32_e32 v5, 3, v0
	v_mov_b32_e32 v1, v2
	v_lshl_or_b32 v2, v3, 16, v4
	v_add_co_u32 v3, s4, s10, v5
	v_add_co_ci_u32_e64 v4, null, s11, 0, s4
	s_waitcnt lgkmcnt(0)
	s_and_b32 s4, s0, 0xffff
	s_lshl_b32 s5, s4, 3
	s_inst_prefetch 0x1
	.p2align	6
.LBB133_24:                             ; =>This Inner Loop Header: Depth=1
	v_add_co_u32 v5, vcc_lo, s6, v3
	v_add_co_ci_u32_e64 v6, null, s7, v4, vcc_lo
	v_add_co_u32 v0, vcc_lo, v0, s4
	v_add_co_ci_u32_e64 v1, null, 0, v1, vcc_lo
	global_load_dwordx2 v[5:6], v[5:6], off
	v_add_co_u32 v7, vcc_lo, s8, v3
	v_lshlrev_b64 v[9:10], 2, v[0:1]
	v_add_co_ci_u32_e64 v8, null, s9, v4, vcc_lo
	v_add_co_u32 v3, vcc_lo, v3, s5
	v_add_co_ci_u32_e64 v4, null, 0, v4, vcc_lo
	v_cmp_le_i64_e64 s0, s[2:3], v[9:10]
	s_or_b32 s1, s0, s1
	s_waitcnt vmcnt(0)
	v_bfi_b32 v5, 0xffff, v5, v5
	v_pk_min_i16 v6, v6, v2
	v_pk_min_i16 v5, v5, v2
	global_store_dwordx2 v[7:8], v[5:6], off
	s_andn2_b32 exec_lo, exec_lo, s1
	s_cbranch_execnz .LBB133_24
.LBB133_25:
	s_inst_prefetch 0x2
	s_endpgm
	.section	.rodata,"a",@progbits
	.p2align	6, 0x0
	.amdhsa_kernel _ZN2at6native12_GLOBAL__N_125multi_tensor_apply_kernelINS1_28TensorListScalarListMetadataIsLi2EEENS1_25BinaryOpScalarListFunctorIsLi2ELi1ELi1EEEJNS0_7minimumIsEEEEEvT_T0_DpT1_
		.amdhsa_group_segment_fixed_size 0
		.amdhsa_private_segment_fixed_size 0
		.amdhsa_kernarg_size 3528
		.amdhsa_user_sgpr_count 6
		.amdhsa_user_sgpr_private_segment_buffer 1
		.amdhsa_user_sgpr_dispatch_ptr 0
		.amdhsa_user_sgpr_queue_ptr 0
		.amdhsa_user_sgpr_kernarg_segment_ptr 1
		.amdhsa_user_sgpr_dispatch_id 0
		.amdhsa_user_sgpr_flat_scratch_init 0
		.amdhsa_user_sgpr_private_segment_size 0
		.amdhsa_wavefront_size32 1
		.amdhsa_uses_dynamic_stack 0
		.amdhsa_system_sgpr_private_segment_wavefront_offset 0
		.amdhsa_system_sgpr_workgroup_id_x 1
		.amdhsa_system_sgpr_workgroup_id_y 0
		.amdhsa_system_sgpr_workgroup_id_z 0
		.amdhsa_system_sgpr_workgroup_info 0
		.amdhsa_system_vgpr_workitem_id 0
		.amdhsa_next_free_vgpr 30
		.amdhsa_next_free_sgpr 23
		.amdhsa_reserve_vcc 1
		.amdhsa_reserve_flat_scratch 0
		.amdhsa_float_round_mode_32 0
		.amdhsa_float_round_mode_16_64 0
		.amdhsa_float_denorm_mode_32 3
		.amdhsa_float_denorm_mode_16_64 3
		.amdhsa_dx10_clamp 1
		.amdhsa_ieee_mode 1
		.amdhsa_fp16_overflow 0
		.amdhsa_workgroup_processor_mode 1
		.amdhsa_memory_ordered 1
		.amdhsa_forward_progress 1
		.amdhsa_shared_vgpr_count 0
		.amdhsa_exception_fp_ieee_invalid_op 0
		.amdhsa_exception_fp_denorm_src 0
		.amdhsa_exception_fp_ieee_div_zero 0
		.amdhsa_exception_fp_ieee_overflow 0
		.amdhsa_exception_fp_ieee_underflow 0
		.amdhsa_exception_fp_ieee_inexact 0
		.amdhsa_exception_int_div_zero 0
	.end_amdhsa_kernel
	.section	.text._ZN2at6native12_GLOBAL__N_125multi_tensor_apply_kernelINS1_28TensorListScalarListMetadataIsLi2EEENS1_25BinaryOpScalarListFunctorIsLi2ELi1ELi1EEEJNS0_7minimumIsEEEEEvT_T0_DpT1_,"axG",@progbits,_ZN2at6native12_GLOBAL__N_125multi_tensor_apply_kernelINS1_28TensorListScalarListMetadataIsLi2EEENS1_25BinaryOpScalarListFunctorIsLi2ELi1ELi1EEEJNS0_7minimumIsEEEEEvT_T0_DpT1_,comdat
.Lfunc_end133:
	.size	_ZN2at6native12_GLOBAL__N_125multi_tensor_apply_kernelINS1_28TensorListScalarListMetadataIsLi2EEENS1_25BinaryOpScalarListFunctorIsLi2ELi1ELi1EEEJNS0_7minimumIsEEEEEvT_T0_DpT1_, .Lfunc_end133-_ZN2at6native12_GLOBAL__N_125multi_tensor_apply_kernelINS1_28TensorListScalarListMetadataIsLi2EEENS1_25BinaryOpScalarListFunctorIsLi2ELi1ELi1EEEJNS0_7minimumIsEEEEEvT_T0_DpT1_
                                        ; -- End function
	.set _ZN2at6native12_GLOBAL__N_125multi_tensor_apply_kernelINS1_28TensorListScalarListMetadataIsLi2EEENS1_25BinaryOpScalarListFunctorIsLi2ELi1ELi1EEEJNS0_7minimumIsEEEEEvT_T0_DpT1_.num_vgpr, 30
	.set _ZN2at6native12_GLOBAL__N_125multi_tensor_apply_kernelINS1_28TensorListScalarListMetadataIsLi2EEENS1_25BinaryOpScalarListFunctorIsLi2ELi1ELi1EEEJNS0_7minimumIsEEEEEvT_T0_DpT1_.num_agpr, 0
	.set _ZN2at6native12_GLOBAL__N_125multi_tensor_apply_kernelINS1_28TensorListScalarListMetadataIsLi2EEENS1_25BinaryOpScalarListFunctorIsLi2ELi1ELi1EEEJNS0_7minimumIsEEEEEvT_T0_DpT1_.numbered_sgpr, 23
	.set _ZN2at6native12_GLOBAL__N_125multi_tensor_apply_kernelINS1_28TensorListScalarListMetadataIsLi2EEENS1_25BinaryOpScalarListFunctorIsLi2ELi1ELi1EEEJNS0_7minimumIsEEEEEvT_T0_DpT1_.num_named_barrier, 0
	.set _ZN2at6native12_GLOBAL__N_125multi_tensor_apply_kernelINS1_28TensorListScalarListMetadataIsLi2EEENS1_25BinaryOpScalarListFunctorIsLi2ELi1ELi1EEEJNS0_7minimumIsEEEEEvT_T0_DpT1_.private_seg_size, 0
	.set _ZN2at6native12_GLOBAL__N_125multi_tensor_apply_kernelINS1_28TensorListScalarListMetadataIsLi2EEENS1_25BinaryOpScalarListFunctorIsLi2ELi1ELi1EEEJNS0_7minimumIsEEEEEvT_T0_DpT1_.uses_vcc, 1
	.set _ZN2at6native12_GLOBAL__N_125multi_tensor_apply_kernelINS1_28TensorListScalarListMetadataIsLi2EEENS1_25BinaryOpScalarListFunctorIsLi2ELi1ELi1EEEJNS0_7minimumIsEEEEEvT_T0_DpT1_.uses_flat_scratch, 0
	.set _ZN2at6native12_GLOBAL__N_125multi_tensor_apply_kernelINS1_28TensorListScalarListMetadataIsLi2EEENS1_25BinaryOpScalarListFunctorIsLi2ELi1ELi1EEEJNS0_7minimumIsEEEEEvT_T0_DpT1_.has_dyn_sized_stack, 0
	.set _ZN2at6native12_GLOBAL__N_125multi_tensor_apply_kernelINS1_28TensorListScalarListMetadataIsLi2EEENS1_25BinaryOpScalarListFunctorIsLi2ELi1ELi1EEEJNS0_7minimumIsEEEEEvT_T0_DpT1_.has_recursion, 0
	.set _ZN2at6native12_GLOBAL__N_125multi_tensor_apply_kernelINS1_28TensorListScalarListMetadataIsLi2EEENS1_25BinaryOpScalarListFunctorIsLi2ELi1ELi1EEEJNS0_7minimumIsEEEEEvT_T0_DpT1_.has_indirect_call, 0
	.section	.AMDGPU.csdata,"",@progbits
; Kernel info:
; codeLenInByte = 1492
; TotalNumSgprs: 25
; NumVgprs: 30
; ScratchSize: 0
; MemoryBound: 0
; FloatMode: 240
; IeeeMode: 1
; LDSByteSize: 0 bytes/workgroup (compile time only)
; SGPRBlocks: 0
; VGPRBlocks: 3
; NumSGPRsForWavesPerEU: 25
; NumVGPRsForWavesPerEU: 30
; Occupancy: 16
; WaveLimiterHint : 0
; COMPUTE_PGM_RSRC2:SCRATCH_EN: 0
; COMPUTE_PGM_RSRC2:USER_SGPR: 6
; COMPUTE_PGM_RSRC2:TRAP_HANDLER: 0
; COMPUTE_PGM_RSRC2:TGID_X_EN: 1
; COMPUTE_PGM_RSRC2:TGID_Y_EN: 0
; COMPUTE_PGM_RSRC2:TGID_Z_EN: 0
; COMPUTE_PGM_RSRC2:TIDIG_COMP_CNT: 0
	.section	.text._ZN2at6native12_GLOBAL__N_125multi_tensor_apply_kernelINS1_28TensorListScalarListMetadataIdLi2EEENS1_25BinaryOpScalarListFunctorIdLi2ELi1ELi1EEEJNS0_7minimumIdEEEEEvT_T0_DpT1_,"axG",@progbits,_ZN2at6native12_GLOBAL__N_125multi_tensor_apply_kernelINS1_28TensorListScalarListMetadataIdLi2EEENS1_25BinaryOpScalarListFunctorIdLi2ELi1ELi1EEEJNS0_7minimumIdEEEEEvT_T0_DpT1_,comdat
	.globl	_ZN2at6native12_GLOBAL__N_125multi_tensor_apply_kernelINS1_28TensorListScalarListMetadataIdLi2EEENS1_25BinaryOpScalarListFunctorIdLi2ELi1ELi1EEEJNS0_7minimumIdEEEEEvT_T0_DpT1_ ; -- Begin function _ZN2at6native12_GLOBAL__N_125multi_tensor_apply_kernelINS1_28TensorListScalarListMetadataIdLi2EEENS1_25BinaryOpScalarListFunctorIdLi2ELi1ELi1EEEJNS0_7minimumIdEEEEEvT_T0_DpT1_
	.p2align	8
	.type	_ZN2at6native12_GLOBAL__N_125multi_tensor_apply_kernelINS1_28TensorListScalarListMetadataIdLi2EEENS1_25BinaryOpScalarListFunctorIdLi2ELi1ELi1EEEJNS0_7minimumIdEEEEEvT_T0_DpT1_,@function
_ZN2at6native12_GLOBAL__N_125multi_tensor_apply_kernelINS1_28TensorListScalarListMetadataIdLi2EEENS1_25BinaryOpScalarListFunctorIdLi2ELi1ELi1EEEJNS0_7minimumIdEEEEEvT_T0_DpT1_: ; @_ZN2at6native12_GLOBAL__N_125multi_tensor_apply_kernelINS1_28TensorListScalarListMetadataIdLi2EEENS1_25BinaryOpScalarListFunctorIdLi2ELi1ELi1EEEJNS0_7minimumIdEEEEEvT_T0_DpT1_
; %bb.0:
	v_mov_b32_e32 v1, 0x800
	s_add_u32 s0, s4, s6
	s_addc_u32 s1, s5, 0
	s_mov_b32 s7, 0
	s_mov_b32 s19, s7
	global_load_ubyte v1, v1, s[0:1]
	s_lshl_b64 s[0:1], s[6:7], 2
	s_add_u32 s0, s4, s0
	s_addc_u32 s1, s5, s1
	s_load_dword s0, s[0:1], 0x940
	s_waitcnt vmcnt(0)
	v_readfirstlane_b32 s1, v1
	s_lshl_b32 s1, s1, 3
	s_clause 0x3
	s_load_dwordx2 s[10:11], s[4:5], s1 offset:0x0
	s_load_dwordx2 s[12:13], s[4:5], s1 offset:0x600
	;; [unrolled: 1-line block ×4, first 2 shown]
	s_waitcnt lgkmcnt(0)
	s_ashr_i32 s1, s0, 31
	s_lshl_b64 s[8:9], s[0:1], 19
	s_lshl_b64 s[0:1], s[0:1], 16
	s_add_u32 s6, s10, s8
	s_and_b32 s18, s14, 31
	s_and_b32 s6, s6, 31
	s_sub_u32 s16, s2, s0
	s_subb_u32 s17, s3, s1
	s_and_b32 s0, s2, 3
	s_mov_b32 s1, s7
	s_or_b64 s[0:1], s[18:19], s[0:1]
	s_or_b64 s[0:1], s[0:1], s[6:7]
	s_cmp_eq_u64 s[0:1], 0
	s_mov_b32 s0, -1
	s_cbranch_scc1 .LBB134_21
; %bb.1:
	v_cmp_lt_i64_e64 s0, s[16:17], 1
	s_and_b32 vcc_lo, exec_lo, s0
	s_cbranch_vccnz .LBB134_20
; %bb.2:
	s_load_dword s0, s[4:5], 0xe54
	v_cmp_gt_i64_e64 s1, 0x10000, s[16:17]
	v_lshlrev_b32_e32 v1, 3, v0
	v_mov_b32_e32 v2, 0
	v_cmp_gt_u64_e64 s2, 0x10000, s[16:17]
	s_mov_b64 s[20:21], 0
	s_and_b32 s1, s1, exec_lo
	s_cselect_b32 s7, s17, 0
	s_cselect_b32 s6, s16, 0x10000
	v_add_co_u32 v11, s1, s14, v1
	v_add_co_u32 v9, s3, s10, v1
	v_add_co_ci_u32_e64 v12, null, s15, 0, s1
	v_add_co_ci_u32_e64 v10, null, s11, 0, s3
	s_waitcnt lgkmcnt(0)
	s_and_b32 s0, s0, 0xffff
	s_and_b32 s1, s2, exec_lo
	v_mad_u64_u32 v[2:3], null, s0, 24, v[1:2]
	s_cselect_b32 s19, s17, 0
	s_cselect_b32 s18, s16, 0x10000
	s_mul_i32 s2, s0, 3
	s_lshl_b32 s3, s0, 4
	v_add_co_u32 v17, s2, s2, v0
	v_add_co_u32 v13, vcc_lo, s10, v2
	v_add_co_u32 v1, s3, s3, v1
	v_add_co_ci_u32_e64 v14, null, s11, v3, vcc_lo
	v_add_co_u32 v15, vcc_lo, s14, v2
	v_add_co_ci_u32_e64 v2, null, 0, 0, s3
	v_add_co_ci_u32_e64 v18, null, 0, 0, s2
	v_add_co_u32 v21, s2, v0, s0
	v_add_co_ci_u32_e64 v16, null, s15, v3, vcc_lo
	v_add_co_u32 v19, vcc_lo, s10, v1
	v_add_co_ci_u32_e64 v20, null, s11, v2, vcc_lo
	v_add_co_u32 v22, vcc_lo, s14, v1
	v_lshlrev_b32_e32 v1, 3, v21
	s_lshl_b32 s1, s0, 1
	v_add_co_ci_u32_e64 v23, null, s15, v2, vcc_lo
	v_add_co_u32 v25, s1, s1, v0
	v_add_co_ci_u32_e64 v26, null, 0, 0, s1
	v_add_co_u32 v27, s1, s10, v1
	v_add_co_ci_u32_e64 v28, null, s11, 0, s1
	;; [unrolled: 2-line block ×3, first 2 shown]
	v_add_co_ci_u32_e64 v30, null, s15, 0, s1
	s_lshl_b32 s22, s0, 2
	s_lshl_b32 s23, s0, 5
	s_branch .LBB134_4
.LBB134_3:                              ;   in Loop: Header=BB134_4 Depth=1
	s_or_b32 exec_lo, exec_lo, s1
	v_add_co_u32 v9, vcc_lo, v9, s23
	v_add_co_ci_u32_e64 v10, null, 0, v10, vcc_lo
	v_add_co_u32 v11, vcc_lo, v11, s23
	v_add_co_ci_u32_e64 v12, null, 0, v12, vcc_lo
	;; [unrolled: 2-line block ×4, first 2 shown]
	v_add_co_u32 v19, vcc_lo, v19, s23
	s_add_u32 s20, s20, s22
	v_add_co_ci_u32_e64 v20, null, 0, v20, vcc_lo
	v_add_co_u32 v22, vcc_lo, v22, s23
	s_addc_u32 s21, s21, 0
	v_add_co_ci_u32_e64 v23, null, 0, v23, vcc_lo
	v_add_co_u32 v27, vcc_lo, v27, s23
	v_cmp_lt_i64_e64 s0, s[20:21], s[6:7]
	v_add_co_ci_u32_e64 v28, null, 0, v28, vcc_lo
	v_add_co_u32 v29, vcc_lo, v29, s23
	v_add_co_ci_u32_e64 v30, null, 0, v30, vcc_lo
	s_and_b32 vcc_lo, exec_lo, s0
	s_cbranch_vccz .LBB134_20
.LBB134_4:                              ; =>This Inner Loop Header: Depth=1
	s_waitcnt vmcnt(0)
	v_add_co_u32 v3, s0, v0, s20
	v_add_co_ci_u32_e64 v4, null, 0, s21, s0
	v_mov_b32_e32 v1, 0
	v_mov_b32_e32 v5, 0
	;; [unrolled: 1-line block ×3, first 2 shown]
	v_cmp_gt_u64_e32 vcc_lo, s[18:19], v[3:4]
	v_mov_b32_e32 v6, 0
	s_and_saveexec_b32 s1, vcc_lo
	s_cbranch_execz .LBB134_6
; %bb.5:                                ;   in Loop: Header=BB134_4 Depth=1
	v_add_co_u32 v3, s0, v9, s8
	v_add_co_ci_u32_e64 v4, null, s9, v10, s0
	global_load_dwordx2 v[5:6], v[3:4], off
.LBB134_6:                              ;   in Loop: Header=BB134_4 Depth=1
	s_or_b32 exec_lo, exec_lo, s1
	v_add_co_u32 v3, s0, v21, s20
	v_add_co_ci_u32_e64 v4, null, s21, v24, s0
	v_cmp_gt_u64_e64 s0, s[18:19], v[3:4]
	s_and_saveexec_b32 s2, s0
	s_cbranch_execz .LBB134_8
; %bb.7:                                ;   in Loop: Header=BB134_4 Depth=1
	v_add_co_u32 v1, s1, v27, s8
	v_add_co_ci_u32_e64 v2, null, s9, v28, s1
	global_load_dwordx2 v[1:2], v[1:2], off
.LBB134_8:                              ;   in Loop: Header=BB134_4 Depth=1
	s_or_b32 exec_lo, exec_lo, s2
	v_add_co_u32 v7, s1, v25, s20
	v_add_co_ci_u32_e64 v8, null, s21, v26, s1
	v_mov_b32_e32 v3, 0
	v_mov_b32_e32 v4, 0
	v_cmp_gt_u64_e64 s1, s[18:19], v[7:8]
	v_mov_b32_e32 v7, 0
	v_mov_b32_e32 v8, 0
	s_and_saveexec_b32 s3, s1
	s_cbranch_execz .LBB134_10
; %bb.9:                                ;   in Loop: Header=BB134_4 Depth=1
	v_add_co_u32 v7, s2, v19, s8
	v_add_co_ci_u32_e64 v8, null, s9, v20, s2
	global_load_dwordx2 v[7:8], v[7:8], off
.LBB134_10:                             ;   in Loop: Header=BB134_4 Depth=1
	s_or_b32 exec_lo, exec_lo, s3
	v_add_co_u32 v31, s2, v17, s20
	v_add_co_ci_u32_e64 v32, null, s21, v18, s2
	v_cmp_gt_u64_e64 s2, s[18:19], v[31:32]
	s_and_saveexec_b32 s24, s2
	s_cbranch_execnz .LBB134_15
; %bb.11:                               ;   in Loop: Header=BB134_4 Depth=1
	s_or_b32 exec_lo, exec_lo, s24
	s_and_saveexec_b32 s24, vcc_lo
	s_cbranch_execnz .LBB134_16
.LBB134_12:                             ;   in Loop: Header=BB134_4 Depth=1
	s_or_b32 exec_lo, exec_lo, s24
	s_and_saveexec_b32 s3, s0
	s_cbranch_execnz .LBB134_17
.LBB134_13:                             ;   in Loop: Header=BB134_4 Depth=1
	s_or_b32 exec_lo, exec_lo, s3
	s_and_saveexec_b32 s3, s1
	s_cbranch_execnz .LBB134_18
.LBB134_14:                             ;   in Loop: Header=BB134_4 Depth=1
	s_or_b32 exec_lo, exec_lo, s3
	s_and_saveexec_b32 s1, s2
	s_cbranch_execz .LBB134_3
	s_branch .LBB134_19
.LBB134_15:                             ;   in Loop: Header=BB134_4 Depth=1
	v_add_co_u32 v3, s3, v13, s8
	v_add_co_ci_u32_e64 v4, null, s9, v14, s3
	global_load_dwordx2 v[3:4], v[3:4], off
	s_or_b32 exec_lo, exec_lo, s24
	s_and_saveexec_b32 s24, vcc_lo
	s_cbranch_execz .LBB134_12
.LBB134_16:                             ;   in Loop: Header=BB134_4 Depth=1
	s_waitcnt vmcnt(0)
	v_cmp_u_f64_e32 vcc_lo, v[5:6], v[5:6]
	v_cmp_gt_f64_e64 s3, s[12:13], v[5:6]
	s_or_b32 vcc_lo, vcc_lo, s3
	v_cndmask_b32_e32 v6, s13, v6, vcc_lo
	v_cndmask_b32_e32 v5, s12, v5, vcc_lo
	v_add_co_u32 v31, vcc_lo, v11, s8
	v_add_co_ci_u32_e64 v32, null, s9, v12, vcc_lo
	global_store_dwordx2 v[31:32], v[5:6], off
	s_or_b32 exec_lo, exec_lo, s24
	s_and_saveexec_b32 s3, s0
	s_cbranch_execz .LBB134_13
.LBB134_17:                             ;   in Loop: Header=BB134_4 Depth=1
	s_waitcnt vmcnt(0)
	v_cmp_u_f64_e32 vcc_lo, v[1:2], v[1:2]
	v_cmp_gt_f64_e64 s0, s[12:13], v[1:2]
	s_or_b32 vcc_lo, vcc_lo, s0
	v_cndmask_b32_e32 v2, s13, v2, vcc_lo
	v_cndmask_b32_e32 v1, s12, v1, vcc_lo
	v_add_co_u32 v5, vcc_lo, v29, s8
	v_add_co_ci_u32_e64 v6, null, s9, v30, vcc_lo
	global_store_dwordx2 v[5:6], v[1:2], off
	s_or_b32 exec_lo, exec_lo, s3
	s_and_saveexec_b32 s3, s1
	s_cbranch_execz .LBB134_14
.LBB134_18:                             ;   in Loop: Header=BB134_4 Depth=1
	s_waitcnt vmcnt(0)
	v_cmp_u_f64_e32 vcc_lo, v[7:8], v[7:8]
	v_cmp_gt_f64_e64 s0, s[12:13], v[7:8]
	s_or_b32 vcc_lo, vcc_lo, s0
	v_cndmask_b32_e32 v2, s13, v8, vcc_lo
	v_cndmask_b32_e32 v1, s12, v7, vcc_lo
	v_add_co_u32 v5, vcc_lo, v22, s8
	v_add_co_ci_u32_e64 v6, null, s9, v23, vcc_lo
	global_store_dwordx2 v[5:6], v[1:2], off
	s_or_b32 exec_lo, exec_lo, s3
	s_and_saveexec_b32 s1, s2
	s_cbranch_execz .LBB134_3
.LBB134_19:                             ;   in Loop: Header=BB134_4 Depth=1
	s_waitcnt vmcnt(0)
	v_cmp_u_f64_e32 vcc_lo, v[3:4], v[3:4]
	v_cmp_gt_f64_e64 s0, s[12:13], v[3:4]
	s_or_b32 vcc_lo, vcc_lo, s0
	v_cndmask_b32_e32 v2, s13, v4, vcc_lo
	v_cndmask_b32_e32 v1, s12, v3, vcc_lo
	v_add_co_u32 v3, vcc_lo, v15, s8
	v_add_co_ci_u32_e64 v4, null, s9, v16, vcc_lo
	global_store_dwordx2 v[3:4], v[1:2], off
	s_branch .LBB134_3
.LBB134_20:
	s_mov_b32 s0, 0
.LBB134_21:
	s_andn2_b32 vcc_lo, exec_lo, s0
	s_cbranch_vccnz .LBB134_25
; %bb.22:
	v_cmp_gt_i64_e64 s0, 0x10000, s[16:17]
	s_waitcnt vmcnt(0)
	v_mov_b32_e32 v2, 0
	v_lshlrev_b32_e32 v1, 2, v0
	s_mov_b32 s18, 0
	s_and_b32 s0, s0, exec_lo
	s_cselect_b32 s17, s17, 0
	s_cselect_b32 s16, s16, 0x10000
	s_mov_b32 s0, exec_lo
	v_cmpx_gt_i64_e64 s[16:17], v[1:2]
	s_cbranch_execz .LBB134_25
; %bb.23:
	s_load_dword s0, s[4:5], 0xe54
	v_lshlrev_b32_e32 v3, 5, v0
	v_mov_b32_e32 v1, v2
	v_add_co_u32 v2, s1, s8, v3
	v_add_co_ci_u32_e64 v3, null, s9, 0, s1
	s_waitcnt lgkmcnt(0)
	s_and_b32 s9, s0, 0xffff
	s_lshl_b32 s19, s9, 5
.LBB134_24:                             ; =>This Inner Loop Header: Depth=1
	v_add_co_u32 v8, vcc_lo, s10, v2
	v_add_co_ci_u32_e64 v9, null, s11, v3, vcc_lo
	v_add_co_u32 v0, s0, v0, s9
	v_add_co_ci_u32_e64 v1, null, 0, v1, s0
	s_clause 0x1
	global_load_dwordx4 v[4:7], v[8:9], off
	global_load_dwordx4 v[8:11], v[8:9], off offset:16
	v_add_co_u32 v12, vcc_lo, s14, v2
	v_lshlrev_b64 v[14:15], 2, v[0:1]
	v_add_co_ci_u32_e64 v13, null, s15, v3, vcc_lo
	v_add_co_u32 v2, vcc_lo, v2, s19
	v_add_co_ci_u32_e64 v3, null, 0, v3, vcc_lo
	v_cmp_le_i64_e64 s8, s[16:17], v[14:15]
	s_waitcnt vmcnt(1)
	v_cmp_u_f64_e64 s0, v[4:5], v[4:5]
	v_cmp_gt_f64_e64 s1, s[12:13], v[4:5]
	v_cmp_u_f64_e64 s2, v[6:7], v[6:7]
	v_cmp_gt_f64_e64 s3, s[12:13], v[6:7]
	s_waitcnt vmcnt(0)
	v_cmp_u_f64_e64 s4, v[8:9], v[8:9]
	v_cmp_gt_f64_e64 s5, s[12:13], v[8:9]
	v_cmp_u_f64_e64 s6, v[10:11], v[10:11]
	v_cmp_gt_f64_e64 s7, s[12:13], v[10:11]
	s_or_b32 s0, s0, s1
	s_or_b32 s1, s2, s3
	v_cndmask_b32_e64 v5, s13, v5, s0
	s_or_b32 s2, s4, s5
	v_cndmask_b32_e64 v7, s13, v7, s1
	;; [unrolled: 2-line block ×3, first 2 shown]
	v_cndmask_b32_e64 v6, s12, v6, s1
	v_cndmask_b32_e64 v9, s13, v9, s2
	;; [unrolled: 1-line block ×5, first 2 shown]
	s_or_b32 s18, s8, s18
	global_store_dwordx4 v[12:13], v[4:7], off
	global_store_dwordx4 v[12:13], v[8:11], off offset:16
	s_andn2_b32 exec_lo, exec_lo, s18
	s_cbranch_execnz .LBB134_24
.LBB134_25:
	s_endpgm
	.section	.rodata,"a",@progbits
	.p2align	6, 0x0
	.amdhsa_kernel _ZN2at6native12_GLOBAL__N_125multi_tensor_apply_kernelINS1_28TensorListScalarListMetadataIdLi2EEENS1_25BinaryOpScalarListFunctorIdLi2ELi1ELi1EEEJNS0_7minimumIdEEEEEvT_T0_DpT1_
		.amdhsa_group_segment_fixed_size 0
		.amdhsa_private_segment_fixed_size 0
		.amdhsa_kernarg_size 3912
		.amdhsa_user_sgpr_count 6
		.amdhsa_user_sgpr_private_segment_buffer 1
		.amdhsa_user_sgpr_dispatch_ptr 0
		.amdhsa_user_sgpr_queue_ptr 0
		.amdhsa_user_sgpr_kernarg_segment_ptr 1
		.amdhsa_user_sgpr_dispatch_id 0
		.amdhsa_user_sgpr_flat_scratch_init 0
		.amdhsa_user_sgpr_private_segment_size 0
		.amdhsa_wavefront_size32 1
		.amdhsa_uses_dynamic_stack 0
		.amdhsa_system_sgpr_private_segment_wavefront_offset 0
		.amdhsa_system_sgpr_workgroup_id_x 1
		.amdhsa_system_sgpr_workgroup_id_y 0
		.amdhsa_system_sgpr_workgroup_id_z 0
		.amdhsa_system_sgpr_workgroup_info 0
		.amdhsa_system_vgpr_workitem_id 0
		.amdhsa_next_free_vgpr 33
		.amdhsa_next_free_sgpr 25
		.amdhsa_reserve_vcc 1
		.amdhsa_reserve_flat_scratch 0
		.amdhsa_float_round_mode_32 0
		.amdhsa_float_round_mode_16_64 0
		.amdhsa_float_denorm_mode_32 3
		.amdhsa_float_denorm_mode_16_64 3
		.amdhsa_dx10_clamp 1
		.amdhsa_ieee_mode 1
		.amdhsa_fp16_overflow 0
		.amdhsa_workgroup_processor_mode 1
		.amdhsa_memory_ordered 1
		.amdhsa_forward_progress 1
		.amdhsa_shared_vgpr_count 0
		.amdhsa_exception_fp_ieee_invalid_op 0
		.amdhsa_exception_fp_denorm_src 0
		.amdhsa_exception_fp_ieee_div_zero 0
		.amdhsa_exception_fp_ieee_overflow 0
		.amdhsa_exception_fp_ieee_underflow 0
		.amdhsa_exception_fp_ieee_inexact 0
		.amdhsa_exception_int_div_zero 0
	.end_amdhsa_kernel
	.section	.text._ZN2at6native12_GLOBAL__N_125multi_tensor_apply_kernelINS1_28TensorListScalarListMetadataIdLi2EEENS1_25BinaryOpScalarListFunctorIdLi2ELi1ELi1EEEJNS0_7minimumIdEEEEEvT_T0_DpT1_,"axG",@progbits,_ZN2at6native12_GLOBAL__N_125multi_tensor_apply_kernelINS1_28TensorListScalarListMetadataIdLi2EEENS1_25BinaryOpScalarListFunctorIdLi2ELi1ELi1EEEJNS0_7minimumIdEEEEEvT_T0_DpT1_,comdat
.Lfunc_end134:
	.size	_ZN2at6native12_GLOBAL__N_125multi_tensor_apply_kernelINS1_28TensorListScalarListMetadataIdLi2EEENS1_25BinaryOpScalarListFunctorIdLi2ELi1ELi1EEEJNS0_7minimumIdEEEEEvT_T0_DpT1_, .Lfunc_end134-_ZN2at6native12_GLOBAL__N_125multi_tensor_apply_kernelINS1_28TensorListScalarListMetadataIdLi2EEENS1_25BinaryOpScalarListFunctorIdLi2ELi1ELi1EEEJNS0_7minimumIdEEEEEvT_T0_DpT1_
                                        ; -- End function
	.set _ZN2at6native12_GLOBAL__N_125multi_tensor_apply_kernelINS1_28TensorListScalarListMetadataIdLi2EEENS1_25BinaryOpScalarListFunctorIdLi2ELi1ELi1EEEJNS0_7minimumIdEEEEEvT_T0_DpT1_.num_vgpr, 33
	.set _ZN2at6native12_GLOBAL__N_125multi_tensor_apply_kernelINS1_28TensorListScalarListMetadataIdLi2EEENS1_25BinaryOpScalarListFunctorIdLi2ELi1ELi1EEEJNS0_7minimumIdEEEEEvT_T0_DpT1_.num_agpr, 0
	.set _ZN2at6native12_GLOBAL__N_125multi_tensor_apply_kernelINS1_28TensorListScalarListMetadataIdLi2EEENS1_25BinaryOpScalarListFunctorIdLi2ELi1ELi1EEEJNS0_7minimumIdEEEEEvT_T0_DpT1_.numbered_sgpr, 25
	.set _ZN2at6native12_GLOBAL__N_125multi_tensor_apply_kernelINS1_28TensorListScalarListMetadataIdLi2EEENS1_25BinaryOpScalarListFunctorIdLi2ELi1ELi1EEEJNS0_7minimumIdEEEEEvT_T0_DpT1_.num_named_barrier, 0
	.set _ZN2at6native12_GLOBAL__N_125multi_tensor_apply_kernelINS1_28TensorListScalarListMetadataIdLi2EEENS1_25BinaryOpScalarListFunctorIdLi2ELi1ELi1EEEJNS0_7minimumIdEEEEEvT_T0_DpT1_.private_seg_size, 0
	.set _ZN2at6native12_GLOBAL__N_125multi_tensor_apply_kernelINS1_28TensorListScalarListMetadataIdLi2EEENS1_25BinaryOpScalarListFunctorIdLi2ELi1ELi1EEEJNS0_7minimumIdEEEEEvT_T0_DpT1_.uses_vcc, 1
	.set _ZN2at6native12_GLOBAL__N_125multi_tensor_apply_kernelINS1_28TensorListScalarListMetadataIdLi2EEENS1_25BinaryOpScalarListFunctorIdLi2ELi1ELi1EEEJNS0_7minimumIdEEEEEvT_T0_DpT1_.uses_flat_scratch, 0
	.set _ZN2at6native12_GLOBAL__N_125multi_tensor_apply_kernelINS1_28TensorListScalarListMetadataIdLi2EEENS1_25BinaryOpScalarListFunctorIdLi2ELi1ELi1EEEJNS0_7minimumIdEEEEEvT_T0_DpT1_.has_dyn_sized_stack, 0
	.set _ZN2at6native12_GLOBAL__N_125multi_tensor_apply_kernelINS1_28TensorListScalarListMetadataIdLi2EEENS1_25BinaryOpScalarListFunctorIdLi2ELi1ELi1EEEJNS0_7minimumIdEEEEEvT_T0_DpT1_.has_recursion, 0
	.set _ZN2at6native12_GLOBAL__N_125multi_tensor_apply_kernelINS1_28TensorListScalarListMetadataIdLi2EEENS1_25BinaryOpScalarListFunctorIdLi2ELi1ELi1EEEJNS0_7minimumIdEEEEEvT_T0_DpT1_.has_indirect_call, 0
	.section	.AMDGPU.csdata,"",@progbits
; Kernel info:
; codeLenInByte = 1636
; TotalNumSgprs: 27
; NumVgprs: 33
; ScratchSize: 0
; MemoryBound: 0
; FloatMode: 240
; IeeeMode: 1
; LDSByteSize: 0 bytes/workgroup (compile time only)
; SGPRBlocks: 0
; VGPRBlocks: 4
; NumSGPRsForWavesPerEU: 27
; NumVGPRsForWavesPerEU: 33
; Occupancy: 16
; WaveLimiterHint : 1
; COMPUTE_PGM_RSRC2:SCRATCH_EN: 0
; COMPUTE_PGM_RSRC2:USER_SGPR: 6
; COMPUTE_PGM_RSRC2:TRAP_HANDLER: 0
; COMPUTE_PGM_RSRC2:TGID_X_EN: 1
; COMPUTE_PGM_RSRC2:TGID_Y_EN: 0
; COMPUTE_PGM_RSRC2:TGID_Z_EN: 0
; COMPUTE_PGM_RSRC2:TIDIG_COMP_CNT: 0
	.section	.text._ZN2at6native12_GLOBAL__N_125multi_tensor_apply_kernelINS1_28TensorListScalarListMetadataIfLi2EEENS1_25BinaryOpScalarListFunctorIfLi2ELi1ELi1EEEJNS0_7minimumIfEEEEEvT_T0_DpT1_,"axG",@progbits,_ZN2at6native12_GLOBAL__N_125multi_tensor_apply_kernelINS1_28TensorListScalarListMetadataIfLi2EEENS1_25BinaryOpScalarListFunctorIfLi2ELi1ELi1EEEJNS0_7minimumIfEEEEEvT_T0_DpT1_,comdat
	.globl	_ZN2at6native12_GLOBAL__N_125multi_tensor_apply_kernelINS1_28TensorListScalarListMetadataIfLi2EEENS1_25BinaryOpScalarListFunctorIfLi2ELi1ELi1EEEJNS0_7minimumIfEEEEEvT_T0_DpT1_ ; -- Begin function _ZN2at6native12_GLOBAL__N_125multi_tensor_apply_kernelINS1_28TensorListScalarListMetadataIfLi2EEENS1_25BinaryOpScalarListFunctorIfLi2ELi1ELi1EEEJNS0_7minimumIfEEEEEvT_T0_DpT1_
	.p2align	8
	.type	_ZN2at6native12_GLOBAL__N_125multi_tensor_apply_kernelINS1_28TensorListScalarListMetadataIfLi2EEENS1_25BinaryOpScalarListFunctorIfLi2ELi1ELi1EEEJNS0_7minimumIfEEEEEvT_T0_DpT1_,@function
_ZN2at6native12_GLOBAL__N_125multi_tensor_apply_kernelINS1_28TensorListScalarListMetadataIfLi2EEENS1_25BinaryOpScalarListFunctorIfLi2ELi1ELi1EEEJNS0_7minimumIfEEEEEvT_T0_DpT1_: ; @_ZN2at6native12_GLOBAL__N_125multi_tensor_apply_kernelINS1_28TensorListScalarListMetadataIfLi2EEENS1_25BinaryOpScalarListFunctorIfLi2ELi1ELi1EEEJNS0_7minimumIfEEEEEvT_T0_DpT1_
; %bb.0:
	v_mov_b32_e32 v1, s6
	s_add_u32 s0, s4, s6
	s_mul_hi_u32 s1, s6, 3
	s_mul_i32 s6, s6, 3
	s_addc_u32 s2, s5, 0
	global_load_ubyte v1, v1, s[4:5] offset:1792
	s_add_u32 s0, s0, s6
	s_addc_u32 s1, s2, s1
	s_mov_b32 s15, 0
	s_load_dword s0, s[0:1], 0x840
	s_mov_b32 s17, s15
	s_waitcnt vmcnt(0)
	v_readfirstlane_b32 s1, v1
	v_lshlrev_b32_e32 v1, 2, v1
	s_lshl_b32 s6, s1, 3
	v_sub_co_u32 v1, s1, 0, v1
	v_sub_co_ci_u32_e64 v2, null, 0, 0, s1
	s_waitcnt lgkmcnt(0)
	s_ashr_i32 s1, s0, 31
	s_clause 0x2
	s_load_dwordx2 s[2:3], s[4:5], s6 offset:0x400
	s_load_dwordx2 s[10:11], s[4:5], s6 offset:0x0
	s_load_dwordx2 s[12:13], s[4:5], s6 offset:0x200
	s_add_u32 s6, s4, s6
	s_addc_u32 s7, s5, 0
	v_add_co_u32 v1, vcc_lo, s6, v1
	v_add_co_ci_u32_e64 v2, null, s7, v2, vcc_lo
	v_readfirstlane_b32 s6, v1
	v_readfirstlane_b32 s7, v2
	s_load_dword s20, s[6:7], 0x600
	s_lshl_b64 s[6:7], s[0:1], 18
	s_lshl_b64 s[0:1], s[0:1], 16
	s_waitcnt lgkmcnt(0)
	s_add_u32 s8, s10, s6
	s_and_b32 s16, s12, 15
	s_and_b32 s14, s8, 15
	s_sub_u32 s8, s2, s0
	s_subb_u32 s9, s3, s1
	s_and_b32 s0, s2, 3
	s_mov_b32 s1, s15
	s_or_b64 s[0:1], s[16:17], s[0:1]
	s_or_b64 s[0:1], s[0:1], s[14:15]
	s_cmp_eq_u64 s[0:1], 0
	s_mov_b32 s0, -1
	s_cbranch_scc1 .LBB135_21
; %bb.1:
	v_cmp_lt_i64_e64 s0, s[8:9], 1
	s_and_b32 vcc_lo, exec_lo, s0
	s_cbranch_vccnz .LBB135_20
; %bb.2:
	s_load_dword s0, s[4:5], 0xd54
	v_cmp_gt_i64_e64 s1, 0x10000, s[8:9]
	v_lshlrev_b32_e32 v9, 2, v0
	v_cmp_gt_u64_e64 s2, 0x10000, s[8:9]
	v_mov_b32_e32 v10, 0
	s_mov_b64 s[18:19], 0
	s_and_b32 s1, s1, exec_lo
	v_add_co_u32 v3, s1, s12, v9
	v_add_co_u32 v1, s3, s10, v9
	s_cselect_b32 s15, s9, 0
	s_cselect_b32 s14, s8, 0x10000
	v_add_co_ci_u32_e64 v4, null, s13, 0, s1
	v_add_co_ci_u32_e64 v2, null, s11, 0, s3
	s_waitcnt lgkmcnt(0)
	s_and_b32 s0, s0, 0xffff
	s_and_b32 s1, s2, exec_lo
	s_cselect_b32 s17, s9, 0
	s_cselect_b32 s16, s8, 0x10000
	s_mul_i32 s2, s0, 3
	s_lshl_b32 s3, s0, 3
	v_mad_u64_u32 v[7:8], null, s0, 12, v[9:10]
	v_add_co_u32 v14, s3, s3, v9
	v_add_co_u32 v9, s2, s2, v0
	v_add_co_ci_u32_e64 v10, null, 0, 0, s2
	v_add_co_u32 v13, s2, v0, s0
	s_lshl_b32 s1, s0, 1
	v_add_co_u32 v5, vcc_lo, s10, v7
	v_lshlrev_b32_e32 v21, 2, v13
	v_add_co_ci_u32_e64 v15, null, 0, 0, s3
	v_add_co_ci_u32_e64 v6, null, s11, v8, vcc_lo
	v_add_co_u32 v7, vcc_lo, s12, v7
	v_add_co_u32 v17, s1, s1, v0
	v_add_co_ci_u32_e64 v8, null, s13, v8, vcc_lo
	v_add_co_u32 v11, vcc_lo, s10, v14
	v_add_co_ci_u32_e64 v18, null, 0, 0, s1
	v_add_co_u32 v19, s1, s10, v21
	v_add_co_ci_u32_e64 v12, null, s11, v15, vcc_lo
	v_add_co_u32 v14, vcc_lo, s12, v14
	v_add_co_ci_u32_e64 v20, null, s11, 0, s1
	v_add_co_u32 v21, s1, s12, v21
	v_add_co_ci_u32_e64 v15, null, s13, v15, vcc_lo
	v_add_co_ci_u32_e64 v16, null, 0, 0, s2
	v_add_co_ci_u32_e64 v22, null, s13, 0, s1
	s_lshl_b32 s21, s0, 2
	s_lshl_b32 s22, s0, 4
	s_branch .LBB135_4
.LBB135_3:                              ;   in Loop: Header=BB135_4 Depth=1
	s_or_b32 exec_lo, exec_lo, s1
	v_add_co_u32 v1, vcc_lo, v1, s22
	v_add_co_ci_u32_e64 v2, null, 0, v2, vcc_lo
	v_add_co_u32 v3, vcc_lo, v3, s22
	v_add_co_ci_u32_e64 v4, null, 0, v4, vcc_lo
	;; [unrolled: 2-line block ×4, first 2 shown]
	v_add_co_u32 v11, vcc_lo, v11, s22
	s_add_u32 s18, s18, s21
	v_add_co_ci_u32_e64 v12, null, 0, v12, vcc_lo
	v_add_co_u32 v14, vcc_lo, v14, s22
	s_addc_u32 s19, s19, 0
	v_add_co_ci_u32_e64 v15, null, 0, v15, vcc_lo
	v_add_co_u32 v19, vcc_lo, v19, s22
	v_cmp_lt_i64_e64 s0, s[18:19], s[14:15]
	v_add_co_ci_u32_e64 v20, null, 0, v20, vcc_lo
	v_add_co_u32 v21, vcc_lo, v21, s22
	v_add_co_ci_u32_e64 v22, null, 0, v22, vcc_lo
	s_and_b32 vcc_lo, exec_lo, s0
	s_cbranch_vccz .LBB135_20
.LBB135_4:                              ; =>This Inner Loop Header: Depth=1
	s_waitcnt vmcnt(0)
	v_add_co_u32 v23, s0, v0, s18
	v_add_co_ci_u32_e64 v24, null, 0, s19, s0
	v_cmp_gt_u64_e32 vcc_lo, s[16:17], v[23:24]
	v_mov_b32_e32 v24, 0
	s_and_saveexec_b32 s1, vcc_lo
	s_cbranch_execz .LBB135_6
; %bb.5:                                ;   in Loop: Header=BB135_4 Depth=1
	v_add_co_u32 v23, s0, v1, s6
	v_add_co_ci_u32_e64 v24, null, s7, v2, s0
	global_load_dword v24, v[23:24], off
.LBB135_6:                              ;   in Loop: Header=BB135_4 Depth=1
	s_or_b32 exec_lo, exec_lo, s1
	v_add_co_u32 v25, s0, v13, s18
	v_add_co_ci_u32_e64 v26, null, s19, v16, s0
	v_mov_b32_e32 v23, 0
	v_cmp_gt_u64_e64 s0, s[16:17], v[25:26]
	v_mov_b32_e32 v25, 0
	s_and_saveexec_b32 s2, s0
	s_cbranch_execz .LBB135_8
; %bb.7:                                ;   in Loop: Header=BB135_4 Depth=1
	v_add_co_u32 v25, s1, v19, s6
	v_add_co_ci_u32_e64 v26, null, s7, v20, s1
	global_load_dword v25, v[25:26], off
.LBB135_8:                              ;   in Loop: Header=BB135_4 Depth=1
	s_or_b32 exec_lo, exec_lo, s2
	v_add_co_u32 v26, s1, v17, s18
	v_add_co_ci_u32_e64 v27, null, s19, v18, s1
	v_cmp_gt_u64_e64 s1, s[16:17], v[26:27]
	s_and_saveexec_b32 s3, s1
	s_cbranch_execz .LBB135_10
; %bb.9:                                ;   in Loop: Header=BB135_4 Depth=1
	v_add_co_u32 v26, s2, v11, s6
	v_add_co_ci_u32_e64 v27, null, s7, v12, s2
	global_load_dword v23, v[26:27], off
.LBB135_10:                             ;   in Loop: Header=BB135_4 Depth=1
	s_or_b32 exec_lo, exec_lo, s3
	v_add_co_u32 v26, s2, v9, s18
	v_add_co_ci_u32_e64 v27, null, s19, v10, s2
	v_cmp_gt_u64_e64 s2, s[16:17], v[26:27]
	v_mov_b32_e32 v26, 0
	s_and_saveexec_b32 s23, s2
	s_cbranch_execnz .LBB135_15
; %bb.11:                               ;   in Loop: Header=BB135_4 Depth=1
	s_or_b32 exec_lo, exec_lo, s23
	s_and_saveexec_b32 s23, vcc_lo
	s_cbranch_execnz .LBB135_16
.LBB135_12:                             ;   in Loop: Header=BB135_4 Depth=1
	s_or_b32 exec_lo, exec_lo, s23
	s_and_saveexec_b32 s3, s0
	s_cbranch_execnz .LBB135_17
.LBB135_13:                             ;   in Loop: Header=BB135_4 Depth=1
	s_or_b32 exec_lo, exec_lo, s3
	s_and_saveexec_b32 s3, s1
	s_cbranch_execnz .LBB135_18
.LBB135_14:                             ;   in Loop: Header=BB135_4 Depth=1
	s_or_b32 exec_lo, exec_lo, s3
	s_and_saveexec_b32 s1, s2
	s_cbranch_execz .LBB135_3
	s_branch .LBB135_19
.LBB135_15:                             ;   in Loop: Header=BB135_4 Depth=1
	v_add_co_u32 v26, s3, v5, s6
	v_add_co_ci_u32_e64 v27, null, s7, v6, s3
	global_load_dword v26, v[26:27], off
	s_or_b32 exec_lo, exec_lo, s23
	s_and_saveexec_b32 s23, vcc_lo
	s_cbranch_execz .LBB135_12
.LBB135_16:                             ;   in Loop: Header=BB135_4 Depth=1
	s_waitcnt vmcnt(0)
	v_cmp_u_f32_e32 vcc_lo, v24, v24
	v_cmp_gt_f32_e64 s3, s20, v24
	s_or_b32 vcc_lo, vcc_lo, s3
	v_cndmask_b32_e32 v24, s20, v24, vcc_lo
	v_add_co_u32 v27, vcc_lo, v3, s6
	v_add_co_ci_u32_e64 v28, null, s7, v4, vcc_lo
	global_store_dword v[27:28], v24, off
	s_or_b32 exec_lo, exec_lo, s23
	s_and_saveexec_b32 s3, s0
	s_cbranch_execz .LBB135_13
.LBB135_17:                             ;   in Loop: Header=BB135_4 Depth=1
	s_waitcnt vmcnt(0)
	v_cmp_u_f32_e32 vcc_lo, v25, v25
	v_cmp_gt_f32_e64 s0, s20, v25
	s_or_b32 vcc_lo, vcc_lo, s0
	v_cndmask_b32_e32 v27, s20, v25, vcc_lo
	v_add_co_u32 v24, vcc_lo, v21, s6
	v_add_co_ci_u32_e64 v25, null, s7, v22, vcc_lo
	global_store_dword v[24:25], v27, off
	s_or_b32 exec_lo, exec_lo, s3
	s_and_saveexec_b32 s3, s1
	s_cbranch_execz .LBB135_14
.LBB135_18:                             ;   in Loop: Header=BB135_4 Depth=1
	s_waitcnt vmcnt(0)
	v_cmp_u_f32_e32 vcc_lo, v23, v23
	v_cmp_gt_f32_e64 s0, s20, v23
	s_or_b32 vcc_lo, vcc_lo, s0
	v_cndmask_b32_e32 v25, s20, v23, vcc_lo
	v_add_co_u32 v23, vcc_lo, v14, s6
	v_add_co_ci_u32_e64 v24, null, s7, v15, vcc_lo
	global_store_dword v[23:24], v25, off
	s_or_b32 exec_lo, exec_lo, s3
	s_and_saveexec_b32 s1, s2
	s_cbranch_execz .LBB135_3
.LBB135_19:                             ;   in Loop: Header=BB135_4 Depth=1
	s_waitcnt vmcnt(0)
	v_cmp_u_f32_e32 vcc_lo, v26, v26
	v_cmp_gt_f32_e64 s0, s20, v26
	s_or_b32 vcc_lo, vcc_lo, s0
	v_cndmask_b32_e32 v25, s20, v26, vcc_lo
	v_add_co_u32 v23, vcc_lo, v7, s6
	v_add_co_ci_u32_e64 v24, null, s7, v8, vcc_lo
	global_store_dword v[23:24], v25, off
	s_branch .LBB135_3
.LBB135_20:
	s_mov_b32 s0, 0
.LBB135_21:
	s_andn2_b32 vcc_lo, exec_lo, s0
	s_cbranch_vccnz .LBB135_25
; %bb.22:
	v_cmp_gt_i64_e64 s0, 0x10000, s[8:9]
	v_mov_b32_e32 v2, 0
	v_lshlrev_b32_e32 v1, 2, v0
	s_and_b32 s0, s0, exec_lo
	s_cselect_b32 s15, s9, 0
	s_cselect_b32 s14, s8, 0x10000
	s_mov_b32 s9, 0
	s_mov_b32 s0, exec_lo
	v_cmpx_gt_i64_e64 s[14:15], v[1:2]
	s_cbranch_execz .LBB135_25
; %bb.23:
	s_load_dword s0, s[4:5], 0xd54
	v_lshlrev_b32_e32 v3, 4, v0
	v_mov_b32_e32 v1, v2
	v_add_co_u32 v2, s1, s6, v3
	v_add_co_ci_u32_e64 v3, null, s7, 0, s1
	s_waitcnt lgkmcnt(0)
	s_and_b32 s16, s0, 0xffff
	s_lshl_b32 s17, s16, 4
.LBB135_24:                             ; =>This Inner Loop Header: Depth=1
	v_add_co_u32 v4, vcc_lo, s10, v2
	v_add_co_ci_u32_e64 v5, null, s11, v3, vcc_lo
	v_add_co_u32 v0, vcc_lo, v0, s16
	v_add_co_ci_u32_e64 v1, null, 0, v1, vcc_lo
	global_load_dwordx4 v[4:7], v[4:5], off
	v_add_co_u32 v8, vcc_lo, s12, v2
	v_lshlrev_b64 v[10:11], 2, v[0:1]
	v_add_co_ci_u32_e64 v9, null, s13, v3, vcc_lo
	v_add_co_u32 v2, vcc_lo, v2, s17
	v_add_co_ci_u32_e64 v3, null, 0, v3, vcc_lo
	v_cmp_le_i64_e64 s0, s[14:15], v[10:11]
	s_waitcnt vmcnt(0)
	v_cmp_u_f32_e64 s1, v4, v4
	v_cmp_gt_f32_e64 s2, s20, v4
	v_cmp_u_f32_e64 s3, v5, v5
	v_cmp_gt_f32_e64 s4, s20, v5
	;; [unrolled: 2-line block ×3, first 2 shown]
	s_or_b32 s1, s1, s2
	v_cmp_u_f32_e64 s7, v7, v7
	v_cmp_gt_f32_e64 s8, s20, v7
	v_cndmask_b32_e64 v4, s20, v4, s1
	s_or_b32 s1, s3, s4
	v_cndmask_b32_e64 v5, s20, v5, s1
	s_or_b32 s1, s5, s6
	;; [unrolled: 2-line block ×3, first 2 shown]
	s_or_b32 s9, s0, s9
	v_cndmask_b32_e64 v7, s20, v7, s1
	global_store_dwordx4 v[8:9], v[4:7], off
	s_andn2_b32 exec_lo, exec_lo, s9
	s_cbranch_execnz .LBB135_24
.LBB135_25:
	s_endpgm
	.section	.rodata,"a",@progbits
	.p2align	6, 0x0
	.amdhsa_kernel _ZN2at6native12_GLOBAL__N_125multi_tensor_apply_kernelINS1_28TensorListScalarListMetadataIfLi2EEENS1_25BinaryOpScalarListFunctorIfLi2ELi1ELi1EEEJNS0_7minimumIfEEEEEvT_T0_DpT1_
		.amdhsa_group_segment_fixed_size 0
		.amdhsa_private_segment_fixed_size 0
		.amdhsa_kernarg_size 3656
		.amdhsa_user_sgpr_count 6
		.amdhsa_user_sgpr_private_segment_buffer 1
		.amdhsa_user_sgpr_dispatch_ptr 0
		.amdhsa_user_sgpr_queue_ptr 0
		.amdhsa_user_sgpr_kernarg_segment_ptr 1
		.amdhsa_user_sgpr_dispatch_id 0
		.amdhsa_user_sgpr_flat_scratch_init 0
		.amdhsa_user_sgpr_private_segment_size 0
		.amdhsa_wavefront_size32 1
		.amdhsa_uses_dynamic_stack 0
		.amdhsa_system_sgpr_private_segment_wavefront_offset 0
		.amdhsa_system_sgpr_workgroup_id_x 1
		.amdhsa_system_sgpr_workgroup_id_y 0
		.amdhsa_system_sgpr_workgroup_id_z 0
		.amdhsa_system_sgpr_workgroup_info 0
		.amdhsa_system_vgpr_workitem_id 0
		.amdhsa_next_free_vgpr 29
		.amdhsa_next_free_sgpr 24
		.amdhsa_reserve_vcc 1
		.amdhsa_reserve_flat_scratch 0
		.amdhsa_float_round_mode_32 0
		.amdhsa_float_round_mode_16_64 0
		.amdhsa_float_denorm_mode_32 3
		.amdhsa_float_denorm_mode_16_64 3
		.amdhsa_dx10_clamp 1
		.amdhsa_ieee_mode 1
		.amdhsa_fp16_overflow 0
		.amdhsa_workgroup_processor_mode 1
		.amdhsa_memory_ordered 1
		.amdhsa_forward_progress 1
		.amdhsa_shared_vgpr_count 0
		.amdhsa_exception_fp_ieee_invalid_op 0
		.amdhsa_exception_fp_denorm_src 0
		.amdhsa_exception_fp_ieee_div_zero 0
		.amdhsa_exception_fp_ieee_overflow 0
		.amdhsa_exception_fp_ieee_underflow 0
		.amdhsa_exception_fp_ieee_inexact 0
		.amdhsa_exception_int_div_zero 0
	.end_amdhsa_kernel
	.section	.text._ZN2at6native12_GLOBAL__N_125multi_tensor_apply_kernelINS1_28TensorListScalarListMetadataIfLi2EEENS1_25BinaryOpScalarListFunctorIfLi2ELi1ELi1EEEJNS0_7minimumIfEEEEEvT_T0_DpT1_,"axG",@progbits,_ZN2at6native12_GLOBAL__N_125multi_tensor_apply_kernelINS1_28TensorListScalarListMetadataIfLi2EEENS1_25BinaryOpScalarListFunctorIfLi2ELi1ELi1EEEJNS0_7minimumIfEEEEEvT_T0_DpT1_,comdat
.Lfunc_end135:
	.size	_ZN2at6native12_GLOBAL__N_125multi_tensor_apply_kernelINS1_28TensorListScalarListMetadataIfLi2EEENS1_25BinaryOpScalarListFunctorIfLi2ELi1ELi1EEEJNS0_7minimumIfEEEEEvT_T0_DpT1_, .Lfunc_end135-_ZN2at6native12_GLOBAL__N_125multi_tensor_apply_kernelINS1_28TensorListScalarListMetadataIfLi2EEENS1_25BinaryOpScalarListFunctorIfLi2ELi1ELi1EEEJNS0_7minimumIfEEEEEvT_T0_DpT1_
                                        ; -- End function
	.set _ZN2at6native12_GLOBAL__N_125multi_tensor_apply_kernelINS1_28TensorListScalarListMetadataIfLi2EEENS1_25BinaryOpScalarListFunctorIfLi2ELi1ELi1EEEJNS0_7minimumIfEEEEEvT_T0_DpT1_.num_vgpr, 29
	.set _ZN2at6native12_GLOBAL__N_125multi_tensor_apply_kernelINS1_28TensorListScalarListMetadataIfLi2EEENS1_25BinaryOpScalarListFunctorIfLi2ELi1ELi1EEEJNS0_7minimumIfEEEEEvT_T0_DpT1_.num_agpr, 0
	.set _ZN2at6native12_GLOBAL__N_125multi_tensor_apply_kernelINS1_28TensorListScalarListMetadataIfLi2EEENS1_25BinaryOpScalarListFunctorIfLi2ELi1ELi1EEEJNS0_7minimumIfEEEEEvT_T0_DpT1_.numbered_sgpr, 24
	.set _ZN2at6native12_GLOBAL__N_125multi_tensor_apply_kernelINS1_28TensorListScalarListMetadataIfLi2EEENS1_25BinaryOpScalarListFunctorIfLi2ELi1ELi1EEEJNS0_7minimumIfEEEEEvT_T0_DpT1_.num_named_barrier, 0
	.set _ZN2at6native12_GLOBAL__N_125multi_tensor_apply_kernelINS1_28TensorListScalarListMetadataIfLi2EEENS1_25BinaryOpScalarListFunctorIfLi2ELi1ELi1EEEJNS0_7minimumIfEEEEEvT_T0_DpT1_.private_seg_size, 0
	.set _ZN2at6native12_GLOBAL__N_125multi_tensor_apply_kernelINS1_28TensorListScalarListMetadataIfLi2EEENS1_25BinaryOpScalarListFunctorIfLi2ELi1ELi1EEEJNS0_7minimumIfEEEEEvT_T0_DpT1_.uses_vcc, 1
	.set _ZN2at6native12_GLOBAL__N_125multi_tensor_apply_kernelINS1_28TensorListScalarListMetadataIfLi2EEENS1_25BinaryOpScalarListFunctorIfLi2ELi1ELi1EEEJNS0_7minimumIfEEEEEvT_T0_DpT1_.uses_flat_scratch, 0
	.set _ZN2at6native12_GLOBAL__N_125multi_tensor_apply_kernelINS1_28TensorListScalarListMetadataIfLi2EEENS1_25BinaryOpScalarListFunctorIfLi2ELi1ELi1EEEJNS0_7minimumIfEEEEEvT_T0_DpT1_.has_dyn_sized_stack, 0
	.set _ZN2at6native12_GLOBAL__N_125multi_tensor_apply_kernelINS1_28TensorListScalarListMetadataIfLi2EEENS1_25BinaryOpScalarListFunctorIfLi2ELi1ELi1EEEJNS0_7minimumIfEEEEEvT_T0_DpT1_.has_recursion, 0
	.set _ZN2at6native12_GLOBAL__N_125multi_tensor_apply_kernelINS1_28TensorListScalarListMetadataIfLi2EEENS1_25BinaryOpScalarListFunctorIfLi2ELi1ELi1EEEJNS0_7minimumIfEEEEEvT_T0_DpT1_.has_indirect_call, 0
	.section	.AMDGPU.csdata,"",@progbits
; Kernel info:
; codeLenInByte = 1600
; TotalNumSgprs: 26
; NumVgprs: 29
; ScratchSize: 0
; MemoryBound: 0
; FloatMode: 240
; IeeeMode: 1
; LDSByteSize: 0 bytes/workgroup (compile time only)
; SGPRBlocks: 0
; VGPRBlocks: 3
; NumSGPRsForWavesPerEU: 26
; NumVGPRsForWavesPerEU: 29
; Occupancy: 16
; WaveLimiterHint : 0
; COMPUTE_PGM_RSRC2:SCRATCH_EN: 0
; COMPUTE_PGM_RSRC2:USER_SGPR: 6
; COMPUTE_PGM_RSRC2:TRAP_HANDLER: 0
; COMPUTE_PGM_RSRC2:TGID_X_EN: 1
; COMPUTE_PGM_RSRC2:TGID_Y_EN: 0
; COMPUTE_PGM_RSRC2:TGID_Z_EN: 0
; COMPUTE_PGM_RSRC2:TIDIG_COMP_CNT: 0
	.section	.text._ZN2at6native12_GLOBAL__N_125multi_tensor_apply_kernelINS1_28TensorListScalarListMetadataIfLi2EEENS1_25BinaryOpScalarListFunctorIN3c104HalfELi2ELi1ELi1EEEJNS0_7minimumIfEEEEEvT_T0_DpT1_,"axG",@progbits,_ZN2at6native12_GLOBAL__N_125multi_tensor_apply_kernelINS1_28TensorListScalarListMetadataIfLi2EEENS1_25BinaryOpScalarListFunctorIN3c104HalfELi2ELi1ELi1EEEJNS0_7minimumIfEEEEEvT_T0_DpT1_,comdat
	.globl	_ZN2at6native12_GLOBAL__N_125multi_tensor_apply_kernelINS1_28TensorListScalarListMetadataIfLi2EEENS1_25BinaryOpScalarListFunctorIN3c104HalfELi2ELi1ELi1EEEJNS0_7minimumIfEEEEEvT_T0_DpT1_ ; -- Begin function _ZN2at6native12_GLOBAL__N_125multi_tensor_apply_kernelINS1_28TensorListScalarListMetadataIfLi2EEENS1_25BinaryOpScalarListFunctorIN3c104HalfELi2ELi1ELi1EEEJNS0_7minimumIfEEEEEvT_T0_DpT1_
	.p2align	8
	.type	_ZN2at6native12_GLOBAL__N_125multi_tensor_apply_kernelINS1_28TensorListScalarListMetadataIfLi2EEENS1_25BinaryOpScalarListFunctorIN3c104HalfELi2ELi1ELi1EEEJNS0_7minimumIfEEEEEvT_T0_DpT1_,@function
_ZN2at6native12_GLOBAL__N_125multi_tensor_apply_kernelINS1_28TensorListScalarListMetadataIfLi2EEENS1_25BinaryOpScalarListFunctorIN3c104HalfELi2ELi1ELi1EEEJNS0_7minimumIfEEEEEvT_T0_DpT1_: ; @_ZN2at6native12_GLOBAL__N_125multi_tensor_apply_kernelINS1_28TensorListScalarListMetadataIfLi2EEENS1_25BinaryOpScalarListFunctorIN3c104HalfELi2ELi1ELi1EEEJNS0_7minimumIfEEEEEvT_T0_DpT1_
; %bb.0:
	v_mov_b32_e32 v1, s6
	s_add_u32 s0, s4, s6
	s_mul_hi_u32 s1, s6, 3
	s_mul_i32 s6, s6, 3
	s_addc_u32 s2, s5, 0
	global_load_ubyte v1, v1, s[4:5] offset:1792
	s_add_u32 s0, s0, s6
	s_addc_u32 s1, s2, s1
	s_mov_b32 s15, 0
	s_load_dword s0, s[0:1], 0x840
	s_mov_b32 s17, s15
	s_waitcnt vmcnt(0)
	v_readfirstlane_b32 s1, v1
	v_lshlrev_b32_e32 v1, 2, v1
	s_lshl_b32 s10, s1, 3
	v_sub_co_u32 v1, s1, 0, v1
	v_sub_co_ci_u32_e64 v2, null, 0, 0, s1
	s_waitcnt lgkmcnt(0)
	s_ashr_i32 s1, s0, 31
	s_clause 0x2
	s_load_dwordx2 s[2:3], s[4:5], s10 offset:0x400
	s_load_dwordx2 s[6:7], s[4:5], s10 offset:0x0
	;; [unrolled: 1-line block ×3, first 2 shown]
	s_add_u32 s10, s4, s10
	s_addc_u32 s11, s5, 0
	v_add_co_u32 v1, vcc_lo, s10, v1
	v_add_co_ci_u32_e64 v2, null, s11, v2, vcc_lo
	v_readfirstlane_b32 s10, v1
	v_readfirstlane_b32 s11, v2
	s_load_dword s20, s[10:11], 0x600
	s_lshl_b64 s[10:11], s[0:1], 17
	s_lshl_b64 s[0:1], s[0:1], 16
	s_waitcnt lgkmcnt(0)
	s_add_u32 s12, s6, s10
	s_and_b32 s16, s8, 7
	s_and_b32 s14, s12, 7
	s_sub_u32 s12, s2, s0
	s_subb_u32 s13, s3, s1
	s_and_b32 s0, s2, 3
	s_mov_b32 s1, s15
	s_or_b64 s[0:1], s[16:17], s[0:1]
	s_or_b64 s[0:1], s[0:1], s[14:15]
	s_cmp_eq_u64 s[0:1], 0
	s_mov_b32 s0, -1
	s_cbranch_scc1 .LBB136_21
; %bb.1:
	v_cmp_lt_i64_e64 s0, s[12:13], 1
	s_and_b32 vcc_lo, exec_lo, s0
	s_cbranch_vccnz .LBB136_20
; %bb.2:
	s_load_dword s0, s[4:5], 0xd54
	v_cmp_gt_i64_e64 s1, 0x10000, s[12:13]
	v_lshlrev_b32_e32 v10, 1, v0
	v_cmp_gt_u64_e64 s2, 0x10000, s[12:13]
	v_mov_b32_e32 v11, 0
	v_cvt_f16_f32_e32 v1, s20
	s_mov_b64 s[18:19], 0
	s_and_b32 s1, s1, exec_lo
	v_add_co_u32 v2, s3, s6, v10
	s_cselect_b32 s15, s13, 0
	s_cselect_b32 s14, s12, 0x10000
	v_add_co_ci_u32_e64 v3, null, s7, 0, s3
	v_add_co_u32 v4, s3, s8, v10
	v_add_co_ci_u32_e64 v5, null, s9, 0, s3
	s_waitcnt lgkmcnt(0)
	s_and_b32 s0, s0, 0xffff
	s_and_b32 s1, s2, exec_lo
	s_cselect_b32 s17, s13, 0
	s_cselect_b32 s16, s12, 0x10000
	s_mul_i32 s2, s0, 3
	s_lshl_b32 s21, s0, 2
	v_mad_u64_u32 v[8:9], null, s0, 6, v[10:11]
	v_add_co_u32 v15, s3, s21, v10
	v_add_co_u32 v10, s2, s2, v0
	v_add_co_ci_u32_e64 v11, null, 0, 0, s2
	v_add_co_u32 v14, s2, v0, s0
	s_lshl_b32 s1, s0, 1
	v_add_co_u32 v6, vcc_lo, s6, v8
	v_lshlrev_b32_e32 v22, 1, v14
	v_add_co_ci_u32_e64 v16, null, 0, 0, s3
	v_add_co_ci_u32_e64 v7, null, s7, v9, vcc_lo
	v_add_co_u32 v8, vcc_lo, s8, v8
	v_add_co_u32 v18, s1, s1, v0
	v_add_co_ci_u32_e64 v9, null, s9, v9, vcc_lo
	v_add_co_u32 v12, vcc_lo, s6, v15
	v_add_co_ci_u32_e64 v19, null, 0, 0, s1
	v_add_co_u32 v20, s1, s6, v22
	v_add_co_ci_u32_e64 v13, null, s7, v16, vcc_lo
	v_add_co_u32 v15, vcc_lo, s8, v15
	v_add_co_ci_u32_e64 v21, null, s7, 0, s1
	v_add_co_u32 v22, s1, s8, v22
	v_add_co_ci_u32_e64 v16, null, s9, v16, vcc_lo
	v_add_co_ci_u32_e64 v17, null, 0, 0, s2
	v_add_co_ci_u32_e64 v23, null, s9, 0, s1
	s_lshl_b32 s22, s0, 3
	s_branch .LBB136_4
.LBB136_3:                              ;   in Loop: Header=BB136_4 Depth=1
	s_or_b32 exec_lo, exec_lo, s1
	v_add_co_u32 v2, vcc_lo, v2, s22
	v_add_co_ci_u32_e64 v3, null, 0, v3, vcc_lo
	v_add_co_u32 v4, vcc_lo, v4, s22
	v_add_co_ci_u32_e64 v5, null, 0, v5, vcc_lo
	;; [unrolled: 2-line block ×4, first 2 shown]
	v_add_co_u32 v12, vcc_lo, v12, s22
	s_add_u32 s18, s18, s21
	v_add_co_ci_u32_e64 v13, null, 0, v13, vcc_lo
	v_add_co_u32 v15, vcc_lo, v15, s22
	s_addc_u32 s19, s19, 0
	v_add_co_ci_u32_e64 v16, null, 0, v16, vcc_lo
	v_add_co_u32 v20, vcc_lo, v20, s22
	v_cmp_lt_i64_e64 s0, s[18:19], s[14:15]
	v_add_co_ci_u32_e64 v21, null, 0, v21, vcc_lo
	v_add_co_u32 v22, vcc_lo, v22, s22
	v_add_co_ci_u32_e64 v23, null, 0, v23, vcc_lo
	s_and_b32 vcc_lo, exec_lo, s0
	s_cbranch_vccz .LBB136_20
.LBB136_4:                              ; =>This Inner Loop Header: Depth=1
	s_waitcnt vmcnt(0)
	v_add_co_u32 v24, s0, v0, s18
	v_add_co_ci_u32_e64 v25, null, 0, s19, s0
	v_cmp_gt_u64_e32 vcc_lo, s[16:17], v[24:25]
	v_mov_b32_e32 v25, 0
	s_and_saveexec_b32 s1, vcc_lo
	s_cbranch_execz .LBB136_6
; %bb.5:                                ;   in Loop: Header=BB136_4 Depth=1
	v_add_co_u32 v24, s0, v2, s10
	v_add_co_ci_u32_e64 v25, null, s11, v3, s0
	global_load_ushort v25, v[24:25], off
.LBB136_6:                              ;   in Loop: Header=BB136_4 Depth=1
	s_or_b32 exec_lo, exec_lo, s1
	v_add_co_u32 v26, s0, v14, s18
	v_add_co_ci_u32_e64 v27, null, s19, v17, s0
	v_mov_b32_e32 v24, 0
	v_cmp_gt_u64_e64 s0, s[16:17], v[26:27]
	v_mov_b32_e32 v26, 0
	s_and_saveexec_b32 s2, s0
	s_cbranch_execz .LBB136_8
; %bb.7:                                ;   in Loop: Header=BB136_4 Depth=1
	v_add_co_u32 v26, s1, v20, s10
	v_add_co_ci_u32_e64 v27, null, s11, v21, s1
	global_load_ushort v26, v[26:27], off
.LBB136_8:                              ;   in Loop: Header=BB136_4 Depth=1
	s_or_b32 exec_lo, exec_lo, s2
	v_add_co_u32 v27, s1, v18, s18
	v_add_co_ci_u32_e64 v28, null, s19, v19, s1
	v_cmp_gt_u64_e64 s1, s[16:17], v[27:28]
	s_and_saveexec_b32 s3, s1
	s_cbranch_execz .LBB136_10
; %bb.9:                                ;   in Loop: Header=BB136_4 Depth=1
	v_add_co_u32 v27, s2, v12, s10
	v_add_co_ci_u32_e64 v28, null, s11, v13, s2
	global_load_ushort v24, v[27:28], off
.LBB136_10:                             ;   in Loop: Header=BB136_4 Depth=1
	s_or_b32 exec_lo, exec_lo, s3
	v_add_co_u32 v27, s2, v10, s18
	v_add_co_ci_u32_e64 v28, null, s19, v11, s2
	v_cmp_gt_u64_e64 s2, s[16:17], v[27:28]
	v_mov_b32_e32 v27, 0
	s_and_saveexec_b32 s23, s2
	s_cbranch_execnz .LBB136_15
; %bb.11:                               ;   in Loop: Header=BB136_4 Depth=1
	s_or_b32 exec_lo, exec_lo, s23
	s_and_saveexec_b32 s23, vcc_lo
	s_cbranch_execnz .LBB136_16
.LBB136_12:                             ;   in Loop: Header=BB136_4 Depth=1
	s_or_b32 exec_lo, exec_lo, s23
	s_and_saveexec_b32 s3, s0
	s_cbranch_execnz .LBB136_17
.LBB136_13:                             ;   in Loop: Header=BB136_4 Depth=1
	s_or_b32 exec_lo, exec_lo, s3
	s_and_saveexec_b32 s3, s1
	s_cbranch_execnz .LBB136_18
.LBB136_14:                             ;   in Loop: Header=BB136_4 Depth=1
	s_or_b32 exec_lo, exec_lo, s3
	s_and_saveexec_b32 s1, s2
	s_cbranch_execz .LBB136_3
	s_branch .LBB136_19
.LBB136_15:                             ;   in Loop: Header=BB136_4 Depth=1
	v_add_co_u32 v27, s3, v6, s10
	v_add_co_ci_u32_e64 v28, null, s11, v7, s3
	global_load_ushort v27, v[27:28], off
	s_or_b32 exec_lo, exec_lo, s23
	s_and_saveexec_b32 s23, vcc_lo
	s_cbranch_execz .LBB136_12
.LBB136_16:                             ;   in Loop: Header=BB136_4 Depth=1
	s_waitcnt vmcnt(0)
	v_cvt_f32_f16_e32 v28, v25
	v_cmp_u_f16_e32 vcc_lo, v25, v25
	v_cmp_gt_f32_e64 s3, s20, v28
	s_or_b32 vcc_lo, vcc_lo, s3
	v_cndmask_b32_e32 v25, v1, v25, vcc_lo
	v_add_co_u32 v28, vcc_lo, v4, s10
	v_add_co_ci_u32_e64 v29, null, s11, v5, vcc_lo
	global_store_short v[28:29], v25, off
	s_or_b32 exec_lo, exec_lo, s23
	s_and_saveexec_b32 s3, s0
	s_cbranch_execz .LBB136_13
.LBB136_17:                             ;   in Loop: Header=BB136_4 Depth=1
	s_waitcnt vmcnt(0)
	v_cvt_f32_f16_e32 v25, v26
	v_cmp_u_f16_e32 vcc_lo, v26, v26
	v_cmp_gt_f32_e64 s0, s20, v25
	s_or_b32 vcc_lo, vcc_lo, s0
	v_cndmask_b32_e32 v28, v1, v26, vcc_lo
	v_add_co_u32 v25, vcc_lo, v22, s10
	v_add_co_ci_u32_e64 v26, null, s11, v23, vcc_lo
	global_store_short v[25:26], v28, off
	s_or_b32 exec_lo, exec_lo, s3
	s_and_saveexec_b32 s3, s1
	s_cbranch_execz .LBB136_14
.LBB136_18:                             ;   in Loop: Header=BB136_4 Depth=1
	s_waitcnt vmcnt(0)
	v_cvt_f32_f16_e32 v25, v24
	v_cmp_u_f16_e32 vcc_lo, v24, v24
	v_cmp_gt_f32_e64 s0, s20, v25
	s_or_b32 vcc_lo, vcc_lo, s0
	v_cndmask_b32_e32 v26, v1, v24, vcc_lo
	v_add_co_u32 v24, vcc_lo, v15, s10
	v_add_co_ci_u32_e64 v25, null, s11, v16, vcc_lo
	global_store_short v[24:25], v26, off
	s_or_b32 exec_lo, exec_lo, s3
	s_and_saveexec_b32 s1, s2
	s_cbranch_execz .LBB136_3
.LBB136_19:                             ;   in Loop: Header=BB136_4 Depth=1
	s_waitcnt vmcnt(0)
	v_cvt_f32_f16_e32 v24, v27
	v_cmp_u_f16_e32 vcc_lo, v27, v27
	v_cmp_gt_f32_e64 s0, s20, v24
	s_or_b32 vcc_lo, vcc_lo, s0
	v_cndmask_b32_e32 v26, v1, v27, vcc_lo
	v_add_co_u32 v24, vcc_lo, v8, s10
	v_add_co_ci_u32_e64 v25, null, s11, v9, vcc_lo
	global_store_short v[24:25], v26, off
	s_branch .LBB136_3
.LBB136_20:
	s_mov_b32 s0, 0
.LBB136_21:
	s_andn2_b32 vcc_lo, exec_lo, s0
	s_cbranch_vccnz .LBB136_25
; %bb.22:
	v_cmp_gt_i64_e64 s0, 0x10000, s[12:13]
	v_mov_b32_e32 v2, 0
	v_lshlrev_b32_e32 v1, 2, v0
	s_mov_b32 s14, 0
	s_and_b32 s0, s0, exec_lo
	s_cselect_b32 s13, s13, 0
	s_cselect_b32 s12, s12, 0x10000
	s_mov_b32 s0, exec_lo
	v_cmpx_gt_i64_e64 s[12:13], v[1:2]
	s_cbranch_execz .LBB136_25
; %bb.23:
	s_load_dword s0, s[4:5], 0xd54
	v_cvt_f16_f32_e32 v3, s20
	v_lshlrev_b32_e32 v5, 3, v0
	v_mov_b32_e32 v1, v2
	v_and_b32_e32 v4, 0xffff, v3
	v_lshl_or_b32 v2, v3, 16, v4
	v_add_co_u32 v4, s1, s10, v5
	v_add_co_ci_u32_e64 v5, null, s11, 0, s1
	v_lshrrev_b32_e32 v6, 16, v2
	s_mov_b32 s11, s20
	s_waitcnt lgkmcnt(0)
	s_and_b32 s10, s0, 0xffff
	s_lshl_b32 s15, s10, 3
.LBB136_24:                             ; =>This Inner Loop Header: Depth=1
	v_add_co_u32 v7, vcc_lo, s6, v4
	v_add_co_ci_u32_e64 v8, null, s7, v5, vcc_lo
	v_add_co_u32 v0, vcc_lo, v0, s10
	v_add_co_ci_u32_e64 v1, null, 0, v1, vcc_lo
	global_load_dwordx2 v[7:8], v[7:8], off
	v_add_co_u32 v9, vcc_lo, s8, v4
	v_add_co_ci_u32_e64 v10, null, s9, v5, vcc_lo
	v_lshlrev_b64 v[11:12], 2, v[0:1]
	s_waitcnt vmcnt(0)
	v_cvt_f32_f16_e32 v13, v7
	v_lshrrev_b32_e32 v14, 16, v8
	v_lshrrev_b32_e32 v15, 16, v7
	v_cmp_u_f16_e32 vcc_lo, v7, v7
	v_cvt_f32_f16_e32 v16, v8
	v_cmp_gt_f32_e64 s1, s20, v13
	v_cvt_f32_f16_e32 v13, v14
	v_cvt_f32_f16_e32 v17, v15
	v_cmp_u_f16_e64 s0, v8, v8
	v_cmp_gt_f32_e64 s4, s11, v16
	s_or_b32 vcc_lo, vcc_lo, s1
	v_cmp_u_f16_e64 s2, v14, v14
	v_cmp_u_f16_e64 s3, v15, v15
	v_cmp_gt_f32_e64 s5, s20, v13
	v_cndmask_b32_e32 v7, v3, v7, vcc_lo
	v_cmp_gt_f32_e32 vcc_lo, s20, v17
	s_or_b32 s0, s0, s4
	v_cndmask_b32_e64 v8, v6, v8, s0
	s_or_b32 s0, s2, s5
	s_or_b32 vcc_lo, s3, vcc_lo
	v_cndmask_b32_e64 v13, v3, v14, s0
	v_cndmask_b32_e32 v14, v2, v15, vcc_lo
	v_cmp_le_i64_e64 s0, s[12:13], v[11:12]
	v_add_co_u32 v4, vcc_lo, v4, s15
	v_perm_b32 v8, v13, v8, 0x5040100
	v_perm_b32 v7, v14, v7, 0x5040100
	v_add_co_ci_u32_e64 v5, null, 0, v5, vcc_lo
	s_or_b32 s14, s0, s14
	global_store_dwordx2 v[9:10], v[7:8], off
	s_andn2_b32 exec_lo, exec_lo, s14
	s_cbranch_execnz .LBB136_24
.LBB136_25:
	s_endpgm
	.section	.rodata,"a",@progbits
	.p2align	6, 0x0
	.amdhsa_kernel _ZN2at6native12_GLOBAL__N_125multi_tensor_apply_kernelINS1_28TensorListScalarListMetadataIfLi2EEENS1_25BinaryOpScalarListFunctorIN3c104HalfELi2ELi1ELi1EEEJNS0_7minimumIfEEEEEvT_T0_DpT1_
		.amdhsa_group_segment_fixed_size 0
		.amdhsa_private_segment_fixed_size 0
		.amdhsa_kernarg_size 3656
		.amdhsa_user_sgpr_count 6
		.amdhsa_user_sgpr_private_segment_buffer 1
		.amdhsa_user_sgpr_dispatch_ptr 0
		.amdhsa_user_sgpr_queue_ptr 0
		.amdhsa_user_sgpr_kernarg_segment_ptr 1
		.amdhsa_user_sgpr_dispatch_id 0
		.amdhsa_user_sgpr_flat_scratch_init 0
		.amdhsa_user_sgpr_private_segment_size 0
		.amdhsa_wavefront_size32 1
		.amdhsa_uses_dynamic_stack 0
		.amdhsa_system_sgpr_private_segment_wavefront_offset 0
		.amdhsa_system_sgpr_workgroup_id_x 1
		.amdhsa_system_sgpr_workgroup_id_y 0
		.amdhsa_system_sgpr_workgroup_id_z 0
		.amdhsa_system_sgpr_workgroup_info 0
		.amdhsa_system_vgpr_workitem_id 0
		.amdhsa_next_free_vgpr 30
		.amdhsa_next_free_sgpr 24
		.amdhsa_reserve_vcc 1
		.amdhsa_reserve_flat_scratch 0
		.amdhsa_float_round_mode_32 0
		.amdhsa_float_round_mode_16_64 0
		.amdhsa_float_denorm_mode_32 3
		.amdhsa_float_denorm_mode_16_64 3
		.amdhsa_dx10_clamp 1
		.amdhsa_ieee_mode 1
		.amdhsa_fp16_overflow 0
		.amdhsa_workgroup_processor_mode 1
		.amdhsa_memory_ordered 1
		.amdhsa_forward_progress 1
		.amdhsa_shared_vgpr_count 0
		.amdhsa_exception_fp_ieee_invalid_op 0
		.amdhsa_exception_fp_denorm_src 0
		.amdhsa_exception_fp_ieee_div_zero 0
		.amdhsa_exception_fp_ieee_overflow 0
		.amdhsa_exception_fp_ieee_underflow 0
		.amdhsa_exception_fp_ieee_inexact 0
		.amdhsa_exception_int_div_zero 0
	.end_amdhsa_kernel
	.section	.text._ZN2at6native12_GLOBAL__N_125multi_tensor_apply_kernelINS1_28TensorListScalarListMetadataIfLi2EEENS1_25BinaryOpScalarListFunctorIN3c104HalfELi2ELi1ELi1EEEJNS0_7minimumIfEEEEEvT_T0_DpT1_,"axG",@progbits,_ZN2at6native12_GLOBAL__N_125multi_tensor_apply_kernelINS1_28TensorListScalarListMetadataIfLi2EEENS1_25BinaryOpScalarListFunctorIN3c104HalfELi2ELi1ELi1EEEJNS0_7minimumIfEEEEEvT_T0_DpT1_,comdat
.Lfunc_end136:
	.size	_ZN2at6native12_GLOBAL__N_125multi_tensor_apply_kernelINS1_28TensorListScalarListMetadataIfLi2EEENS1_25BinaryOpScalarListFunctorIN3c104HalfELi2ELi1ELi1EEEJNS0_7minimumIfEEEEEvT_T0_DpT1_, .Lfunc_end136-_ZN2at6native12_GLOBAL__N_125multi_tensor_apply_kernelINS1_28TensorListScalarListMetadataIfLi2EEENS1_25BinaryOpScalarListFunctorIN3c104HalfELi2ELi1ELi1EEEJNS0_7minimumIfEEEEEvT_T0_DpT1_
                                        ; -- End function
	.set _ZN2at6native12_GLOBAL__N_125multi_tensor_apply_kernelINS1_28TensorListScalarListMetadataIfLi2EEENS1_25BinaryOpScalarListFunctorIN3c104HalfELi2ELi1ELi1EEEJNS0_7minimumIfEEEEEvT_T0_DpT1_.num_vgpr, 30
	.set _ZN2at6native12_GLOBAL__N_125multi_tensor_apply_kernelINS1_28TensorListScalarListMetadataIfLi2EEENS1_25BinaryOpScalarListFunctorIN3c104HalfELi2ELi1ELi1EEEJNS0_7minimumIfEEEEEvT_T0_DpT1_.num_agpr, 0
	.set _ZN2at6native12_GLOBAL__N_125multi_tensor_apply_kernelINS1_28TensorListScalarListMetadataIfLi2EEENS1_25BinaryOpScalarListFunctorIN3c104HalfELi2ELi1ELi1EEEJNS0_7minimumIfEEEEEvT_T0_DpT1_.numbered_sgpr, 24
	.set _ZN2at6native12_GLOBAL__N_125multi_tensor_apply_kernelINS1_28TensorListScalarListMetadataIfLi2EEENS1_25BinaryOpScalarListFunctorIN3c104HalfELi2ELi1ELi1EEEJNS0_7minimumIfEEEEEvT_T0_DpT1_.num_named_barrier, 0
	.set _ZN2at6native12_GLOBAL__N_125multi_tensor_apply_kernelINS1_28TensorListScalarListMetadataIfLi2EEENS1_25BinaryOpScalarListFunctorIN3c104HalfELi2ELi1ELi1EEEJNS0_7minimumIfEEEEEvT_T0_DpT1_.private_seg_size, 0
	.set _ZN2at6native12_GLOBAL__N_125multi_tensor_apply_kernelINS1_28TensorListScalarListMetadataIfLi2EEENS1_25BinaryOpScalarListFunctorIN3c104HalfELi2ELi1ELi1EEEJNS0_7minimumIfEEEEEvT_T0_DpT1_.uses_vcc, 1
	.set _ZN2at6native12_GLOBAL__N_125multi_tensor_apply_kernelINS1_28TensorListScalarListMetadataIfLi2EEENS1_25BinaryOpScalarListFunctorIN3c104HalfELi2ELi1ELi1EEEJNS0_7minimumIfEEEEEvT_T0_DpT1_.uses_flat_scratch, 0
	.set _ZN2at6native12_GLOBAL__N_125multi_tensor_apply_kernelINS1_28TensorListScalarListMetadataIfLi2EEENS1_25BinaryOpScalarListFunctorIN3c104HalfELi2ELi1ELi1EEEJNS0_7minimumIfEEEEEvT_T0_DpT1_.has_dyn_sized_stack, 0
	.set _ZN2at6native12_GLOBAL__N_125multi_tensor_apply_kernelINS1_28TensorListScalarListMetadataIfLi2EEENS1_25BinaryOpScalarListFunctorIN3c104HalfELi2ELi1ELi1EEEJNS0_7minimumIfEEEEEvT_T0_DpT1_.has_recursion, 0
	.set _ZN2at6native12_GLOBAL__N_125multi_tensor_apply_kernelINS1_28TensorListScalarListMetadataIfLi2EEENS1_25BinaryOpScalarListFunctorIN3c104HalfELi2ELi1ELi1EEEJNS0_7minimumIfEEEEEvT_T0_DpT1_.has_indirect_call, 0
	.section	.AMDGPU.csdata,"",@progbits
; Kernel info:
; codeLenInByte = 1676
; TotalNumSgprs: 26
; NumVgprs: 30
; ScratchSize: 0
; MemoryBound: 0
; FloatMode: 240
; IeeeMode: 1
; LDSByteSize: 0 bytes/workgroup (compile time only)
; SGPRBlocks: 0
; VGPRBlocks: 3
; NumSGPRsForWavesPerEU: 26
; NumVGPRsForWavesPerEU: 30
; Occupancy: 16
; WaveLimiterHint : 0
; COMPUTE_PGM_RSRC2:SCRATCH_EN: 0
; COMPUTE_PGM_RSRC2:USER_SGPR: 6
; COMPUTE_PGM_RSRC2:TRAP_HANDLER: 0
; COMPUTE_PGM_RSRC2:TGID_X_EN: 1
; COMPUTE_PGM_RSRC2:TGID_Y_EN: 0
; COMPUTE_PGM_RSRC2:TGID_Z_EN: 0
; COMPUTE_PGM_RSRC2:TIDIG_COMP_CNT: 0
	.section	.text._ZN2at6native12_GLOBAL__N_125multi_tensor_apply_kernelINS1_28TensorListScalarListMetadataIfLi2EEENS1_25BinaryOpScalarListFunctorIN3c108BFloat16ELi2ELi1ELi1EEEJNS0_7minimumIfEEEEEvT_T0_DpT1_,"axG",@progbits,_ZN2at6native12_GLOBAL__N_125multi_tensor_apply_kernelINS1_28TensorListScalarListMetadataIfLi2EEENS1_25BinaryOpScalarListFunctorIN3c108BFloat16ELi2ELi1ELi1EEEJNS0_7minimumIfEEEEEvT_T0_DpT1_,comdat
	.globl	_ZN2at6native12_GLOBAL__N_125multi_tensor_apply_kernelINS1_28TensorListScalarListMetadataIfLi2EEENS1_25BinaryOpScalarListFunctorIN3c108BFloat16ELi2ELi1ELi1EEEJNS0_7minimumIfEEEEEvT_T0_DpT1_ ; -- Begin function _ZN2at6native12_GLOBAL__N_125multi_tensor_apply_kernelINS1_28TensorListScalarListMetadataIfLi2EEENS1_25BinaryOpScalarListFunctorIN3c108BFloat16ELi2ELi1ELi1EEEJNS0_7minimumIfEEEEEvT_T0_DpT1_
	.p2align	8
	.type	_ZN2at6native12_GLOBAL__N_125multi_tensor_apply_kernelINS1_28TensorListScalarListMetadataIfLi2EEENS1_25BinaryOpScalarListFunctorIN3c108BFloat16ELi2ELi1ELi1EEEJNS0_7minimumIfEEEEEvT_T0_DpT1_,@function
_ZN2at6native12_GLOBAL__N_125multi_tensor_apply_kernelINS1_28TensorListScalarListMetadataIfLi2EEENS1_25BinaryOpScalarListFunctorIN3c108BFloat16ELi2ELi1ELi1EEEJNS0_7minimumIfEEEEEvT_T0_DpT1_: ; @_ZN2at6native12_GLOBAL__N_125multi_tensor_apply_kernelINS1_28TensorListScalarListMetadataIfLi2EEENS1_25BinaryOpScalarListFunctorIN3c108BFloat16ELi2ELi1ELi1EEEJNS0_7minimumIfEEEEEvT_T0_DpT1_
; %bb.0:
	v_mov_b32_e32 v1, s6
	s_add_u32 s0, s4, s6
	s_mul_hi_u32 s1, s6, 3
	s_mul_i32 s6, s6, 3
	s_addc_u32 s2, s5, 0
	global_load_ubyte v1, v1, s[4:5] offset:1792
	s_add_u32 s0, s0, s6
	s_addc_u32 s1, s2, s1
	s_mov_b32 s15, 0
	s_load_dword s0, s[0:1], 0x840
	s_mov_b32 s17, s15
	s_waitcnt vmcnt(0)
	v_readfirstlane_b32 s1, v1
	v_lshlrev_b32_e32 v1, 2, v1
	s_lshl_b32 s10, s1, 3
	v_sub_co_u32 v1, s1, 0, v1
	v_sub_co_ci_u32_e64 v2, null, 0, 0, s1
	s_waitcnt lgkmcnt(0)
	s_ashr_i32 s1, s0, 31
	s_clause 0x2
	s_load_dwordx2 s[2:3], s[4:5], s10 offset:0x400
	s_load_dwordx2 s[6:7], s[4:5], s10 offset:0x0
	s_load_dwordx2 s[8:9], s[4:5], s10 offset:0x200
	s_add_u32 s10, s4, s10
	s_addc_u32 s11, s5, 0
	v_add_co_u32 v1, vcc_lo, s10, v1
	v_add_co_ci_u32_e64 v2, null, s11, v2, vcc_lo
	v_readfirstlane_b32 s10, v1
	v_readfirstlane_b32 s11, v2
	s_load_dword s20, s[10:11], 0x600
	s_lshl_b64 s[10:11], s[0:1], 17
	s_lshl_b64 s[0:1], s[0:1], 16
	s_waitcnt lgkmcnt(0)
	s_add_u32 s12, s6, s10
	s_and_b32 s16, s8, 7
	s_and_b32 s14, s12, 7
	s_sub_u32 s12, s2, s0
	s_subb_u32 s13, s3, s1
	s_and_b32 s0, s2, 3
	s_mov_b32 s1, s15
	s_or_b64 s[0:1], s[16:17], s[0:1]
	s_or_b64 s[0:1], s[0:1], s[14:15]
	s_cmp_eq_u64 s[0:1], 0
	s_mov_b32 s0, -1
	s_cbranch_scc1 .LBB137_21
; %bb.1:
	v_cmp_lt_i64_e64 s0, s[12:13], 1
	s_and_b32 vcc_lo, exec_lo, s0
	s_cbranch_vccnz .LBB137_20
; %bb.2:
	s_load_dword s0, s[4:5], 0xd54
	v_cmp_gt_i64_e64 s1, 0x10000, s[12:13]
	v_lshlrev_b32_e32 v9, 1, v0
	v_cmp_gt_u64_e64 s2, 0x10000, s[12:13]
	v_mov_b32_e32 v10, 0
	v_mov_b32_e32 v23, 0x7fc0
	s_mov_b64 s[18:19], 0
	s_and_b32 s1, s1, exec_lo
	v_add_co_u32 v1, s3, s6, v9
	s_cselect_b32 s15, s13, 0
	s_cselect_b32 s14, s12, 0x10000
	v_add_co_ci_u32_e64 v2, null, s7, 0, s3
	v_add_co_u32 v3, s3, s8, v9
	v_add_co_ci_u32_e64 v4, null, s9, 0, s3
	s_waitcnt lgkmcnt(0)
	s_and_b32 s0, s0, 0xffff
	s_and_b32 s1, s2, exec_lo
	s_cselect_b32 s17, s13, 0
	s_cselect_b32 s16, s12, 0x10000
	s_mul_i32 s2, s0, 3
	s_lshl_b32 s21, s0, 2
	v_mad_u64_u32 v[7:8], null, s0, 6, v[9:10]
	v_add_co_u32 v14, s3, s21, v9
	v_add_co_u32 v9, s2, s2, v0
	v_add_co_ci_u32_e64 v10, null, 0, 0, s2
	v_add_co_u32 v13, s2, v0, s0
	s_lshl_b32 s1, s0, 1
	v_add_co_u32 v5, vcc_lo, s6, v7
	v_lshlrev_b32_e32 v21, 1, v13
	v_add_co_ci_u32_e64 v15, null, 0, 0, s3
	v_add_co_ci_u32_e64 v6, null, s7, v8, vcc_lo
	v_add_co_u32 v7, vcc_lo, s8, v7
	v_add_co_u32 v17, s1, s1, v0
	v_add_co_ci_u32_e64 v8, null, s9, v8, vcc_lo
	v_add_co_u32 v11, vcc_lo, s6, v14
	v_add_co_ci_u32_e64 v18, null, 0, 0, s1
	v_add_co_u32 v19, s1, s6, v21
	v_add_co_ci_u32_e64 v12, null, s7, v15, vcc_lo
	v_add_co_u32 v14, vcc_lo, s8, v14
	v_add_co_ci_u32_e64 v20, null, s7, 0, s1
	v_add_co_u32 v21, s1, s8, v21
	v_add_co_ci_u32_e64 v15, null, s9, v15, vcc_lo
	v_add_co_ci_u32_e64 v16, null, 0, 0, s2
	v_add_co_ci_u32_e64 v22, null, s9, 0, s1
	s_lshl_b32 s22, s0, 3
	s_branch .LBB137_4
.LBB137_3:                              ;   in Loop: Header=BB137_4 Depth=1
	s_or_b32 exec_lo, exec_lo, s1
	v_add_co_u32 v1, vcc_lo, v1, s22
	v_add_co_ci_u32_e64 v2, null, 0, v2, vcc_lo
	v_add_co_u32 v3, vcc_lo, v3, s22
	v_add_co_ci_u32_e64 v4, null, 0, v4, vcc_lo
	;; [unrolled: 2-line block ×4, first 2 shown]
	v_add_co_u32 v11, vcc_lo, v11, s22
	s_add_u32 s18, s18, s21
	v_add_co_ci_u32_e64 v12, null, 0, v12, vcc_lo
	v_add_co_u32 v14, vcc_lo, v14, s22
	s_addc_u32 s19, s19, 0
	v_add_co_ci_u32_e64 v15, null, 0, v15, vcc_lo
	v_add_co_u32 v19, vcc_lo, v19, s22
	v_cmp_lt_i64_e64 s0, s[18:19], s[14:15]
	v_add_co_ci_u32_e64 v20, null, 0, v20, vcc_lo
	v_add_co_u32 v21, vcc_lo, v21, s22
	v_add_co_ci_u32_e64 v22, null, 0, v22, vcc_lo
	s_and_b32 vcc_lo, exec_lo, s0
	s_cbranch_vccz .LBB137_20
.LBB137_4:                              ; =>This Inner Loop Header: Depth=1
	v_add_co_u32 v24, s0, v0, s18
	v_add_co_ci_u32_e64 v25, null, 0, s19, s0
	v_cmp_gt_u64_e32 vcc_lo, s[16:17], v[24:25]
	v_mov_b32_e32 v25, 0
	s_and_saveexec_b32 s1, vcc_lo
	s_cbranch_execz .LBB137_6
; %bb.5:                                ;   in Loop: Header=BB137_4 Depth=1
	v_add_co_u32 v24, s0, v1, s10
	v_add_co_ci_u32_e64 v25, null, s11, v2, s0
	global_load_ushort v24, v[24:25], off
	s_waitcnt vmcnt(0)
	v_lshlrev_b32_e32 v25, 16, v24
.LBB137_6:                              ;   in Loop: Header=BB137_4 Depth=1
	s_or_b32 exec_lo, exec_lo, s1
	v_add_co_u32 v26, s0, v13, s18
	v_add_co_ci_u32_e64 v27, null, s19, v16, s0
	v_mov_b32_e32 v24, 0
	v_cmp_gt_u64_e64 s1, s[16:17], v[26:27]
	v_mov_b32_e32 v27, 0
	s_and_saveexec_b32 s2, s1
	s_cbranch_execz .LBB137_8
; %bb.7:                                ;   in Loop: Header=BB137_4 Depth=1
	v_add_co_u32 v26, s0, v19, s10
	v_add_co_ci_u32_e64 v27, null, s11, v20, s0
	global_load_ushort v26, v[26:27], off
	s_waitcnt vmcnt(0)
	v_lshlrev_b32_e32 v27, 16, v26
.LBB137_8:                              ;   in Loop: Header=BB137_4 Depth=1
	s_or_b32 exec_lo, exec_lo, s2
	v_add_co_u32 v28, s0, v17, s18
	v_add_co_ci_u32_e64 v29, null, s19, v18, s0
	v_cmp_gt_u64_e64 s2, s[16:17], v[28:29]
	s_and_saveexec_b32 s3, s2
	s_cbranch_execz .LBB137_10
; %bb.9:                                ;   in Loop: Header=BB137_4 Depth=1
	v_add_co_u32 v28, s0, v11, s10
	v_add_co_ci_u32_e64 v29, null, s11, v12, s0
	global_load_ushort v24, v[28:29], off
	s_waitcnt vmcnt(0)
	v_lshlrev_b32_e32 v24, 16, v24
.LBB137_10:                             ;   in Loop: Header=BB137_4 Depth=1
	s_or_b32 exec_lo, exec_lo, s3
	v_add_co_u32 v28, s0, v9, s18
	v_add_co_ci_u32_e64 v29, null, s19, v10, s0
	v_mov_b32_e32 v26, 0
	v_cmp_gt_u64_e64 s0, s[16:17], v[28:29]
	s_and_saveexec_b32 s23, s0
	s_cbranch_execnz .LBB137_15
; %bb.11:                               ;   in Loop: Header=BB137_4 Depth=1
	s_or_b32 exec_lo, exec_lo, s23
	s_and_saveexec_b32 s23, vcc_lo
	s_cbranch_execnz .LBB137_16
.LBB137_12:                             ;   in Loop: Header=BB137_4 Depth=1
	s_or_b32 exec_lo, exec_lo, s23
	s_and_saveexec_b32 s3, s1
	s_cbranch_execnz .LBB137_17
.LBB137_13:                             ;   in Loop: Header=BB137_4 Depth=1
	s_or_b32 exec_lo, exec_lo, s3
	s_and_saveexec_b32 s3, s2
	s_cbranch_execnz .LBB137_18
.LBB137_14:                             ;   in Loop: Header=BB137_4 Depth=1
	s_or_b32 exec_lo, exec_lo, s3
	s_and_saveexec_b32 s1, s0
	s_cbranch_execz .LBB137_3
	s_branch .LBB137_19
.LBB137_15:                             ;   in Loop: Header=BB137_4 Depth=1
	v_add_co_u32 v28, s3, v5, s10
	v_add_co_ci_u32_e64 v29, null, s11, v6, s3
	global_load_ushort v26, v[28:29], off
	s_waitcnt vmcnt(0)
	v_lshlrev_b32_e32 v26, 16, v26
	s_or_b32 exec_lo, exec_lo, s23
	s_and_saveexec_b32 s23, vcc_lo
	s_cbranch_execz .LBB137_12
.LBB137_16:                             ;   in Loop: Header=BB137_4 Depth=1
	v_cmp_u_f32_e32 vcc_lo, v25, v25
	v_cmp_gt_f32_e64 s3, s20, v25
	s_or_b32 vcc_lo, vcc_lo, s3
	v_cndmask_b32_e32 v25, s20, v25, vcc_lo
	v_bfe_u32 v28, v25, 16, 1
	v_cmp_o_f32_e32 vcc_lo, v25, v25
	v_add3_u32 v25, v25, v28, 0x7fff
	v_add_co_u32 v28, s3, v3, s10
	v_add_co_ci_u32_e64 v29, null, s11, v4, s3
	v_cndmask_b32_sdwa v25, v23, v25, vcc_lo dst_sel:DWORD dst_unused:UNUSED_PAD src0_sel:DWORD src1_sel:WORD_1
	global_store_short v[28:29], v25, off
	s_or_b32 exec_lo, exec_lo, s23
	s_and_saveexec_b32 s3, s1
	s_cbranch_execz .LBB137_13
.LBB137_17:                             ;   in Loop: Header=BB137_4 Depth=1
	v_cmp_u_f32_e32 vcc_lo, v27, v27
	v_cmp_gt_f32_e64 s1, s20, v27
	s_or_b32 vcc_lo, vcc_lo, s1
	v_cndmask_b32_e32 v25, s20, v27, vcc_lo
	v_bfe_u32 v27, v25, 16, 1
	v_cmp_o_f32_e32 vcc_lo, v25, v25
	v_add3_u32 v25, v25, v27, 0x7fff
	v_cndmask_b32_sdwa v25, v23, v25, vcc_lo dst_sel:DWORD dst_unused:UNUSED_PAD src0_sel:DWORD src1_sel:WORD_1
	v_add_co_u32 v27, vcc_lo, v21, s10
	v_add_co_ci_u32_e64 v28, null, s11, v22, vcc_lo
	global_store_short v[27:28], v25, off
	s_or_b32 exec_lo, exec_lo, s3
	s_and_saveexec_b32 s3, s2
	s_cbranch_execz .LBB137_14
.LBB137_18:                             ;   in Loop: Header=BB137_4 Depth=1
	v_cmp_u_f32_e32 vcc_lo, v24, v24
	v_cmp_gt_f32_e64 s1, s20, v24
	s_or_b32 vcc_lo, vcc_lo, s1
	v_cndmask_b32_e32 v24, s20, v24, vcc_lo
	v_bfe_u32 v25, v24, 16, 1
	v_cmp_o_f32_e32 vcc_lo, v24, v24
	v_add3_u32 v24, v24, v25, 0x7fff
	v_cndmask_b32_sdwa v27, v23, v24, vcc_lo dst_sel:DWORD dst_unused:UNUSED_PAD src0_sel:DWORD src1_sel:WORD_1
	v_add_co_u32 v24, vcc_lo, v14, s10
	v_add_co_ci_u32_e64 v25, null, s11, v15, vcc_lo
	global_store_short v[24:25], v27, off
	s_or_b32 exec_lo, exec_lo, s3
	s_and_saveexec_b32 s1, s0
	s_cbranch_execz .LBB137_3
.LBB137_19:                             ;   in Loop: Header=BB137_4 Depth=1
	v_cmp_u_f32_e32 vcc_lo, v26, v26
	v_cmp_gt_f32_e64 s0, s20, v26
	s_or_b32 vcc_lo, vcc_lo, s0
	v_cndmask_b32_e32 v24, s20, v26, vcc_lo
	v_bfe_u32 v25, v24, 16, 1
	v_cmp_o_f32_e32 vcc_lo, v24, v24
	v_add3_u32 v24, v24, v25, 0x7fff
	v_cndmask_b32_sdwa v26, v23, v24, vcc_lo dst_sel:DWORD dst_unused:UNUSED_PAD src0_sel:DWORD src1_sel:WORD_1
	v_add_co_u32 v24, vcc_lo, v7, s10
	v_add_co_ci_u32_e64 v25, null, s11, v8, vcc_lo
	global_store_short v[24:25], v26, off
	s_branch .LBB137_3
.LBB137_20:
	s_mov_b32 s0, 0
.LBB137_21:
	s_andn2_b32 vcc_lo, exec_lo, s0
	s_cbranch_vccnz .LBB137_25
; %bb.22:
	v_cmp_gt_i64_e64 s0, 0x10000, s[12:13]
	v_mov_b32_e32 v2, 0
	v_lshlrev_b32_e32 v1, 2, v0
	s_mov_b32 s14, 0
	s_and_b32 s0, s0, exec_lo
	s_cselect_b32 s13, s13, 0
	s_cselect_b32 s12, s12, 0x10000
	s_mov_b32 s0, exec_lo
	v_cmpx_gt_i64_e64 s[12:13], v[1:2]
	s_cbranch_execz .LBB137_25
; %bb.23:
	s_load_dword s0, s[4:5], 0xd54
	v_lshlrev_b32_e32 v3, 3, v0
	v_mov_b32_e32 v1, v2
	v_add_co_u32 v2, s1, s10, v3
	v_add_co_ci_u32_e64 v3, null, s11, 0, s1
	s_waitcnt lgkmcnt(0)
	s_and_b32 s5, s0, 0xffff
	s_lshl_b32 s10, s5, 3
.LBB137_24:                             ; =>This Inner Loop Header: Depth=1
	v_add_co_u32 v4, vcc_lo, s6, v2
	v_add_co_ci_u32_e64 v5, null, s7, v3, vcc_lo
	v_add_co_u32 v0, vcc_lo, v0, s5
	v_add_co_ci_u32_e64 v1, null, 0, v1, vcc_lo
	global_load_dwordx2 v[4:5], v[4:5], off
	v_add_co_u32 v6, vcc_lo, s8, v2
	v_add_co_ci_u32_e64 v7, null, s9, v3, vcc_lo
	v_lshlrev_b64 v[8:9], 2, v[0:1]
	s_waitcnt vmcnt(0)
	v_lshlrev_b32_e32 v10, 16, v4
	v_and_b32_e32 v11, 0xffff0000, v4
	v_alignbit_b32 v4, v5, v4, 16
	v_and_b32_e32 v5, 0xffff0000, v5
	v_cmp_u_f32_e32 vcc_lo, v10, v10
	v_cmp_gt_f32_e64 s0, s20, v10
	v_cmp_u_f32_e64 s1, v11, v11
	v_cmp_gt_f32_e64 s2, s20, v11
	v_and_b32_e32 v4, 0xffff0000, v4
	v_cmp_u_f32_e64 s3, v5, v5
	v_cmp_gt_f32_e64 s4, s20, v5
	s_or_b32 vcc_lo, vcc_lo, s0
	v_cndmask_b32_e32 v10, s20, v10, vcc_lo
	s_or_b32 vcc_lo, s1, s2
	v_cmp_gt_f32_e64 s0, s20, v4
	v_cndmask_b32_e32 v11, s20, v11, vcc_lo
	v_cmp_u_f32_e32 vcc_lo, v4, v4
	s_or_b32 s1, s3, s4
	v_bfe_u32 v12, v10, 16, 1
	v_cndmask_b32_e64 v5, s20, v5, s1
	v_bfe_u32 v13, v11, 16, 1
	s_or_b32 vcc_lo, vcc_lo, s0
	v_cmp_o_f32_e64 s0, v11, v11
	v_cndmask_b32_e32 v4, s20, v4, vcc_lo
	v_bfe_u32 v14, v5, 16, 1
	v_add3_u32 v12, v10, v12, 0x7fff
	v_add3_u32 v13, v11, v13, 0x7fff
	v_cmp_o_f32_e32 vcc_lo, v5, v5
	v_bfe_u32 v15, v4, 16, 1
	v_add3_u32 v14, v5, v14, 0x7fff
	v_lshrrev_b32_e32 v12, 16, v12
	v_and_b32_e32 v13, 0xffff0000, v13
	v_cmp_o_f32_e64 s1, v10, v10
	v_add3_u32 v15, v4, v15, 0x7fff
	v_and_b32_e32 v14, 0xffff0000, v14
	v_cndmask_b32_e64 v10, 0x7fc00000, v13, s0
	v_cndmask_b32_e64 v11, 0x7fc0, v12, s1
	v_lshrrev_b32_e32 v5, 16, v15
	v_cndmask_b32_e32 v12, 0x7fc00000, v14, vcc_lo
	v_cmp_o_f32_e32 vcc_lo, v4, v4
	v_cmp_le_i64_e64 s0, s[12:13], v[8:9]
	v_or_b32_e32 v10, v11, v10
	v_cndmask_b32_e32 v4, 0x7fc0, v5, vcc_lo
	v_add_co_u32 v2, vcc_lo, v2, s10
	v_add_co_ci_u32_e64 v3, null, 0, v3, vcc_lo
	v_or3_b32 v5, 0, v4, v12
	v_or3_b32 v4, v10, 0, 0
	s_or_b32 s14, s0, s14
	global_store_dwordx2 v[6:7], v[4:5], off
	s_andn2_b32 exec_lo, exec_lo, s14
	s_cbranch_execnz .LBB137_24
.LBB137_25:
	s_endpgm
	.section	.rodata,"a",@progbits
	.p2align	6, 0x0
	.amdhsa_kernel _ZN2at6native12_GLOBAL__N_125multi_tensor_apply_kernelINS1_28TensorListScalarListMetadataIfLi2EEENS1_25BinaryOpScalarListFunctorIN3c108BFloat16ELi2ELi1ELi1EEEJNS0_7minimumIfEEEEEvT_T0_DpT1_
		.amdhsa_group_segment_fixed_size 0
		.amdhsa_private_segment_fixed_size 0
		.amdhsa_kernarg_size 3656
		.amdhsa_user_sgpr_count 6
		.amdhsa_user_sgpr_private_segment_buffer 1
		.amdhsa_user_sgpr_dispatch_ptr 0
		.amdhsa_user_sgpr_queue_ptr 0
		.amdhsa_user_sgpr_kernarg_segment_ptr 1
		.amdhsa_user_sgpr_dispatch_id 0
		.amdhsa_user_sgpr_flat_scratch_init 0
		.amdhsa_user_sgpr_private_segment_size 0
		.amdhsa_wavefront_size32 1
		.amdhsa_uses_dynamic_stack 0
		.amdhsa_system_sgpr_private_segment_wavefront_offset 0
		.amdhsa_system_sgpr_workgroup_id_x 1
		.amdhsa_system_sgpr_workgroup_id_y 0
		.amdhsa_system_sgpr_workgroup_id_z 0
		.amdhsa_system_sgpr_workgroup_info 0
		.amdhsa_system_vgpr_workitem_id 0
		.amdhsa_next_free_vgpr 30
		.amdhsa_next_free_sgpr 24
		.amdhsa_reserve_vcc 1
		.amdhsa_reserve_flat_scratch 0
		.amdhsa_float_round_mode_32 0
		.amdhsa_float_round_mode_16_64 0
		.amdhsa_float_denorm_mode_32 3
		.amdhsa_float_denorm_mode_16_64 3
		.amdhsa_dx10_clamp 1
		.amdhsa_ieee_mode 1
		.amdhsa_fp16_overflow 0
		.amdhsa_workgroup_processor_mode 1
		.amdhsa_memory_ordered 1
		.amdhsa_forward_progress 1
		.amdhsa_shared_vgpr_count 0
		.amdhsa_exception_fp_ieee_invalid_op 0
		.amdhsa_exception_fp_denorm_src 0
		.amdhsa_exception_fp_ieee_div_zero 0
		.amdhsa_exception_fp_ieee_overflow 0
		.amdhsa_exception_fp_ieee_underflow 0
		.amdhsa_exception_fp_ieee_inexact 0
		.amdhsa_exception_int_div_zero 0
	.end_amdhsa_kernel
	.section	.text._ZN2at6native12_GLOBAL__N_125multi_tensor_apply_kernelINS1_28TensorListScalarListMetadataIfLi2EEENS1_25BinaryOpScalarListFunctorIN3c108BFloat16ELi2ELi1ELi1EEEJNS0_7minimumIfEEEEEvT_T0_DpT1_,"axG",@progbits,_ZN2at6native12_GLOBAL__N_125multi_tensor_apply_kernelINS1_28TensorListScalarListMetadataIfLi2EEENS1_25BinaryOpScalarListFunctorIN3c108BFloat16ELi2ELi1ELi1EEEJNS0_7minimumIfEEEEEvT_T0_DpT1_,comdat
.Lfunc_end137:
	.size	_ZN2at6native12_GLOBAL__N_125multi_tensor_apply_kernelINS1_28TensorListScalarListMetadataIfLi2EEENS1_25BinaryOpScalarListFunctorIN3c108BFloat16ELi2ELi1ELi1EEEJNS0_7minimumIfEEEEEvT_T0_DpT1_, .Lfunc_end137-_ZN2at6native12_GLOBAL__N_125multi_tensor_apply_kernelINS1_28TensorListScalarListMetadataIfLi2EEENS1_25BinaryOpScalarListFunctorIN3c108BFloat16ELi2ELi1ELi1EEEJNS0_7minimumIfEEEEEvT_T0_DpT1_
                                        ; -- End function
	.set _ZN2at6native12_GLOBAL__N_125multi_tensor_apply_kernelINS1_28TensorListScalarListMetadataIfLi2EEENS1_25BinaryOpScalarListFunctorIN3c108BFloat16ELi2ELi1ELi1EEEJNS0_7minimumIfEEEEEvT_T0_DpT1_.num_vgpr, 30
	.set _ZN2at6native12_GLOBAL__N_125multi_tensor_apply_kernelINS1_28TensorListScalarListMetadataIfLi2EEENS1_25BinaryOpScalarListFunctorIN3c108BFloat16ELi2ELi1ELi1EEEJNS0_7minimumIfEEEEEvT_T0_DpT1_.num_agpr, 0
	.set _ZN2at6native12_GLOBAL__N_125multi_tensor_apply_kernelINS1_28TensorListScalarListMetadataIfLi2EEENS1_25BinaryOpScalarListFunctorIN3c108BFloat16ELi2ELi1ELi1EEEJNS0_7minimumIfEEEEEvT_T0_DpT1_.numbered_sgpr, 24
	.set _ZN2at6native12_GLOBAL__N_125multi_tensor_apply_kernelINS1_28TensorListScalarListMetadataIfLi2EEENS1_25BinaryOpScalarListFunctorIN3c108BFloat16ELi2ELi1ELi1EEEJNS0_7minimumIfEEEEEvT_T0_DpT1_.num_named_barrier, 0
	.set _ZN2at6native12_GLOBAL__N_125multi_tensor_apply_kernelINS1_28TensorListScalarListMetadataIfLi2EEENS1_25BinaryOpScalarListFunctorIN3c108BFloat16ELi2ELi1ELi1EEEJNS0_7minimumIfEEEEEvT_T0_DpT1_.private_seg_size, 0
	.set _ZN2at6native12_GLOBAL__N_125multi_tensor_apply_kernelINS1_28TensorListScalarListMetadataIfLi2EEENS1_25BinaryOpScalarListFunctorIN3c108BFloat16ELi2ELi1ELi1EEEJNS0_7minimumIfEEEEEvT_T0_DpT1_.uses_vcc, 1
	.set _ZN2at6native12_GLOBAL__N_125multi_tensor_apply_kernelINS1_28TensorListScalarListMetadataIfLi2EEENS1_25BinaryOpScalarListFunctorIN3c108BFloat16ELi2ELi1ELi1EEEJNS0_7minimumIfEEEEEvT_T0_DpT1_.uses_flat_scratch, 0
	.set _ZN2at6native12_GLOBAL__N_125multi_tensor_apply_kernelINS1_28TensorListScalarListMetadataIfLi2EEENS1_25BinaryOpScalarListFunctorIN3c108BFloat16ELi2ELi1ELi1EEEJNS0_7minimumIfEEEEEvT_T0_DpT1_.has_dyn_sized_stack, 0
	.set _ZN2at6native12_GLOBAL__N_125multi_tensor_apply_kernelINS1_28TensorListScalarListMetadataIfLi2EEENS1_25BinaryOpScalarListFunctorIN3c108BFloat16ELi2ELi1ELi1EEEJNS0_7minimumIfEEEEEvT_T0_DpT1_.has_recursion, 0
	.set _ZN2at6native12_GLOBAL__N_125multi_tensor_apply_kernelINS1_28TensorListScalarListMetadataIfLi2EEENS1_25BinaryOpScalarListFunctorIN3c108BFloat16ELi2ELi1ELi1EEEJNS0_7minimumIfEEEEEvT_T0_DpT1_.has_indirect_call, 0
	.section	.AMDGPU.csdata,"",@progbits
; Kernel info:
; codeLenInByte = 1948
; TotalNumSgprs: 26
; NumVgprs: 30
; ScratchSize: 0
; MemoryBound: 0
; FloatMode: 240
; IeeeMode: 1
; LDSByteSize: 0 bytes/workgroup (compile time only)
; SGPRBlocks: 0
; VGPRBlocks: 3
; NumSGPRsForWavesPerEU: 26
; NumVGPRsForWavesPerEU: 30
; Occupancy: 16
; WaveLimiterHint : 0
; COMPUTE_PGM_RSRC2:SCRATCH_EN: 0
; COMPUTE_PGM_RSRC2:USER_SGPR: 6
; COMPUTE_PGM_RSRC2:TRAP_HANDLER: 0
; COMPUTE_PGM_RSRC2:TGID_X_EN: 1
; COMPUTE_PGM_RSRC2:TGID_Y_EN: 0
; COMPUTE_PGM_RSRC2:TGID_Z_EN: 0
; COMPUTE_PGM_RSRC2:TIDIG_COMP_CNT: 0
	.section	.text._ZN2at6native12_GLOBAL__N_125multi_tensor_apply_kernelINS1_28TensorListScalarListMetadataIhLi1EEENS1_25BinaryOpScalarListFunctorIhLi1ELi1ELi0EEEJNS0_7maximumIhEEEEEvT_T0_DpT1_,"axG",@progbits,_ZN2at6native12_GLOBAL__N_125multi_tensor_apply_kernelINS1_28TensorListScalarListMetadataIhLi1EEENS1_25BinaryOpScalarListFunctorIhLi1ELi1ELi0EEEJNS0_7maximumIhEEEEEvT_T0_DpT1_,comdat
	.globl	_ZN2at6native12_GLOBAL__N_125multi_tensor_apply_kernelINS1_28TensorListScalarListMetadataIhLi1EEENS1_25BinaryOpScalarListFunctorIhLi1ELi1ELi0EEEJNS0_7maximumIhEEEEEvT_T0_DpT1_ ; -- Begin function _ZN2at6native12_GLOBAL__N_125multi_tensor_apply_kernelINS1_28TensorListScalarListMetadataIhLi1EEENS1_25BinaryOpScalarListFunctorIhLi1ELi1ELi0EEEJNS0_7maximumIhEEEEEvT_T0_DpT1_
	.p2align	8
	.type	_ZN2at6native12_GLOBAL__N_125multi_tensor_apply_kernelINS1_28TensorListScalarListMetadataIhLi1EEENS1_25BinaryOpScalarListFunctorIhLi1ELi1ELi0EEEJNS0_7maximumIhEEEEEvT_T0_DpT1_,@function
_ZN2at6native12_GLOBAL__N_125multi_tensor_apply_kernelINS1_28TensorListScalarListMetadataIhLi1EEENS1_25BinaryOpScalarListFunctorIhLi1ELi1ELi0EEEJNS0_7maximumIhEEEEEvT_T0_DpT1_: ; @_ZN2at6native12_GLOBAL__N_125multi_tensor_apply_kernelINS1_28TensorListScalarListMetadataIhLi1EEENS1_25BinaryOpScalarListFunctorIhLi1ELi1ELi0EEEJNS0_7maximumIhEEEEEvT_T0_DpT1_
; %bb.0:
	v_mov_b32_e32 v1, s6
	s_mul_i32 s1, s6, 3
	s_mul_hi_u32 s2, s6, 3
	global_load_ubyte v3, v1, s[4:5] offset:1632
	s_waitcnt vmcnt(0)
	v_add_co_u32 v1, s0, s4, v3
	v_add_co_ci_u32_e64 v2, null, s5, 0, s0
	s_add_u32 s0, s4, s6
	s_addc_u32 s3, s5, 0
	s_add_u32 s0, s0, s1
	global_load_ubyte v1, v[1:2], off offset:1536
	v_readfirstlane_b32 s6, v3
	s_addc_u32 s1, s3, s2
	s_load_dword s0, s[0:1], 0x7a0
	s_lshl_b32 s1, s6, 3
	s_clause 0x1
	s_load_dwordx2 s[2:3], s[4:5], s1 offset:0x300
	s_load_dwordx2 s[6:7], s[4:5], s1 offset:0x0
	s_waitcnt lgkmcnt(0)
	s_ashr_i32 s1, s0, 31
	s_lshl_b64 s[8:9], s[0:1], 16
	s_sub_u32 s10, s2, s8
	s_subb_u32 s11, s3, s9
	s_or_b32 s0, s2, s6
	s_and_b32 s0, s0, 3
	s_cmp_eq_u32 s0, 0
	s_waitcnt vmcnt(0)
	v_readfirstlane_b32 s18, v1
	s_cbranch_scc1 .LBB138_21
; %bb.1:
	v_cmp_lt_i64_e64 s0, s[10:11], 1
	s_and_b32 vcc_lo, exec_lo, s0
	s_cbranch_vccnz .LBB138_20
; %bb.2:
	s_load_dword s0, s[4:5], 0xcb4
	v_cmp_gt_i64_e64 s1, 0x10000, s[10:11]
	v_add_co_u32 v11, s2, s8, v0
	v_add_co_ci_u32_e64 v12, null, s9, 0, s2
	v_cmp_gt_u64_e64 s2, 0x10000, s[10:11]
	s_and_b32 s1, s1, exec_lo
	s_cselect_b32 s13, s11, 0
	s_cselect_b32 s12, s10, 0x10000
	v_add_co_u32 v1, vcc_lo, s6, v11
	v_add_co_ci_u32_e64 v2, null, s7, v12, vcc_lo
	s_waitcnt lgkmcnt(0)
	s_and_b32 s0, s0, 0xffff
	s_and_b32 s1, s2, exec_lo
	s_mul_i32 s2, s0, 3
	s_cselect_b32 s15, s11, 0
	s_cselect_b32 s14, s10, 0x10000
	s_lshl_b32 s1, s0, 1
	s_lshl_b32 s19, s0, 2
	s_add_u32 s3, s8, s2
	s_addc_u32 s16, s9, 0
	s_add_u32 s3, s6, s3
	v_add_co_u32 v5, s2, s2, v0
	s_addc_u32 s16, s7, s16
	v_add_co_u32 v3, s3, s3, v0
	v_add_co_ci_u32_e64 v6, null, 0, 0, s2
	s_add_u32 s2, s8, s1
	v_add_co_ci_u32_e64 v4, null, s16, 0, s3
	s_addc_u32 s3, s9, 0
	s_add_u32 s2, s6, s2
	v_add_co_u32 v9, s1, s1, v0
	s_addc_u32 s3, s7, s3
	v_add_co_u32 v7, s2, s2, v0
	v_add_co_ci_u32_e64 v10, null, 0, 0, s1
	s_add_u32 s1, s6, s0
	v_add_co_ci_u32_e64 v8, null, s3, 0, s2
	s_addc_u32 s2, s7, 0
	v_add_co_u32 v11, vcc_lo, s1, v11
	v_add_co_u32 v13, s0, v0, s0
	v_add_co_ci_u32_e64 v12, null, s2, v12, vcc_lo
	v_add_co_ci_u32_e64 v14, null, 0, 0, s0
	s_mov_b64 s[16:17], 0
	s_and_b32 s20, s18, 0xff
	s_branch .LBB138_4
.LBB138_3:                              ;   in Loop: Header=BB138_4 Depth=1
	s_or_b32 exec_lo, exec_lo, s0
	s_add_u32 s16, s16, s19
	s_addc_u32 s17, s17, 0
	v_cmp_lt_i64_e64 s0, s[16:17], s[12:13]
	s_and_b32 vcc_lo, exec_lo, s0
	s_cbranch_vccz .LBB138_20
.LBB138_4:                              ; =>This Inner Loop Header: Depth=1
	v_add_co_u32 v15, s0, v0, s16
	v_add_co_ci_u32_e64 v16, null, 0, s17, s0
	v_cmp_gt_u64_e32 vcc_lo, s[14:15], v[15:16]
	v_mov_b32_e32 v15, s18
	s_and_saveexec_b32 s1, vcc_lo
	s_cbranch_execz .LBB138_6
; %bb.5:                                ;   in Loop: Header=BB138_4 Depth=1
	v_add_co_u32 v15, s0, v1, s16
	v_add_co_ci_u32_e64 v16, null, s17, v2, s0
	global_load_ubyte v15, v[15:16], off
	s_waitcnt vmcnt(0)
	v_max_u16 v15, v15, s20
.LBB138_6:                              ;   in Loop: Header=BB138_4 Depth=1
	s_or_b32 exec_lo, exec_lo, s1
	v_add_co_u32 v16, s0, v13, s16
	v_add_co_ci_u32_e64 v17, null, s17, v14, s0
	v_cmp_gt_u64_e64 s0, s[14:15], v[16:17]
	v_mov_b32_e32 v16, s18
	s_and_saveexec_b32 s2, s0
	s_cbranch_execz .LBB138_8
; %bb.7:                                ;   in Loop: Header=BB138_4 Depth=1
	v_add_co_u32 v16, s1, v11, s16
	v_add_co_ci_u32_e64 v17, null, s17, v12, s1
	global_load_ubyte v16, v[16:17], off
	s_waitcnt vmcnt(0)
	v_max_u16 v16, v16, s20
.LBB138_8:                              ;   in Loop: Header=BB138_4 Depth=1
	s_or_b32 exec_lo, exec_lo, s2
	v_add_co_u32 v17, s1, v9, s16
	v_add_co_ci_u32_e64 v18, null, s17, v10, s1
	v_cmp_gt_u64_e64 s1, s[14:15], v[17:18]
	v_mov_b32_e32 v17, s18
	s_and_saveexec_b32 s3, s1
	s_cbranch_execz .LBB138_10
; %bb.9:                                ;   in Loop: Header=BB138_4 Depth=1
	v_add_co_u32 v17, s2, v7, s16
	v_add_co_ci_u32_e64 v18, null, s17, v8, s2
	global_load_ubyte v17, v[17:18], off
	s_waitcnt vmcnt(0)
	v_max_u16 v17, v17, s20
.LBB138_10:                             ;   in Loop: Header=BB138_4 Depth=1
	s_or_b32 exec_lo, exec_lo, s3
	v_add_co_u32 v18, s2, v5, s16
	v_add_co_ci_u32_e64 v19, null, s17, v6, s2
	v_cmp_gt_u64_e64 s2, s[14:15], v[18:19]
	v_mov_b32_e32 v18, s18
	s_and_saveexec_b32 s21, s2
	s_cbranch_execnz .LBB138_15
; %bb.11:                               ;   in Loop: Header=BB138_4 Depth=1
	s_or_b32 exec_lo, exec_lo, s21
	s_and_saveexec_b32 s3, vcc_lo
	s_cbranch_execnz .LBB138_16
.LBB138_12:                             ;   in Loop: Header=BB138_4 Depth=1
	s_or_b32 exec_lo, exec_lo, s3
	s_and_saveexec_b32 s3, s0
	s_cbranch_execnz .LBB138_17
.LBB138_13:                             ;   in Loop: Header=BB138_4 Depth=1
	s_or_b32 exec_lo, exec_lo, s3
	s_and_saveexec_b32 s0, s1
	s_cbranch_execnz .LBB138_18
.LBB138_14:                             ;   in Loop: Header=BB138_4 Depth=1
	s_or_b32 exec_lo, exec_lo, s0
	s_and_saveexec_b32 s0, s2
	s_cbranch_execz .LBB138_3
	s_branch .LBB138_19
.LBB138_15:                             ;   in Loop: Header=BB138_4 Depth=1
	v_add_co_u32 v18, s3, v3, s16
	v_add_co_ci_u32_e64 v19, null, s17, v4, s3
	global_load_ubyte v18, v[18:19], off
	s_waitcnt vmcnt(0)
	v_max_u16 v18, v18, s20
	s_or_b32 exec_lo, exec_lo, s21
	s_and_saveexec_b32 s3, vcc_lo
	s_cbranch_execz .LBB138_12
.LBB138_16:                             ;   in Loop: Header=BB138_4 Depth=1
	v_add_co_u32 v19, vcc_lo, v1, s16
	v_add_co_ci_u32_e64 v20, null, s17, v2, vcc_lo
	global_store_byte v[19:20], v15, off
	s_or_b32 exec_lo, exec_lo, s3
	s_and_saveexec_b32 s3, s0
	s_cbranch_execz .LBB138_13
.LBB138_17:                             ;   in Loop: Header=BB138_4 Depth=1
	v_add_co_u32 v19, vcc_lo, v11, s16
	v_add_co_ci_u32_e64 v20, null, s17, v12, vcc_lo
	global_store_byte v[19:20], v16, off
	s_or_b32 exec_lo, exec_lo, s3
	s_and_saveexec_b32 s0, s1
	s_cbranch_execz .LBB138_14
.LBB138_18:                             ;   in Loop: Header=BB138_4 Depth=1
	v_add_co_u32 v15, vcc_lo, v7, s16
	v_add_co_ci_u32_e64 v16, null, s17, v8, vcc_lo
	global_store_byte v[15:16], v17, off
	s_or_b32 exec_lo, exec_lo, s0
	s_and_saveexec_b32 s0, s2
	s_cbranch_execz .LBB138_3
.LBB138_19:                             ;   in Loop: Header=BB138_4 Depth=1
	v_add_co_u32 v15, vcc_lo, v3, s16
	v_add_co_ci_u32_e64 v16, null, s17, v4, vcc_lo
	global_store_byte v[15:16], v18, off
	s_branch .LBB138_3
.LBB138_20:
	s_cbranch_execz .LBB138_22
	s_branch .LBB138_25
.LBB138_21:
.LBB138_22:
	v_cmp_gt_i64_e64 s0, 0x10000, s[10:11]
	v_mov_b32_e32 v3, 0
	v_lshlrev_b32_e32 v2, 2, v0
	s_mov_b32 s1, 0
	s_and_b32 s0, s0, exec_lo
	s_cselect_b32 s3, s11, 0
	s_cselect_b32 s2, s10, 0x10000
	s_mov_b32 s0, exec_lo
	v_cmpx_gt_i64_e64 s[2:3], v[2:3]
	s_cbranch_execz .LBB138_25
; %bb.23:
	s_load_dword s0, s[4:5], 0xcb4
	v_mov_b32_e32 v1, v3
	v_mov_b32_e32 v4, 0xff
	s_waitcnt lgkmcnt(0)
	s_and_b32 s4, s0, 0xffff
	s_add_u32 s0, s6, s8
	s_addc_u32 s5, s7, s9
	v_add_co_u32 v2, s0, s0, v2
	v_add_co_ci_u32_e64 v3, null, s5, 0, s0
	s_lshl_b32 s5, s4, 2
	s_and_b32 s6, s18, 0xff
	s_inst_prefetch 0x1
	.p2align	6
.LBB138_24:                             ; =>This Inner Loop Header: Depth=1
	global_load_dword v5, v[2:3], off
	v_add_co_u32 v0, vcc_lo, v0, s4
	v_add_co_ci_u32_e64 v1, null, 0, v1, vcc_lo
	s_waitcnt vmcnt(0)
	v_lshrrev_b32_e32 v6, 8, v5
	v_lshrrev_b32_e32 v7, 24, v5
	v_and_b32_e32 v8, 0xff, v5
	v_and_b32_sdwa v5, v5, v4 dst_sel:DWORD dst_unused:UNUSED_PAD src0_sel:WORD_1 src1_sel:DWORD
	v_and_b32_e32 v6, 0xff, v6
	v_max_u16 v7, v7, s6
	v_max_u16 v8, v8, s6
	;; [unrolled: 1-line block ×4, first 2 shown]
	v_lshlrev_b16 v7, 8, v7
	v_lshlrev_b16 v6, 8, v6
	v_or_b32_sdwa v7, v5, v7 dst_sel:WORD_1 dst_unused:UNUSED_PAD src0_sel:DWORD src1_sel:DWORD
	v_or_b32_e32 v8, v8, v6
	v_lshlrev_b64 v[5:6], 2, v[0:1]
	v_or_b32_sdwa v7, v8, v7 dst_sel:DWORD dst_unused:UNUSED_PAD src0_sel:WORD_0 src1_sel:DWORD
	v_cmp_le_i64_e32 vcc_lo, s[2:3], v[5:6]
	global_store_dword v[2:3], v7, off
	v_add_co_u32 v2, s0, v2, s5
	v_add_co_ci_u32_e64 v3, null, 0, v3, s0
	s_or_b32 s1, vcc_lo, s1
	s_andn2_b32 exec_lo, exec_lo, s1
	s_cbranch_execnz .LBB138_24
.LBB138_25:
	s_inst_prefetch 0x2
	s_endpgm
	.section	.rodata,"a",@progbits
	.p2align	6, 0x0
	.amdhsa_kernel _ZN2at6native12_GLOBAL__N_125multi_tensor_apply_kernelINS1_28TensorListScalarListMetadataIhLi1EEENS1_25BinaryOpScalarListFunctorIhLi1ELi1ELi0EEEJNS0_7maximumIhEEEEEvT_T0_DpT1_
		.amdhsa_group_segment_fixed_size 0
		.amdhsa_private_segment_fixed_size 0
		.amdhsa_kernarg_size 3496
		.amdhsa_user_sgpr_count 6
		.amdhsa_user_sgpr_private_segment_buffer 1
		.amdhsa_user_sgpr_dispatch_ptr 0
		.amdhsa_user_sgpr_queue_ptr 0
		.amdhsa_user_sgpr_kernarg_segment_ptr 1
		.amdhsa_user_sgpr_dispatch_id 0
		.amdhsa_user_sgpr_flat_scratch_init 0
		.amdhsa_user_sgpr_private_segment_size 0
		.amdhsa_wavefront_size32 1
		.amdhsa_uses_dynamic_stack 0
		.amdhsa_system_sgpr_private_segment_wavefront_offset 0
		.amdhsa_system_sgpr_workgroup_id_x 1
		.amdhsa_system_sgpr_workgroup_id_y 0
		.amdhsa_system_sgpr_workgroup_id_z 0
		.amdhsa_system_sgpr_workgroup_info 0
		.amdhsa_system_vgpr_workitem_id 0
		.amdhsa_next_free_vgpr 21
		.amdhsa_next_free_sgpr 22
		.amdhsa_reserve_vcc 1
		.amdhsa_reserve_flat_scratch 0
		.amdhsa_float_round_mode_32 0
		.amdhsa_float_round_mode_16_64 0
		.amdhsa_float_denorm_mode_32 3
		.amdhsa_float_denorm_mode_16_64 3
		.amdhsa_dx10_clamp 1
		.amdhsa_ieee_mode 1
		.amdhsa_fp16_overflow 0
		.amdhsa_workgroup_processor_mode 1
		.amdhsa_memory_ordered 1
		.amdhsa_forward_progress 1
		.amdhsa_shared_vgpr_count 0
		.amdhsa_exception_fp_ieee_invalid_op 0
		.amdhsa_exception_fp_denorm_src 0
		.amdhsa_exception_fp_ieee_div_zero 0
		.amdhsa_exception_fp_ieee_overflow 0
		.amdhsa_exception_fp_ieee_underflow 0
		.amdhsa_exception_fp_ieee_inexact 0
		.amdhsa_exception_int_div_zero 0
	.end_amdhsa_kernel
	.section	.text._ZN2at6native12_GLOBAL__N_125multi_tensor_apply_kernelINS1_28TensorListScalarListMetadataIhLi1EEENS1_25BinaryOpScalarListFunctorIhLi1ELi1ELi0EEEJNS0_7maximumIhEEEEEvT_T0_DpT1_,"axG",@progbits,_ZN2at6native12_GLOBAL__N_125multi_tensor_apply_kernelINS1_28TensorListScalarListMetadataIhLi1EEENS1_25BinaryOpScalarListFunctorIhLi1ELi1ELi0EEEJNS0_7maximumIhEEEEEvT_T0_DpT1_,comdat
.Lfunc_end138:
	.size	_ZN2at6native12_GLOBAL__N_125multi_tensor_apply_kernelINS1_28TensorListScalarListMetadataIhLi1EEENS1_25BinaryOpScalarListFunctorIhLi1ELi1ELi0EEEJNS0_7maximumIhEEEEEvT_T0_DpT1_, .Lfunc_end138-_ZN2at6native12_GLOBAL__N_125multi_tensor_apply_kernelINS1_28TensorListScalarListMetadataIhLi1EEENS1_25BinaryOpScalarListFunctorIhLi1ELi1ELi0EEEJNS0_7maximumIhEEEEEvT_T0_DpT1_
                                        ; -- End function
	.set _ZN2at6native12_GLOBAL__N_125multi_tensor_apply_kernelINS1_28TensorListScalarListMetadataIhLi1EEENS1_25BinaryOpScalarListFunctorIhLi1ELi1ELi0EEEJNS0_7maximumIhEEEEEvT_T0_DpT1_.num_vgpr, 21
	.set _ZN2at6native12_GLOBAL__N_125multi_tensor_apply_kernelINS1_28TensorListScalarListMetadataIhLi1EEENS1_25BinaryOpScalarListFunctorIhLi1ELi1ELi0EEEJNS0_7maximumIhEEEEEvT_T0_DpT1_.num_agpr, 0
	.set _ZN2at6native12_GLOBAL__N_125multi_tensor_apply_kernelINS1_28TensorListScalarListMetadataIhLi1EEENS1_25BinaryOpScalarListFunctorIhLi1ELi1ELi0EEEJNS0_7maximumIhEEEEEvT_T0_DpT1_.numbered_sgpr, 22
	.set _ZN2at6native12_GLOBAL__N_125multi_tensor_apply_kernelINS1_28TensorListScalarListMetadataIhLi1EEENS1_25BinaryOpScalarListFunctorIhLi1ELi1ELi0EEEJNS0_7maximumIhEEEEEvT_T0_DpT1_.num_named_barrier, 0
	.set _ZN2at6native12_GLOBAL__N_125multi_tensor_apply_kernelINS1_28TensorListScalarListMetadataIhLi1EEENS1_25BinaryOpScalarListFunctorIhLi1ELi1ELi0EEEJNS0_7maximumIhEEEEEvT_T0_DpT1_.private_seg_size, 0
	.set _ZN2at6native12_GLOBAL__N_125multi_tensor_apply_kernelINS1_28TensorListScalarListMetadataIhLi1EEENS1_25BinaryOpScalarListFunctorIhLi1ELi1ELi0EEEJNS0_7maximumIhEEEEEvT_T0_DpT1_.uses_vcc, 1
	.set _ZN2at6native12_GLOBAL__N_125multi_tensor_apply_kernelINS1_28TensorListScalarListMetadataIhLi1EEENS1_25BinaryOpScalarListFunctorIhLi1ELi1ELi0EEEJNS0_7maximumIhEEEEEvT_T0_DpT1_.uses_flat_scratch, 0
	.set _ZN2at6native12_GLOBAL__N_125multi_tensor_apply_kernelINS1_28TensorListScalarListMetadataIhLi1EEENS1_25BinaryOpScalarListFunctorIhLi1ELi1ELi0EEEJNS0_7maximumIhEEEEEvT_T0_DpT1_.has_dyn_sized_stack, 0
	.set _ZN2at6native12_GLOBAL__N_125multi_tensor_apply_kernelINS1_28TensorListScalarListMetadataIhLi1EEENS1_25BinaryOpScalarListFunctorIhLi1ELi1ELi0EEEJNS0_7maximumIhEEEEEvT_T0_DpT1_.has_recursion, 0
	.set _ZN2at6native12_GLOBAL__N_125multi_tensor_apply_kernelINS1_28TensorListScalarListMetadataIhLi1EEENS1_25BinaryOpScalarListFunctorIhLi1ELi1ELi0EEEJNS0_7maximumIhEEEEEvT_T0_DpT1_.has_indirect_call, 0
	.section	.AMDGPU.csdata,"",@progbits
; Kernel info:
; codeLenInByte = 1336
; TotalNumSgprs: 24
; NumVgprs: 21
; ScratchSize: 0
; MemoryBound: 0
; FloatMode: 240
; IeeeMode: 1
; LDSByteSize: 0 bytes/workgroup (compile time only)
; SGPRBlocks: 0
; VGPRBlocks: 2
; NumSGPRsForWavesPerEU: 24
; NumVGPRsForWavesPerEU: 21
; Occupancy: 16
; WaveLimiterHint : 0
; COMPUTE_PGM_RSRC2:SCRATCH_EN: 0
; COMPUTE_PGM_RSRC2:USER_SGPR: 6
; COMPUTE_PGM_RSRC2:TRAP_HANDLER: 0
; COMPUTE_PGM_RSRC2:TGID_X_EN: 1
; COMPUTE_PGM_RSRC2:TGID_Y_EN: 0
; COMPUTE_PGM_RSRC2:TGID_Z_EN: 0
; COMPUTE_PGM_RSRC2:TIDIG_COMP_CNT: 0
	.section	.text._ZN2at6native12_GLOBAL__N_125multi_tensor_apply_kernelINS1_28TensorListScalarListMetadataIaLi1EEENS1_25BinaryOpScalarListFunctorIaLi1ELi1ELi0EEEJNS0_7maximumIaEEEEEvT_T0_DpT1_,"axG",@progbits,_ZN2at6native12_GLOBAL__N_125multi_tensor_apply_kernelINS1_28TensorListScalarListMetadataIaLi1EEENS1_25BinaryOpScalarListFunctorIaLi1ELi1ELi0EEEJNS0_7maximumIaEEEEEvT_T0_DpT1_,comdat
	.globl	_ZN2at6native12_GLOBAL__N_125multi_tensor_apply_kernelINS1_28TensorListScalarListMetadataIaLi1EEENS1_25BinaryOpScalarListFunctorIaLi1ELi1ELi0EEEJNS0_7maximumIaEEEEEvT_T0_DpT1_ ; -- Begin function _ZN2at6native12_GLOBAL__N_125multi_tensor_apply_kernelINS1_28TensorListScalarListMetadataIaLi1EEENS1_25BinaryOpScalarListFunctorIaLi1ELi1ELi0EEEJNS0_7maximumIaEEEEEvT_T0_DpT1_
	.p2align	8
	.type	_ZN2at6native12_GLOBAL__N_125multi_tensor_apply_kernelINS1_28TensorListScalarListMetadataIaLi1EEENS1_25BinaryOpScalarListFunctorIaLi1ELi1ELi0EEEJNS0_7maximumIaEEEEEvT_T0_DpT1_,@function
_ZN2at6native12_GLOBAL__N_125multi_tensor_apply_kernelINS1_28TensorListScalarListMetadataIaLi1EEENS1_25BinaryOpScalarListFunctorIaLi1ELi1ELi0EEEJNS0_7maximumIaEEEEEvT_T0_DpT1_: ; @_ZN2at6native12_GLOBAL__N_125multi_tensor_apply_kernelINS1_28TensorListScalarListMetadataIaLi1EEENS1_25BinaryOpScalarListFunctorIaLi1ELi1ELi0EEEJNS0_7maximumIaEEEEEvT_T0_DpT1_
; %bb.0:
	v_mov_b32_e32 v1, s6
	s_mul_i32 s1, s6, 3
	s_mul_hi_u32 s2, s6, 3
	global_load_ubyte v3, v1, s[4:5] offset:1632
	s_waitcnt vmcnt(0)
	v_add_co_u32 v1, s0, s4, v3
	v_add_co_ci_u32_e64 v2, null, s5, 0, s0
	s_add_u32 s0, s4, s6
	s_addc_u32 s3, s5, 0
	s_add_u32 s0, s0, s1
	global_load_ubyte v1, v[1:2], off offset:1536
	v_readfirstlane_b32 s6, v3
	s_addc_u32 s1, s3, s2
	s_load_dword s0, s[0:1], 0x7a0
	s_lshl_b32 s1, s6, 3
	s_clause 0x1
	s_load_dwordx2 s[2:3], s[4:5], s1 offset:0x300
	s_load_dwordx2 s[6:7], s[4:5], s1 offset:0x0
	s_waitcnt lgkmcnt(0)
	s_ashr_i32 s1, s0, 31
	s_lshl_b64 s[8:9], s[0:1], 16
	s_sub_u32 s10, s2, s8
	s_subb_u32 s11, s3, s9
	s_or_b32 s0, s2, s6
	s_and_b32 s0, s0, 3
	s_cmp_eq_u32 s0, 0
	s_waitcnt vmcnt(0)
	v_readfirstlane_b32 s18, v1
	s_cbranch_scc1 .LBB139_21
; %bb.1:
	v_cmp_lt_i64_e64 s0, s[10:11], 1
	s_and_b32 vcc_lo, exec_lo, s0
	s_cbranch_vccnz .LBB139_20
; %bb.2:
	s_load_dword s0, s[4:5], 0xcb4
	v_cmp_gt_i64_e64 s1, 0x10000, s[10:11]
	v_add_co_u32 v11, s2, s8, v0
	v_add_co_ci_u32_e64 v12, null, s9, 0, s2
	v_cmp_gt_u64_e64 s2, 0x10000, s[10:11]
	s_and_b32 s1, s1, exec_lo
	s_cselect_b32 s13, s11, 0
	s_cselect_b32 s12, s10, 0x10000
	v_add_co_u32 v1, vcc_lo, s6, v11
	v_add_co_ci_u32_e64 v2, null, s7, v12, vcc_lo
	s_waitcnt lgkmcnt(0)
	s_and_b32 s0, s0, 0xffff
	s_and_b32 s1, s2, exec_lo
	s_mul_i32 s2, s0, 3
	s_cselect_b32 s15, s11, 0
	s_cselect_b32 s14, s10, 0x10000
	s_lshl_b32 s1, s0, 1
	s_lshl_b32 s19, s0, 2
	s_add_u32 s3, s8, s2
	s_addc_u32 s16, s9, 0
	s_add_u32 s3, s6, s3
	v_add_co_u32 v5, s2, s2, v0
	s_addc_u32 s16, s7, s16
	v_add_co_u32 v3, s3, s3, v0
	v_add_co_ci_u32_e64 v6, null, 0, 0, s2
	s_add_u32 s2, s8, s1
	v_add_co_ci_u32_e64 v4, null, s16, 0, s3
	s_addc_u32 s3, s9, 0
	s_add_u32 s2, s6, s2
	v_add_co_u32 v9, s1, s1, v0
	s_addc_u32 s3, s7, s3
	v_add_co_u32 v7, s2, s2, v0
	v_add_co_ci_u32_e64 v10, null, 0, 0, s1
	s_add_u32 s1, s6, s0
	v_add_co_ci_u32_e64 v8, null, s3, 0, s2
	s_addc_u32 s2, s7, 0
	v_add_co_u32 v11, vcc_lo, s1, v11
	v_add_co_u32 v13, s0, v0, s0
	v_add_co_ci_u32_e64 v12, null, s2, v12, vcc_lo
	v_add_co_ci_u32_e64 v14, null, 0, 0, s0
	s_mov_b64 s[16:17], 0
	s_bfe_i32 s20, s18, 0x80000
	s_branch .LBB139_4
.LBB139_3:                              ;   in Loop: Header=BB139_4 Depth=1
	s_or_b32 exec_lo, exec_lo, s0
	s_add_u32 s16, s16, s19
	s_addc_u32 s17, s17, 0
	v_cmp_lt_i64_e64 s0, s[16:17], s[12:13]
	s_and_b32 vcc_lo, exec_lo, s0
	s_cbranch_vccz .LBB139_20
.LBB139_4:                              ; =>This Inner Loop Header: Depth=1
	s_waitcnt vmcnt(0)
	v_add_co_u32 v15, s0, v0, s16
	v_add_co_ci_u32_e64 v16, null, 0, s17, s0
	v_cmp_gt_u64_e32 vcc_lo, s[14:15], v[15:16]
	v_mov_b32_e32 v16, 0
	s_and_saveexec_b32 s1, vcc_lo
	s_cbranch_execz .LBB139_6
; %bb.5:                                ;   in Loop: Header=BB139_4 Depth=1
	v_add_co_u32 v15, s0, v1, s16
	v_add_co_ci_u32_e64 v16, null, s17, v2, s0
	global_load_ubyte v16, v[15:16], off
.LBB139_6:                              ;   in Loop: Header=BB139_4 Depth=1
	s_or_b32 exec_lo, exec_lo, s1
	v_add_co_u32 v17, s0, v13, s16
	v_add_co_ci_u32_e64 v18, null, s17, v14, s0
	v_mov_b32_e32 v15, 0
	v_cmp_gt_u64_e64 s0, s[14:15], v[17:18]
	v_mov_b32_e32 v17, 0
	s_and_saveexec_b32 s2, s0
	s_cbranch_execz .LBB139_8
; %bb.7:                                ;   in Loop: Header=BB139_4 Depth=1
	v_add_co_u32 v17, s1, v11, s16
	v_add_co_ci_u32_e64 v18, null, s17, v12, s1
	global_load_ubyte v17, v[17:18], off
.LBB139_8:                              ;   in Loop: Header=BB139_4 Depth=1
	s_or_b32 exec_lo, exec_lo, s2
	v_add_co_u32 v18, s1, v9, s16
	v_add_co_ci_u32_e64 v19, null, s17, v10, s1
	v_cmp_gt_u64_e64 s1, s[14:15], v[18:19]
	s_and_saveexec_b32 s3, s1
	s_cbranch_execz .LBB139_10
; %bb.9:                                ;   in Loop: Header=BB139_4 Depth=1
	v_add_co_u32 v18, s2, v7, s16
	v_add_co_ci_u32_e64 v19, null, s17, v8, s2
	global_load_ubyte v15, v[18:19], off
.LBB139_10:                             ;   in Loop: Header=BB139_4 Depth=1
	s_or_b32 exec_lo, exec_lo, s3
	v_add_co_u32 v18, s2, v5, s16
	v_add_co_ci_u32_e64 v19, null, s17, v6, s2
	v_cmp_gt_u64_e64 s2, s[14:15], v[18:19]
	v_mov_b32_e32 v18, 0
	s_and_saveexec_b32 s21, s2
	s_cbranch_execnz .LBB139_15
; %bb.11:                               ;   in Loop: Header=BB139_4 Depth=1
	s_or_b32 exec_lo, exec_lo, s21
	s_and_saveexec_b32 s3, vcc_lo
	s_cbranch_execnz .LBB139_16
.LBB139_12:                             ;   in Loop: Header=BB139_4 Depth=1
	s_or_b32 exec_lo, exec_lo, s3
	s_and_saveexec_b32 s3, s0
	s_cbranch_execnz .LBB139_17
.LBB139_13:                             ;   in Loop: Header=BB139_4 Depth=1
	s_or_b32 exec_lo, exec_lo, s3
	s_and_saveexec_b32 s0, s1
	s_cbranch_execnz .LBB139_18
.LBB139_14:                             ;   in Loop: Header=BB139_4 Depth=1
	s_or_b32 exec_lo, exec_lo, s0
	s_and_saveexec_b32 s0, s2
	s_cbranch_execz .LBB139_3
	s_branch .LBB139_19
.LBB139_15:                             ;   in Loop: Header=BB139_4 Depth=1
	v_add_co_u32 v18, s3, v3, s16
	v_add_co_ci_u32_e64 v19, null, s17, v4, s3
	global_load_ubyte v18, v[18:19], off
	s_or_b32 exec_lo, exec_lo, s21
	s_and_saveexec_b32 s3, vcc_lo
	s_cbranch_execz .LBB139_12
.LBB139_16:                             ;   in Loop: Header=BB139_4 Depth=1
	s_waitcnt vmcnt(0)
	v_bfe_i32 v16, v16, 0, 8
	v_add_co_u32 v19, vcc_lo, v1, s16
	v_add_co_ci_u32_e64 v20, null, s17, v2, vcc_lo
	v_max_i16 v16, v16, s20
	global_store_byte v[19:20], v16, off
	s_or_b32 exec_lo, exec_lo, s3
	s_and_saveexec_b32 s3, s0
	s_cbranch_execz .LBB139_13
.LBB139_17:                             ;   in Loop: Header=BB139_4 Depth=1
	s_waitcnt vmcnt(0)
	v_bfe_i32 v16, v17, 0, 8
	v_max_i16 v19, v16, s20
	v_add_co_u32 v16, vcc_lo, v11, s16
	v_add_co_ci_u32_e64 v17, null, s17, v12, vcc_lo
	global_store_byte v[16:17], v19, off
	s_or_b32 exec_lo, exec_lo, s3
	s_and_saveexec_b32 s0, s1
	s_cbranch_execz .LBB139_14
.LBB139_18:                             ;   in Loop: Header=BB139_4 Depth=1
	s_waitcnt vmcnt(0)
	v_bfe_i32 v15, v15, 0, 8
	v_max_i16 v17, v15, s20
	v_add_co_u32 v15, vcc_lo, v7, s16
	v_add_co_ci_u32_e64 v16, null, s17, v8, vcc_lo
	global_store_byte v[15:16], v17, off
	s_or_b32 exec_lo, exec_lo, s0
	s_and_saveexec_b32 s0, s2
	s_cbranch_execz .LBB139_3
.LBB139_19:                             ;   in Loop: Header=BB139_4 Depth=1
	s_waitcnt vmcnt(0)
	v_bfe_i32 v15, v18, 0, 8
	v_max_i16 v17, v15, s20
	v_add_co_u32 v15, vcc_lo, v3, s16
	v_add_co_ci_u32_e64 v16, null, s17, v4, vcc_lo
	global_store_byte v[15:16], v17, off
	s_branch .LBB139_3
.LBB139_20:
	s_cbranch_execz .LBB139_22
	s_branch .LBB139_25
.LBB139_21:
.LBB139_22:
	v_cmp_gt_i64_e64 s0, 0x10000, s[10:11]
	v_mov_b32_e32 v3, 0
	v_lshlrev_b32_e32 v2, 2, v0
	s_mov_b32 s1, 0
	s_and_b32 s0, s0, exec_lo
	s_cselect_b32 s3, s11, 0
	s_cselect_b32 s2, s10, 0x10000
	s_mov_b32 s0, exec_lo
	v_cmpx_gt_i64_e64 s[2:3], v[2:3]
	s_cbranch_execz .LBB139_25
; %bb.23:
	s_load_dword s0, s[4:5], 0xcb4
	v_mov_b32_e32 v1, v3
	s_waitcnt lgkmcnt(0)
	s_and_b32 s4, s0, 0xffff
	s_add_u32 s0, s6, s8
	s_addc_u32 s5, s7, s9
	v_add_co_u32 v2, s0, s0, v2
	v_add_co_ci_u32_e64 v3, null, s5, 0, s0
	s_lshl_b32 s5, s4, 2
	s_bfe_i32 s6, s18, 0x80000
	s_inst_prefetch 0x1
	.p2align	6
.LBB139_24:                             ; =>This Inner Loop Header: Depth=1
	global_load_dword v4, v[2:3], off
	v_add_co_u32 v0, vcc_lo, v0, s4
	v_add_co_ci_u32_e64 v1, null, 0, v1, vcc_lo
	s_waitcnt vmcnt(0)
	v_lshrrev_b32_e32 v5, 8, v4
	v_lshrrev_b32_e32 v6, 24, v4
	;; [unrolled: 1-line block ×3, first 2 shown]
	v_bfe_i32 v4, v4, 0, 8
	v_bfe_i32 v5, v5, 0, 8
	;; [unrolled: 1-line block ×4, first 2 shown]
	v_max_i16 v4, v4, s6
	v_max_i16 v5, v5, s6
	;; [unrolled: 1-line block ×4, first 2 shown]
	v_lshlrev_b16 v5, 8, v5
	v_lshlrev_b16 v6, 8, v6
	v_or_b32_sdwa v8, v4, v5 dst_sel:DWORD dst_unused:UNUSED_PAD src0_sel:BYTE_0 src1_sel:DWORD
	v_or_b32_sdwa v6, v7, v6 dst_sel:WORD_1 dst_unused:UNUSED_PAD src0_sel:BYTE_0 src1_sel:DWORD
	v_lshlrev_b64 v[4:5], 2, v[0:1]
	v_or_b32_sdwa v6, v8, v6 dst_sel:DWORD dst_unused:UNUSED_PAD src0_sel:WORD_0 src1_sel:DWORD
	v_cmp_le_i64_e32 vcc_lo, s[2:3], v[4:5]
	global_store_dword v[2:3], v6, off
	v_add_co_u32 v2, s0, v2, s5
	v_add_co_ci_u32_e64 v3, null, 0, v3, s0
	s_or_b32 s1, vcc_lo, s1
	s_andn2_b32 exec_lo, exec_lo, s1
	s_cbranch_execnz .LBB139_24
.LBB139_25:
	s_inst_prefetch 0x2
	s_endpgm
	.section	.rodata,"a",@progbits
	.p2align	6, 0x0
	.amdhsa_kernel _ZN2at6native12_GLOBAL__N_125multi_tensor_apply_kernelINS1_28TensorListScalarListMetadataIaLi1EEENS1_25BinaryOpScalarListFunctorIaLi1ELi1ELi0EEEJNS0_7maximumIaEEEEEvT_T0_DpT1_
		.amdhsa_group_segment_fixed_size 0
		.amdhsa_private_segment_fixed_size 0
		.amdhsa_kernarg_size 3496
		.amdhsa_user_sgpr_count 6
		.amdhsa_user_sgpr_private_segment_buffer 1
		.amdhsa_user_sgpr_dispatch_ptr 0
		.amdhsa_user_sgpr_queue_ptr 0
		.amdhsa_user_sgpr_kernarg_segment_ptr 1
		.amdhsa_user_sgpr_dispatch_id 0
		.amdhsa_user_sgpr_flat_scratch_init 0
		.amdhsa_user_sgpr_private_segment_size 0
		.amdhsa_wavefront_size32 1
		.amdhsa_uses_dynamic_stack 0
		.amdhsa_system_sgpr_private_segment_wavefront_offset 0
		.amdhsa_system_sgpr_workgroup_id_x 1
		.amdhsa_system_sgpr_workgroup_id_y 0
		.amdhsa_system_sgpr_workgroup_id_z 0
		.amdhsa_system_sgpr_workgroup_info 0
		.amdhsa_system_vgpr_workitem_id 0
		.amdhsa_next_free_vgpr 21
		.amdhsa_next_free_sgpr 22
		.amdhsa_reserve_vcc 1
		.amdhsa_reserve_flat_scratch 0
		.amdhsa_float_round_mode_32 0
		.amdhsa_float_round_mode_16_64 0
		.amdhsa_float_denorm_mode_32 3
		.amdhsa_float_denorm_mode_16_64 3
		.amdhsa_dx10_clamp 1
		.amdhsa_ieee_mode 1
		.amdhsa_fp16_overflow 0
		.amdhsa_workgroup_processor_mode 1
		.amdhsa_memory_ordered 1
		.amdhsa_forward_progress 1
		.amdhsa_shared_vgpr_count 0
		.amdhsa_exception_fp_ieee_invalid_op 0
		.amdhsa_exception_fp_denorm_src 0
		.amdhsa_exception_fp_ieee_div_zero 0
		.amdhsa_exception_fp_ieee_overflow 0
		.amdhsa_exception_fp_ieee_underflow 0
		.amdhsa_exception_fp_ieee_inexact 0
		.amdhsa_exception_int_div_zero 0
	.end_amdhsa_kernel
	.section	.text._ZN2at6native12_GLOBAL__N_125multi_tensor_apply_kernelINS1_28TensorListScalarListMetadataIaLi1EEENS1_25BinaryOpScalarListFunctorIaLi1ELi1ELi0EEEJNS0_7maximumIaEEEEEvT_T0_DpT1_,"axG",@progbits,_ZN2at6native12_GLOBAL__N_125multi_tensor_apply_kernelINS1_28TensorListScalarListMetadataIaLi1EEENS1_25BinaryOpScalarListFunctorIaLi1ELi1ELi0EEEJNS0_7maximumIaEEEEEvT_T0_DpT1_,comdat
.Lfunc_end139:
	.size	_ZN2at6native12_GLOBAL__N_125multi_tensor_apply_kernelINS1_28TensorListScalarListMetadataIaLi1EEENS1_25BinaryOpScalarListFunctorIaLi1ELi1ELi0EEEJNS0_7maximumIaEEEEEvT_T0_DpT1_, .Lfunc_end139-_ZN2at6native12_GLOBAL__N_125multi_tensor_apply_kernelINS1_28TensorListScalarListMetadataIaLi1EEENS1_25BinaryOpScalarListFunctorIaLi1ELi1ELi0EEEJNS0_7maximumIaEEEEEvT_T0_DpT1_
                                        ; -- End function
	.set _ZN2at6native12_GLOBAL__N_125multi_tensor_apply_kernelINS1_28TensorListScalarListMetadataIaLi1EEENS1_25BinaryOpScalarListFunctorIaLi1ELi1ELi0EEEJNS0_7maximumIaEEEEEvT_T0_DpT1_.num_vgpr, 21
	.set _ZN2at6native12_GLOBAL__N_125multi_tensor_apply_kernelINS1_28TensorListScalarListMetadataIaLi1EEENS1_25BinaryOpScalarListFunctorIaLi1ELi1ELi0EEEJNS0_7maximumIaEEEEEvT_T0_DpT1_.num_agpr, 0
	.set _ZN2at6native12_GLOBAL__N_125multi_tensor_apply_kernelINS1_28TensorListScalarListMetadataIaLi1EEENS1_25BinaryOpScalarListFunctorIaLi1ELi1ELi0EEEJNS0_7maximumIaEEEEEvT_T0_DpT1_.numbered_sgpr, 22
	.set _ZN2at6native12_GLOBAL__N_125multi_tensor_apply_kernelINS1_28TensorListScalarListMetadataIaLi1EEENS1_25BinaryOpScalarListFunctorIaLi1ELi1ELi0EEEJNS0_7maximumIaEEEEEvT_T0_DpT1_.num_named_barrier, 0
	.set _ZN2at6native12_GLOBAL__N_125multi_tensor_apply_kernelINS1_28TensorListScalarListMetadataIaLi1EEENS1_25BinaryOpScalarListFunctorIaLi1ELi1ELi0EEEJNS0_7maximumIaEEEEEvT_T0_DpT1_.private_seg_size, 0
	.set _ZN2at6native12_GLOBAL__N_125multi_tensor_apply_kernelINS1_28TensorListScalarListMetadataIaLi1EEENS1_25BinaryOpScalarListFunctorIaLi1ELi1ELi0EEEJNS0_7maximumIaEEEEEvT_T0_DpT1_.uses_vcc, 1
	.set _ZN2at6native12_GLOBAL__N_125multi_tensor_apply_kernelINS1_28TensorListScalarListMetadataIaLi1EEENS1_25BinaryOpScalarListFunctorIaLi1ELi1ELi0EEEJNS0_7maximumIaEEEEEvT_T0_DpT1_.uses_flat_scratch, 0
	.set _ZN2at6native12_GLOBAL__N_125multi_tensor_apply_kernelINS1_28TensorListScalarListMetadataIaLi1EEENS1_25BinaryOpScalarListFunctorIaLi1ELi1ELi0EEEJNS0_7maximumIaEEEEEvT_T0_DpT1_.has_dyn_sized_stack, 0
	.set _ZN2at6native12_GLOBAL__N_125multi_tensor_apply_kernelINS1_28TensorListScalarListMetadataIaLi1EEENS1_25BinaryOpScalarListFunctorIaLi1ELi1ELi0EEEJNS0_7maximumIaEEEEEvT_T0_DpT1_.has_recursion, 0
	.set _ZN2at6native12_GLOBAL__N_125multi_tensor_apply_kernelINS1_28TensorListScalarListMetadataIaLi1EEENS1_25BinaryOpScalarListFunctorIaLi1ELi1ELi0EEEJNS0_7maximumIaEEEEEvT_T0_DpT1_.has_indirect_call, 0
	.section	.AMDGPU.csdata,"",@progbits
; Kernel info:
; codeLenInByte = 1352
; TotalNumSgprs: 24
; NumVgprs: 21
; ScratchSize: 0
; MemoryBound: 0
; FloatMode: 240
; IeeeMode: 1
; LDSByteSize: 0 bytes/workgroup (compile time only)
; SGPRBlocks: 0
; VGPRBlocks: 2
; NumSGPRsForWavesPerEU: 24
; NumVGPRsForWavesPerEU: 21
; Occupancy: 16
; WaveLimiterHint : 0
; COMPUTE_PGM_RSRC2:SCRATCH_EN: 0
; COMPUTE_PGM_RSRC2:USER_SGPR: 6
; COMPUTE_PGM_RSRC2:TRAP_HANDLER: 0
; COMPUTE_PGM_RSRC2:TGID_X_EN: 1
; COMPUTE_PGM_RSRC2:TGID_Y_EN: 0
; COMPUTE_PGM_RSRC2:TGID_Z_EN: 0
; COMPUTE_PGM_RSRC2:TIDIG_COMP_CNT: 0
	.section	.text._ZN2at6native12_GLOBAL__N_125multi_tensor_apply_kernelINS1_28TensorListScalarListMetadataIiLi1EEENS1_25BinaryOpScalarListFunctorIiLi1ELi1ELi0EEEJNS0_7maximumIiEEEEEvT_T0_DpT1_,"axG",@progbits,_ZN2at6native12_GLOBAL__N_125multi_tensor_apply_kernelINS1_28TensorListScalarListMetadataIiLi1EEENS1_25BinaryOpScalarListFunctorIiLi1ELi1ELi0EEEJNS0_7maximumIiEEEEEvT_T0_DpT1_,comdat
	.globl	_ZN2at6native12_GLOBAL__N_125multi_tensor_apply_kernelINS1_28TensorListScalarListMetadataIiLi1EEENS1_25BinaryOpScalarListFunctorIiLi1ELi1ELi0EEEJNS0_7maximumIiEEEEEvT_T0_DpT1_ ; -- Begin function _ZN2at6native12_GLOBAL__N_125multi_tensor_apply_kernelINS1_28TensorListScalarListMetadataIiLi1EEENS1_25BinaryOpScalarListFunctorIiLi1ELi1ELi0EEEJNS0_7maximumIiEEEEEvT_T0_DpT1_
	.p2align	8
	.type	_ZN2at6native12_GLOBAL__N_125multi_tensor_apply_kernelINS1_28TensorListScalarListMetadataIiLi1EEENS1_25BinaryOpScalarListFunctorIiLi1ELi1ELi0EEEJNS0_7maximumIiEEEEEvT_T0_DpT1_,@function
_ZN2at6native12_GLOBAL__N_125multi_tensor_apply_kernelINS1_28TensorListScalarListMetadataIiLi1EEENS1_25BinaryOpScalarListFunctorIiLi1ELi1ELi0EEEJNS0_7maximumIiEEEEEvT_T0_DpT1_: ; @_ZN2at6native12_GLOBAL__N_125multi_tensor_apply_kernelINS1_28TensorListScalarListMetadataIiLi1EEENS1_25BinaryOpScalarListFunctorIiLi1ELi1ELi0EEEJNS0_7maximumIiEEEEEvT_T0_DpT1_
; %bb.0:
	v_mov_b32_e32 v1, s6
	s_add_u32 s0, s4, s6
	s_mul_i32 s1, s6, 3
	s_mul_hi_u32 s2, s6, 3
	s_addc_u32 s3, s5, 0
	global_load_ubyte v1, v1, s[4:5] offset:1920
	s_add_u32 s0, s0, s1
	s_addc_u32 s1, s3, s2
	s_mov_b32 s13, 0
	s_load_dword s0, s[0:1], 0x8c0
	s_waitcnt vmcnt(0)
	v_readfirstlane_b32 s1, v1
	v_lshlrev_b32_e32 v1, 2, v1
	s_lshl_b32 s8, s1, 3
	v_sub_co_u32 v1, s1, 0, v1
	v_sub_co_ci_u32_e64 v2, null, 0, 0, s1
	s_waitcnt lgkmcnt(0)
	s_ashr_i32 s1, s0, 31
	s_clause 0x1
	s_load_dwordx2 s[2:3], s[4:5], s8 offset:0x300
	s_load_dwordx2 s[6:7], s[4:5], s8 offset:0x0
	s_add_u32 s8, s4, s8
	s_addc_u32 s9, s5, 0
	v_add_co_u32 v1, vcc_lo, s8, v1
	v_add_co_ci_u32_e64 v2, null, s9, v2, vcc_lo
	v_readfirstlane_b32 s8, v1
	v_readfirstlane_b32 s9, v2
	s_load_dword s18, s[8:9], 0x600
	s_lshl_b64 s[8:9], s[0:1], 18
	s_lshl_b64 s[0:1], s[0:1], 16
	s_waitcnt lgkmcnt(0)
	s_and_b32 s12, s6, 15
	s_sub_u32 s10, s2, s0
	s_subb_u32 s11, s3, s1
	s_and_b32 s0, s2, 3
	s_mov_b32 s1, s13
	s_or_b64 s[0:1], s[12:13], s[0:1]
	s_cmp_eq_u64 s[0:1], 0
	s_cbranch_scc1 .LBB140_21
; %bb.1:
	v_cmp_lt_i64_e64 s0, s[10:11], 1
	s_and_b32 vcc_lo, exec_lo, s0
	s_cbranch_vccnz .LBB140_20
; %bb.2:
	s_load_dword s0, s[4:5], 0xdd4
	v_cmp_gt_i64_e64 s1, 0x10000, s[10:11]
	v_cmp_gt_u64_e64 s2, 0x10000, s[10:11]
	v_lshlrev_b32_e32 v1, 2, v0
	s_and_b32 s1, s1, exec_lo
	s_cselect_b32 s13, s11, 0
	s_cselect_b32 s12, s10, 0x10000
	s_waitcnt lgkmcnt(0)
	s_and_b32 s0, s0, 0xffff
	s_and_b32 s1, s2, exec_lo
	v_add_co_u32 v5, s3, v0, s0
	s_cselect_b32 s15, s11, 0
	s_cselect_b32 s14, s10, 0x10000
	s_lshl_b32 s1, s0, 1
	v_lshlrev_b32_e32 v3, 2, v5
	s_mul_i32 s2, s0, 3
	s_lshl_b32 s19, s0, 2
	s_add_u32 s16, s6, s8
	v_add_co_u32 v6, s2, s2, v0
	v_add_co_u32 v9, s1, s1, v0
	s_addc_u32 s17, s7, s9
	v_add_co_ci_u32_e64 v7, null, 0, 0, s2
	v_add_co_u32 v1, s2, s16, v1
	v_add_co_ci_u32_e64 v10, null, 0, 0, s1
	v_add_co_u32 v3, s1, s16, v3
	v_add_co_ci_u32_e64 v2, null, s17, 0, s2
	v_add_co_ci_u32_e64 v8, null, 0, 0, s3
	v_add_co_ci_u32_e64 v4, null, s17, 0, s1
	s_lshl_b32 s20, s0, 4
	s_mul_i32 s21, s0, 12
	s_lshl_b32 s22, s0, 3
	s_mov_b64 s[16:17], 0
	s_branch .LBB140_4
.LBB140_3:                              ;   in Loop: Header=BB140_4 Depth=1
	s_or_b32 exec_lo, exec_lo, s0
	s_add_u32 s16, s16, s19
	s_addc_u32 s17, s17, 0
	v_add_co_u32 v1, vcc_lo, v1, s20
	v_cmp_lt_i64_e64 s0, s[16:17], s[12:13]
	v_add_co_ci_u32_e64 v2, null, 0, v2, vcc_lo
	v_add_co_u32 v3, vcc_lo, v3, s20
	v_add_co_ci_u32_e64 v4, null, 0, v4, vcc_lo
	s_and_b32 vcc_lo, exec_lo, s0
	s_cbranch_vccz .LBB140_20
.LBB140_4:                              ; =>This Inner Loop Header: Depth=1
	s_waitcnt vmcnt(0)
	v_add_co_u32 v11, s0, v0, s16
	v_add_co_ci_u32_e64 v12, null, 0, s17, s0
	v_cmp_gt_u64_e32 vcc_lo, s[14:15], v[11:12]
	v_mov_b32_e32 v11, 0
	s_and_saveexec_b32 s0, vcc_lo
	s_cbranch_execz .LBB140_6
; %bb.5:                                ;   in Loop: Header=BB140_4 Depth=1
	global_load_dword v11, v[1:2], off
.LBB140_6:                              ;   in Loop: Header=BB140_4 Depth=1
	s_or_b32 exec_lo, exec_lo, s0
	v_add_co_u32 v12, s0, v5, s16
	v_add_co_ci_u32_e64 v13, null, s17, v8, s0
	v_cmp_gt_u64_e64 s0, s[14:15], v[12:13]
	v_mov_b32_e32 v12, 0
	v_mov_b32_e32 v13, 0
	s_and_saveexec_b32 s1, s0
	s_cbranch_execz .LBB140_8
; %bb.7:                                ;   in Loop: Header=BB140_4 Depth=1
	global_load_dword v13, v[3:4], off
.LBB140_8:                              ;   in Loop: Header=BB140_4 Depth=1
	s_or_b32 exec_lo, exec_lo, s1
	v_add_co_u32 v14, s1, v9, s16
	v_add_co_ci_u32_e64 v15, null, s17, v10, s1
	v_cmp_gt_u64_e64 s1, s[14:15], v[14:15]
	s_and_saveexec_b32 s3, s1
	s_cbranch_execz .LBB140_10
; %bb.9:                                ;   in Loop: Header=BB140_4 Depth=1
	v_add_co_u32 v14, s2, v1, s22
	v_add_co_ci_u32_e64 v15, null, 0, v2, s2
	global_load_dword v12, v[14:15], off
.LBB140_10:                             ;   in Loop: Header=BB140_4 Depth=1
	s_or_b32 exec_lo, exec_lo, s3
	v_add_co_u32 v14, s2, v6, s16
	v_add_co_ci_u32_e64 v15, null, s17, v7, s2
	v_cmp_gt_u64_e64 s2, s[14:15], v[14:15]
	v_mov_b32_e32 v14, 0
	s_and_saveexec_b32 s23, s2
	s_cbranch_execnz .LBB140_15
; %bb.11:                               ;   in Loop: Header=BB140_4 Depth=1
	s_or_b32 exec_lo, exec_lo, s23
	s_and_saveexec_b32 s3, vcc_lo
	s_cbranch_execnz .LBB140_16
.LBB140_12:                             ;   in Loop: Header=BB140_4 Depth=1
	s_or_b32 exec_lo, exec_lo, s3
	s_and_saveexec_b32 s3, s0
	s_cbranch_execnz .LBB140_17
.LBB140_13:                             ;   in Loop: Header=BB140_4 Depth=1
	s_or_b32 exec_lo, exec_lo, s3
	s_and_saveexec_b32 s0, s1
	s_cbranch_execnz .LBB140_18
.LBB140_14:                             ;   in Loop: Header=BB140_4 Depth=1
	s_or_b32 exec_lo, exec_lo, s0
	s_and_saveexec_b32 s0, s2
	s_cbranch_execz .LBB140_3
	s_branch .LBB140_19
.LBB140_15:                             ;   in Loop: Header=BB140_4 Depth=1
	v_add_co_u32 v14, s3, v1, s21
	v_add_co_ci_u32_e64 v15, null, 0, v2, s3
	global_load_dword v14, v[14:15], off
	s_or_b32 exec_lo, exec_lo, s23
	s_and_saveexec_b32 s3, vcc_lo
	s_cbranch_execz .LBB140_12
.LBB140_16:                             ;   in Loop: Header=BB140_4 Depth=1
	s_waitcnt vmcnt(0)
	v_max_i32_e32 v11, s18, v11
	global_store_dword v[1:2], v11, off
	s_or_b32 exec_lo, exec_lo, s3
	s_and_saveexec_b32 s3, s0
	s_cbranch_execz .LBB140_13
.LBB140_17:                             ;   in Loop: Header=BB140_4 Depth=1
	s_waitcnt vmcnt(0)
	v_max_i32_e32 v11, s18, v13
	global_store_dword v[3:4], v11, off
	s_or_b32 exec_lo, exec_lo, s3
	s_and_saveexec_b32 s0, s1
	s_cbranch_execz .LBB140_14
.LBB140_18:                             ;   in Loop: Header=BB140_4 Depth=1
	s_waitcnt vmcnt(0)
	v_add_co_u32 v11, vcc_lo, v1, s22
	v_max_i32_e32 v13, s18, v12
	v_add_co_ci_u32_e64 v12, null, 0, v2, vcc_lo
	global_store_dword v[11:12], v13, off
	s_or_b32 exec_lo, exec_lo, s0
	s_and_saveexec_b32 s0, s2
	s_cbranch_execz .LBB140_3
.LBB140_19:                             ;   in Loop: Header=BB140_4 Depth=1
	s_waitcnt vmcnt(0)
	v_add_co_u32 v11, vcc_lo, v1, s21
	v_max_i32_e32 v13, s18, v14
	v_add_co_ci_u32_e64 v12, null, 0, v2, vcc_lo
	global_store_dword v[11:12], v13, off
	s_branch .LBB140_3
.LBB140_20:
	s_cbranch_execz .LBB140_22
	s_branch .LBB140_25
.LBB140_21:
.LBB140_22:
	v_cmp_gt_i64_e64 s0, 0x10000, s[10:11]
	v_mov_b32_e32 v2, 0
	v_lshlrev_b32_e32 v1, 2, v0
	s_mov_b32 s1, 0
	s_and_b32 s0, s0, exec_lo
	s_cselect_b32 s3, s11, 0
	s_cselect_b32 s2, s10, 0x10000
	s_mov_b32 s0, exec_lo
	v_cmpx_gt_i64_e64 s[2:3], v[1:2]
	s_cbranch_execz .LBB140_25
; %bb.23:
	s_load_dword s0, s[4:5], 0xdd4
	v_lshlrev_b32_e32 v1, 4, v0
	s_waitcnt lgkmcnt(0)
	s_and_b32 s4, s0, 0xffff
	s_add_u32 s0, s6, s8
	s_addc_u32 s5, s7, s9
	v_add_co_u32 v3, s0, s0, v1
	v_add_co_ci_u32_e64 v4, null, s5, 0, s0
	v_mov_b32_e32 v1, v2
	v_add_co_u32 v2, vcc_lo, v3, 8
	v_add_co_ci_u32_e64 v3, null, 0, v4, vcc_lo
	s_lshl_b32 s5, s4, 4
	.p2align	6
.LBB140_24:                             ; =>This Inner Loop Header: Depth=1
	global_load_dwordx4 v[4:7], v[2:3], off offset:-8
	v_add_co_u32 v0, vcc_lo, v0, s4
	v_add_co_ci_u32_e64 v1, null, 0, v1, vcc_lo
	v_lshlrev_b64 v[8:9], 2, v[0:1]
	v_cmp_le_i64_e32 vcc_lo, s[2:3], v[8:9]
	s_or_b32 s1, vcc_lo, s1
	s_waitcnt vmcnt(0)
	v_max_i32_e32 v4, s18, v4
	v_max_i32_e32 v5, s18, v5
	v_max_i32_e32 v6, s18, v6
	v_max_i32_e32 v7, s18, v7
	global_store_dwordx4 v[2:3], v[4:7], off offset:-8
	v_add_co_u32 v2, s0, v2, s5
	v_add_co_ci_u32_e64 v3, null, 0, v3, s0
	s_andn2_b32 exec_lo, exec_lo, s1
	s_cbranch_execnz .LBB140_24
.LBB140_25:
	s_endpgm
	.section	.rodata,"a",@progbits
	.p2align	6, 0x0
	.amdhsa_kernel _ZN2at6native12_GLOBAL__N_125multi_tensor_apply_kernelINS1_28TensorListScalarListMetadataIiLi1EEENS1_25BinaryOpScalarListFunctorIiLi1ELi1ELi0EEEJNS0_7maximumIiEEEEEvT_T0_DpT1_
		.amdhsa_group_segment_fixed_size 0
		.amdhsa_private_segment_fixed_size 0
		.amdhsa_kernarg_size 3784
		.amdhsa_user_sgpr_count 6
		.amdhsa_user_sgpr_private_segment_buffer 1
		.amdhsa_user_sgpr_dispatch_ptr 0
		.amdhsa_user_sgpr_queue_ptr 0
		.amdhsa_user_sgpr_kernarg_segment_ptr 1
		.amdhsa_user_sgpr_dispatch_id 0
		.amdhsa_user_sgpr_flat_scratch_init 0
		.amdhsa_user_sgpr_private_segment_size 0
		.amdhsa_wavefront_size32 1
		.amdhsa_uses_dynamic_stack 0
		.amdhsa_system_sgpr_private_segment_wavefront_offset 0
		.amdhsa_system_sgpr_workgroup_id_x 1
		.amdhsa_system_sgpr_workgroup_id_y 0
		.amdhsa_system_sgpr_workgroup_id_z 0
		.amdhsa_system_sgpr_workgroup_info 0
		.amdhsa_system_vgpr_workitem_id 0
		.amdhsa_next_free_vgpr 16
		.amdhsa_next_free_sgpr 24
		.amdhsa_reserve_vcc 1
		.amdhsa_reserve_flat_scratch 0
		.amdhsa_float_round_mode_32 0
		.amdhsa_float_round_mode_16_64 0
		.amdhsa_float_denorm_mode_32 3
		.amdhsa_float_denorm_mode_16_64 3
		.amdhsa_dx10_clamp 1
		.amdhsa_ieee_mode 1
		.amdhsa_fp16_overflow 0
		.amdhsa_workgroup_processor_mode 1
		.amdhsa_memory_ordered 1
		.amdhsa_forward_progress 1
		.amdhsa_shared_vgpr_count 0
		.amdhsa_exception_fp_ieee_invalid_op 0
		.amdhsa_exception_fp_denorm_src 0
		.amdhsa_exception_fp_ieee_div_zero 0
		.amdhsa_exception_fp_ieee_overflow 0
		.amdhsa_exception_fp_ieee_underflow 0
		.amdhsa_exception_fp_ieee_inexact 0
		.amdhsa_exception_int_div_zero 0
	.end_amdhsa_kernel
	.section	.text._ZN2at6native12_GLOBAL__N_125multi_tensor_apply_kernelINS1_28TensorListScalarListMetadataIiLi1EEENS1_25BinaryOpScalarListFunctorIiLi1ELi1ELi0EEEJNS0_7maximumIiEEEEEvT_T0_DpT1_,"axG",@progbits,_ZN2at6native12_GLOBAL__N_125multi_tensor_apply_kernelINS1_28TensorListScalarListMetadataIiLi1EEENS1_25BinaryOpScalarListFunctorIiLi1ELi1ELi0EEEJNS0_7maximumIiEEEEEvT_T0_DpT1_,comdat
.Lfunc_end140:
	.size	_ZN2at6native12_GLOBAL__N_125multi_tensor_apply_kernelINS1_28TensorListScalarListMetadataIiLi1EEENS1_25BinaryOpScalarListFunctorIiLi1ELi1ELi0EEEJNS0_7maximumIiEEEEEvT_T0_DpT1_, .Lfunc_end140-_ZN2at6native12_GLOBAL__N_125multi_tensor_apply_kernelINS1_28TensorListScalarListMetadataIiLi1EEENS1_25BinaryOpScalarListFunctorIiLi1ELi1ELi0EEEJNS0_7maximumIiEEEEEvT_T0_DpT1_
                                        ; -- End function
	.set _ZN2at6native12_GLOBAL__N_125multi_tensor_apply_kernelINS1_28TensorListScalarListMetadataIiLi1EEENS1_25BinaryOpScalarListFunctorIiLi1ELi1ELi0EEEJNS0_7maximumIiEEEEEvT_T0_DpT1_.num_vgpr, 16
	.set _ZN2at6native12_GLOBAL__N_125multi_tensor_apply_kernelINS1_28TensorListScalarListMetadataIiLi1EEENS1_25BinaryOpScalarListFunctorIiLi1ELi1ELi0EEEJNS0_7maximumIiEEEEEvT_T0_DpT1_.num_agpr, 0
	.set _ZN2at6native12_GLOBAL__N_125multi_tensor_apply_kernelINS1_28TensorListScalarListMetadataIiLi1EEENS1_25BinaryOpScalarListFunctorIiLi1ELi1ELi0EEEJNS0_7maximumIiEEEEEvT_T0_DpT1_.numbered_sgpr, 24
	.set _ZN2at6native12_GLOBAL__N_125multi_tensor_apply_kernelINS1_28TensorListScalarListMetadataIiLi1EEENS1_25BinaryOpScalarListFunctorIiLi1ELi1ELi0EEEJNS0_7maximumIiEEEEEvT_T0_DpT1_.num_named_barrier, 0
	.set _ZN2at6native12_GLOBAL__N_125multi_tensor_apply_kernelINS1_28TensorListScalarListMetadataIiLi1EEENS1_25BinaryOpScalarListFunctorIiLi1ELi1ELi0EEEJNS0_7maximumIiEEEEEvT_T0_DpT1_.private_seg_size, 0
	.set _ZN2at6native12_GLOBAL__N_125multi_tensor_apply_kernelINS1_28TensorListScalarListMetadataIiLi1EEENS1_25BinaryOpScalarListFunctorIiLi1ELi1ELi0EEEJNS0_7maximumIiEEEEEvT_T0_DpT1_.uses_vcc, 1
	.set _ZN2at6native12_GLOBAL__N_125multi_tensor_apply_kernelINS1_28TensorListScalarListMetadataIiLi1EEENS1_25BinaryOpScalarListFunctorIiLi1ELi1ELi0EEEJNS0_7maximumIiEEEEEvT_T0_DpT1_.uses_flat_scratch, 0
	.set _ZN2at6native12_GLOBAL__N_125multi_tensor_apply_kernelINS1_28TensorListScalarListMetadataIiLi1EEENS1_25BinaryOpScalarListFunctorIiLi1ELi1ELi0EEEJNS0_7maximumIiEEEEEvT_T0_DpT1_.has_dyn_sized_stack, 0
	.set _ZN2at6native12_GLOBAL__N_125multi_tensor_apply_kernelINS1_28TensorListScalarListMetadataIiLi1EEENS1_25BinaryOpScalarListFunctorIiLi1ELi1ELi0EEEJNS0_7maximumIiEEEEEvT_T0_DpT1_.has_recursion, 0
	.set _ZN2at6native12_GLOBAL__N_125multi_tensor_apply_kernelINS1_28TensorListScalarListMetadataIiLi1EEENS1_25BinaryOpScalarListFunctorIiLi1ELi1ELi0EEEJNS0_7maximumIiEEEEEvT_T0_DpT1_.has_indirect_call, 0
	.section	.AMDGPU.csdata,"",@progbits
; Kernel info:
; codeLenInByte = 1184
; TotalNumSgprs: 26
; NumVgprs: 16
; ScratchSize: 0
; MemoryBound: 0
; FloatMode: 240
; IeeeMode: 1
; LDSByteSize: 0 bytes/workgroup (compile time only)
; SGPRBlocks: 0
; VGPRBlocks: 1
; NumSGPRsForWavesPerEU: 26
; NumVGPRsForWavesPerEU: 16
; Occupancy: 16
; WaveLimiterHint : 0
; COMPUTE_PGM_RSRC2:SCRATCH_EN: 0
; COMPUTE_PGM_RSRC2:USER_SGPR: 6
; COMPUTE_PGM_RSRC2:TRAP_HANDLER: 0
; COMPUTE_PGM_RSRC2:TGID_X_EN: 1
; COMPUTE_PGM_RSRC2:TGID_Y_EN: 0
; COMPUTE_PGM_RSRC2:TGID_Z_EN: 0
; COMPUTE_PGM_RSRC2:TIDIG_COMP_CNT: 0
	.section	.text._ZN2at6native12_GLOBAL__N_125multi_tensor_apply_kernelINS1_28TensorListScalarListMetadataIlLi1EEENS1_25BinaryOpScalarListFunctorIlLi1ELi1ELi0EEEJNS0_7maximumIlEEEEEvT_T0_DpT1_,"axG",@progbits,_ZN2at6native12_GLOBAL__N_125multi_tensor_apply_kernelINS1_28TensorListScalarListMetadataIlLi1EEENS1_25BinaryOpScalarListFunctorIlLi1ELi1ELi0EEEJNS0_7maximumIlEEEEEvT_T0_DpT1_,comdat
	.globl	_ZN2at6native12_GLOBAL__N_125multi_tensor_apply_kernelINS1_28TensorListScalarListMetadataIlLi1EEENS1_25BinaryOpScalarListFunctorIlLi1ELi1ELi0EEEJNS0_7maximumIlEEEEEvT_T0_DpT1_ ; -- Begin function _ZN2at6native12_GLOBAL__N_125multi_tensor_apply_kernelINS1_28TensorListScalarListMetadataIlLi1EEENS1_25BinaryOpScalarListFunctorIlLi1ELi1ELi0EEEJNS0_7maximumIlEEEEEvT_T0_DpT1_
	.p2align	8
	.type	_ZN2at6native12_GLOBAL__N_125multi_tensor_apply_kernelINS1_28TensorListScalarListMetadataIlLi1EEENS1_25BinaryOpScalarListFunctorIlLi1ELi1ELi0EEEJNS0_7maximumIlEEEEEvT_T0_DpT1_,@function
_ZN2at6native12_GLOBAL__N_125multi_tensor_apply_kernelINS1_28TensorListScalarListMetadataIlLi1EEENS1_25BinaryOpScalarListFunctorIlLi1ELi1ELi0EEEJNS0_7maximumIlEEEEEvT_T0_DpT1_: ; @_ZN2at6native12_GLOBAL__N_125multi_tensor_apply_kernelINS1_28TensorListScalarListMetadataIlLi1EEENS1_25BinaryOpScalarListFunctorIlLi1ELi1ELi0EEEJNS0_7maximumIlEEEEEvT_T0_DpT1_
; %bb.0:
	v_mov_b32_e32 v1, 0x800
	s_add_u32 s0, s4, s6
	s_addc_u32 s1, s5, 0
	s_mov_b32 s7, 0
	global_load_ubyte v1, v1, s[0:1] offset:256
	s_lshl_b64 s[0:1], s[6:7], 2
	s_add_u32 s0, s4, s0
	s_addc_u32 s1, s5, s1
	s_load_dword s0, s[0:1], 0xa40
	s_waitcnt vmcnt(0)
	v_readfirstlane_b32 s2, v1
	s_lshl_b32 s1, s2, 3
	s_clause 0x2
	s_load_dwordx2 s[8:9], s[4:5], s1 offset:0x600
	s_load_dwordx2 s[10:11], s[4:5], s1 offset:0x0
	s_load_dwordx2 s[2:3], s[4:5], s1 offset:0x300
	s_waitcnt lgkmcnt(0)
	s_ashr_i32 s1, s0, 31
	s_lshl_b64 s[12:13], s[0:1], 19
	s_lshl_b64 s[0:1], s[0:1], 16
	s_and_b32 s6, s10, 31
	s_sub_u32 s14, s2, s0
	s_subb_u32 s15, s3, s1
	s_and_b32 s0, s2, 3
	s_mov_b32 s1, s7
	s_or_b64 s[0:1], s[6:7], s[0:1]
	s_cmp_eq_u64 s[0:1], 0
	s_cbranch_scc1 .LBB141_21
; %bb.1:
	v_cmp_lt_i64_e64 s0, s[14:15], 1
	s_and_b32 vcc_lo, exec_lo, s0
	s_cbranch_vccnz .LBB141_20
; %bb.2:
	s_load_dword s0, s[4:5], 0xf54
	v_cmp_gt_i64_e64 s1, 0x10000, s[14:15]
	v_cmp_gt_u64_e64 s2, 0x10000, s[14:15]
	v_lshlrev_b32_e32 v1, 3, v0
	s_and_b32 s1, s1, exec_lo
	s_cselect_b32 s7, s15, 0
	s_cselect_b32 s6, s14, 0x10000
	s_waitcnt lgkmcnt(0)
	s_and_b32 s0, s0, 0xffff
	s_and_b32 s1, s2, exec_lo
	v_add_co_u32 v13, s3, v0, s0
	s_cselect_b32 s17, s15, 0
	s_cselect_b32 s16, s14, 0x10000
	s_lshl_b32 s1, s0, 1
	v_lshlrev_b32_e32 v3, 3, v13
	s_mul_i32 s2, s0, 3
	s_lshl_b32 s20, s0, 2
	s_add_u32 s18, s10, s12
	v_add_co_u32 v14, s2, s2, v0
	v_add_co_u32 v17, s1, s1, v0
	s_addc_u32 s19, s11, s13
	v_add_co_ci_u32_e64 v15, null, 0, 0, s2
	v_add_co_u32 v1, s2, s18, v1
	v_add_co_ci_u32_e64 v18, null, 0, 0, s1
	v_add_co_u32 v3, s1, s18, v3
	v_add_co_ci_u32_e64 v2, null, s19, 0, s2
	v_add_co_ci_u32_e64 v16, null, 0, 0, s3
	;; [unrolled: 1-line block ×3, first 2 shown]
	s_lshl_b32 s21, s0, 5
	s_mul_i32 s22, s0, 24
	s_lshl_b32 s23, s0, 4
	s_mov_b64 s[18:19], 0
	s_branch .LBB141_4
.LBB141_3:                              ;   in Loop: Header=BB141_4 Depth=1
	s_or_b32 exec_lo, exec_lo, s0
	s_add_u32 s18, s18, s20
	s_addc_u32 s19, s19, 0
	v_add_co_u32 v1, vcc_lo, v1, s21
	v_cmp_lt_i64_e64 s0, s[18:19], s[6:7]
	v_add_co_ci_u32_e64 v2, null, 0, v2, vcc_lo
	v_add_co_u32 v3, vcc_lo, v3, s21
	v_add_co_ci_u32_e64 v4, null, 0, v4, vcc_lo
	s_and_b32 vcc_lo, exec_lo, s0
	s_cbranch_vccz .LBB141_20
.LBB141_4:                              ; =>This Inner Loop Header: Depth=1
	s_waitcnt vmcnt(0)
	v_add_co_u32 v7, s0, v0, s18
	v_add_co_ci_u32_e64 v8, null, 0, s19, s0
	v_mov_b32_e32 v5, 0
	v_mov_b32_e32 v9, 0
	v_mov_b32_e32 v6, 0
	v_cmp_gt_u64_e32 vcc_lo, s[16:17], v[7:8]
	v_mov_b32_e32 v10, 0
	s_and_saveexec_b32 s0, vcc_lo
	s_cbranch_execz .LBB141_6
; %bb.5:                                ;   in Loop: Header=BB141_4 Depth=1
	global_load_dwordx2 v[9:10], v[1:2], off
.LBB141_6:                              ;   in Loop: Header=BB141_4 Depth=1
	s_or_b32 exec_lo, exec_lo, s0
	v_add_co_u32 v7, s0, v13, s18
	v_add_co_ci_u32_e64 v8, null, s19, v16, s0
	v_cmp_gt_u64_e64 s0, s[16:17], v[7:8]
	s_and_saveexec_b32 s1, s0
	s_cbranch_execz .LBB141_8
; %bb.7:                                ;   in Loop: Header=BB141_4 Depth=1
	global_load_dwordx2 v[5:6], v[3:4], off
.LBB141_8:                              ;   in Loop: Header=BB141_4 Depth=1
	s_or_b32 exec_lo, exec_lo, s1
	v_add_co_u32 v11, s1, v17, s18
	v_add_co_ci_u32_e64 v12, null, s19, v18, s1
	v_mov_b32_e32 v7, 0
	v_mov_b32_e32 v8, 0
	v_cmp_gt_u64_e64 s1, s[16:17], v[11:12]
	v_mov_b32_e32 v11, 0
	v_mov_b32_e32 v12, 0
	s_and_saveexec_b32 s3, s1
	s_cbranch_execz .LBB141_10
; %bb.9:                                ;   in Loop: Header=BB141_4 Depth=1
	v_add_co_u32 v11, s2, v1, s23
	v_add_co_ci_u32_e64 v12, null, 0, v2, s2
	global_load_dwordx2 v[11:12], v[11:12], off
.LBB141_10:                             ;   in Loop: Header=BB141_4 Depth=1
	s_or_b32 exec_lo, exec_lo, s3
	v_add_co_u32 v19, s2, v14, s18
	v_add_co_ci_u32_e64 v20, null, s19, v15, s2
	v_cmp_gt_u64_e64 s2, s[16:17], v[19:20]
	s_and_saveexec_b32 s24, s2
	s_cbranch_execnz .LBB141_15
; %bb.11:                               ;   in Loop: Header=BB141_4 Depth=1
	s_or_b32 exec_lo, exec_lo, s24
	s_and_saveexec_b32 s3, vcc_lo
	s_cbranch_execnz .LBB141_16
.LBB141_12:                             ;   in Loop: Header=BB141_4 Depth=1
	s_or_b32 exec_lo, exec_lo, s3
	s_and_saveexec_b32 s3, s0
	s_cbranch_execnz .LBB141_17
.LBB141_13:                             ;   in Loop: Header=BB141_4 Depth=1
	s_or_b32 exec_lo, exec_lo, s3
	s_and_saveexec_b32 s0, s1
	s_cbranch_execnz .LBB141_18
.LBB141_14:                             ;   in Loop: Header=BB141_4 Depth=1
	s_or_b32 exec_lo, exec_lo, s0
	s_and_saveexec_b32 s0, s2
	s_cbranch_execz .LBB141_3
	s_branch .LBB141_19
.LBB141_15:                             ;   in Loop: Header=BB141_4 Depth=1
	v_add_co_u32 v7, s3, v1, s22
	v_add_co_ci_u32_e64 v8, null, 0, v2, s3
	global_load_dwordx2 v[7:8], v[7:8], off
	s_or_b32 exec_lo, exec_lo, s24
	s_and_saveexec_b32 s3, vcc_lo
	s_cbranch_execz .LBB141_12
.LBB141_16:                             ;   in Loop: Header=BB141_4 Depth=1
	s_waitcnt vmcnt(0)
	v_cmp_lt_i64_e32 vcc_lo, s[8:9], v[9:10]
	v_cndmask_b32_e32 v10, s9, v10, vcc_lo
	v_cndmask_b32_e32 v9, s8, v9, vcc_lo
	global_store_dwordx2 v[1:2], v[9:10], off
	s_or_b32 exec_lo, exec_lo, s3
	s_and_saveexec_b32 s3, s0
	s_cbranch_execz .LBB141_13
.LBB141_17:                             ;   in Loop: Header=BB141_4 Depth=1
	s_waitcnt vmcnt(0)
	v_cmp_lt_i64_e32 vcc_lo, s[8:9], v[5:6]
	v_cndmask_b32_e32 v6, s9, v6, vcc_lo
	v_cndmask_b32_e32 v5, s8, v5, vcc_lo
	global_store_dwordx2 v[3:4], v[5:6], off
	s_or_b32 exec_lo, exec_lo, s3
	s_and_saveexec_b32 s0, s1
	s_cbranch_execz .LBB141_14
.LBB141_18:                             ;   in Loop: Header=BB141_4 Depth=1
	s_waitcnt vmcnt(0)
	v_cmp_lt_i64_e32 vcc_lo, s[8:9], v[11:12]
	v_cndmask_b32_e32 v6, s9, v12, vcc_lo
	v_cndmask_b32_e32 v5, s8, v11, vcc_lo
	v_add_co_u32 v9, vcc_lo, v1, s23
	v_add_co_ci_u32_e64 v10, null, 0, v2, vcc_lo
	global_store_dwordx2 v[9:10], v[5:6], off
	s_or_b32 exec_lo, exec_lo, s0
	s_and_saveexec_b32 s0, s2
	s_cbranch_execz .LBB141_3
.LBB141_19:                             ;   in Loop: Header=BB141_4 Depth=1
	s_waitcnt vmcnt(0)
	v_cmp_lt_i64_e32 vcc_lo, s[8:9], v[7:8]
	v_cndmask_b32_e32 v6, s9, v8, vcc_lo
	v_cndmask_b32_e32 v5, s8, v7, vcc_lo
	v_add_co_u32 v7, vcc_lo, v1, s22
	v_add_co_ci_u32_e64 v8, null, 0, v2, vcc_lo
	global_store_dwordx2 v[7:8], v[5:6], off
	s_branch .LBB141_3
.LBB141_20:
	s_cbranch_execz .LBB141_22
	s_branch .LBB141_25
.LBB141_21:
.LBB141_22:
	v_cmp_gt_i64_e64 s0, 0x10000, s[14:15]
	v_mov_b32_e32 v2, 0
	v_lshlrev_b32_e32 v1, 2, v0
	s_mov_b32 s3, 0
	s_and_b32 s0, s0, exec_lo
	s_cselect_b32 s7, s15, 0
	s_cselect_b32 s6, s14, 0x10000
	s_mov_b32 s0, exec_lo
	v_cmpx_gt_i64_e64 s[6:7], v[1:2]
	s_cbranch_execz .LBB141_25
; %bb.23:
	s_load_dword s0, s[4:5], 0xf54
	v_lshlrev_b32_e32 v1, 5, v0
	s_waitcnt lgkmcnt(0)
	s_and_b32 s4, s0, 0xffff
	s_add_u32 s0, s10, s12
	s_addc_u32 s1, s11, s13
	v_add_co_u32 v3, s0, s0, v1
	v_add_co_ci_u32_e64 v4, null, s1, 0, s0
	v_mov_b32_e32 v1, v2
	v_add_co_u32 v2, vcc_lo, v3, 16
	v_add_co_ci_u32_e64 v3, null, 0, v4, vcc_lo
	s_lshl_b32 s5, s4, 5
	s_inst_prefetch 0x1
	.p2align	6
.LBB141_24:                             ; =>This Inner Loop Header: Depth=1
	s_clause 0x1
	global_load_dwordx4 v[4:7], v[2:3], off offset:-16
	global_load_dwordx4 v[8:11], v[2:3], off
	v_add_co_u32 v0, vcc_lo, v0, s4
	v_add_co_ci_u32_e64 v1, null, 0, v1, vcc_lo
	s_waitcnt vmcnt(2)
	v_lshlrev_b64 v[12:13], 2, v[0:1]
	s_waitcnt vmcnt(1)
	v_cmp_lt_i64_e32 vcc_lo, s[8:9], v[4:5]
	v_cmp_lt_i64_e64 s0, s[8:9], v[6:7]
	s_waitcnt vmcnt(0)
	v_cmp_lt_i64_e64 s1, s[8:9], v[8:9]
	v_cmp_lt_i64_e64 s2, s[8:9], v[10:11]
	v_cndmask_b32_e32 v5, s9, v5, vcc_lo
	v_cndmask_b32_e64 v7, s9, v7, s0
	v_cndmask_b32_e32 v4, s8, v4, vcc_lo
	v_cndmask_b32_e64 v6, s8, v6, s0
	v_cndmask_b32_e64 v9, s9, v9, s1
	;; [unrolled: 1-line block ×5, first 2 shown]
	v_cmp_le_i64_e32 vcc_lo, s[6:7], v[12:13]
	global_store_dwordx4 v[2:3], v[4:7], off offset:-16
	global_store_dwordx4 v[2:3], v[8:11], off
	v_add_co_u32 v2, s0, v2, s5
	v_add_co_ci_u32_e64 v3, null, 0, v3, s0
	s_or_b32 s3, vcc_lo, s3
	s_andn2_b32 exec_lo, exec_lo, s3
	s_cbranch_execnz .LBB141_24
.LBB141_25:
	s_inst_prefetch 0x2
	s_endpgm
	.section	.rodata,"a",@progbits
	.p2align	6, 0x0
	.amdhsa_kernel _ZN2at6native12_GLOBAL__N_125multi_tensor_apply_kernelINS1_28TensorListScalarListMetadataIlLi1EEENS1_25BinaryOpScalarListFunctorIlLi1ELi1ELi0EEEJNS0_7maximumIlEEEEEvT_T0_DpT1_
		.amdhsa_group_segment_fixed_size 0
		.amdhsa_private_segment_fixed_size 0
		.amdhsa_kernarg_size 4168
		.amdhsa_user_sgpr_count 6
		.amdhsa_user_sgpr_private_segment_buffer 1
		.amdhsa_user_sgpr_dispatch_ptr 0
		.amdhsa_user_sgpr_queue_ptr 0
		.amdhsa_user_sgpr_kernarg_segment_ptr 1
		.amdhsa_user_sgpr_dispatch_id 0
		.amdhsa_user_sgpr_flat_scratch_init 0
		.amdhsa_user_sgpr_private_segment_size 0
		.amdhsa_wavefront_size32 1
		.amdhsa_uses_dynamic_stack 0
		.amdhsa_system_sgpr_private_segment_wavefront_offset 0
		.amdhsa_system_sgpr_workgroup_id_x 1
		.amdhsa_system_sgpr_workgroup_id_y 0
		.amdhsa_system_sgpr_workgroup_id_z 0
		.amdhsa_system_sgpr_workgroup_info 0
		.amdhsa_system_vgpr_workitem_id 0
		.amdhsa_next_free_vgpr 21
		.amdhsa_next_free_sgpr 25
		.amdhsa_reserve_vcc 1
		.amdhsa_reserve_flat_scratch 0
		.amdhsa_float_round_mode_32 0
		.amdhsa_float_round_mode_16_64 0
		.amdhsa_float_denorm_mode_32 3
		.amdhsa_float_denorm_mode_16_64 3
		.amdhsa_dx10_clamp 1
		.amdhsa_ieee_mode 1
		.amdhsa_fp16_overflow 0
		.amdhsa_workgroup_processor_mode 1
		.amdhsa_memory_ordered 1
		.amdhsa_forward_progress 1
		.amdhsa_shared_vgpr_count 0
		.amdhsa_exception_fp_ieee_invalid_op 0
		.amdhsa_exception_fp_denorm_src 0
		.amdhsa_exception_fp_ieee_div_zero 0
		.amdhsa_exception_fp_ieee_overflow 0
		.amdhsa_exception_fp_ieee_underflow 0
		.amdhsa_exception_fp_ieee_inexact 0
		.amdhsa_exception_int_div_zero 0
	.end_amdhsa_kernel
	.section	.text._ZN2at6native12_GLOBAL__N_125multi_tensor_apply_kernelINS1_28TensorListScalarListMetadataIlLi1EEENS1_25BinaryOpScalarListFunctorIlLi1ELi1ELi0EEEJNS0_7maximumIlEEEEEvT_T0_DpT1_,"axG",@progbits,_ZN2at6native12_GLOBAL__N_125multi_tensor_apply_kernelINS1_28TensorListScalarListMetadataIlLi1EEENS1_25BinaryOpScalarListFunctorIlLi1ELi1ELi0EEEJNS0_7maximumIlEEEEEvT_T0_DpT1_,comdat
.Lfunc_end141:
	.size	_ZN2at6native12_GLOBAL__N_125multi_tensor_apply_kernelINS1_28TensorListScalarListMetadataIlLi1EEENS1_25BinaryOpScalarListFunctorIlLi1ELi1ELi0EEEJNS0_7maximumIlEEEEEvT_T0_DpT1_, .Lfunc_end141-_ZN2at6native12_GLOBAL__N_125multi_tensor_apply_kernelINS1_28TensorListScalarListMetadataIlLi1EEENS1_25BinaryOpScalarListFunctorIlLi1ELi1ELi0EEEJNS0_7maximumIlEEEEEvT_T0_DpT1_
                                        ; -- End function
	.set _ZN2at6native12_GLOBAL__N_125multi_tensor_apply_kernelINS1_28TensorListScalarListMetadataIlLi1EEENS1_25BinaryOpScalarListFunctorIlLi1ELi1ELi0EEEJNS0_7maximumIlEEEEEvT_T0_DpT1_.num_vgpr, 21
	.set _ZN2at6native12_GLOBAL__N_125multi_tensor_apply_kernelINS1_28TensorListScalarListMetadataIlLi1EEENS1_25BinaryOpScalarListFunctorIlLi1ELi1ELi0EEEJNS0_7maximumIlEEEEEvT_T0_DpT1_.num_agpr, 0
	.set _ZN2at6native12_GLOBAL__N_125multi_tensor_apply_kernelINS1_28TensorListScalarListMetadataIlLi1EEENS1_25BinaryOpScalarListFunctorIlLi1ELi1ELi0EEEJNS0_7maximumIlEEEEEvT_T0_DpT1_.numbered_sgpr, 25
	.set _ZN2at6native12_GLOBAL__N_125multi_tensor_apply_kernelINS1_28TensorListScalarListMetadataIlLi1EEENS1_25BinaryOpScalarListFunctorIlLi1ELi1ELi0EEEJNS0_7maximumIlEEEEEvT_T0_DpT1_.num_named_barrier, 0
	.set _ZN2at6native12_GLOBAL__N_125multi_tensor_apply_kernelINS1_28TensorListScalarListMetadataIlLi1EEENS1_25BinaryOpScalarListFunctorIlLi1ELi1ELi0EEEJNS0_7maximumIlEEEEEvT_T0_DpT1_.private_seg_size, 0
	.set _ZN2at6native12_GLOBAL__N_125multi_tensor_apply_kernelINS1_28TensorListScalarListMetadataIlLi1EEENS1_25BinaryOpScalarListFunctorIlLi1ELi1ELi0EEEJNS0_7maximumIlEEEEEvT_T0_DpT1_.uses_vcc, 1
	.set _ZN2at6native12_GLOBAL__N_125multi_tensor_apply_kernelINS1_28TensorListScalarListMetadataIlLi1EEENS1_25BinaryOpScalarListFunctorIlLi1ELi1ELi0EEEJNS0_7maximumIlEEEEEvT_T0_DpT1_.uses_flat_scratch, 0
	.set _ZN2at6native12_GLOBAL__N_125multi_tensor_apply_kernelINS1_28TensorListScalarListMetadataIlLi1EEENS1_25BinaryOpScalarListFunctorIlLi1ELi1ELi0EEEJNS0_7maximumIlEEEEEvT_T0_DpT1_.has_dyn_sized_stack, 0
	.set _ZN2at6native12_GLOBAL__N_125multi_tensor_apply_kernelINS1_28TensorListScalarListMetadataIlLi1EEENS1_25BinaryOpScalarListFunctorIlLi1ELi1ELi0EEEJNS0_7maximumIlEEEEEvT_T0_DpT1_.has_recursion, 0
	.set _ZN2at6native12_GLOBAL__N_125multi_tensor_apply_kernelINS1_28TensorListScalarListMetadataIlLi1EEENS1_25BinaryOpScalarListFunctorIlLi1ELi1ELi0EEEJNS0_7maximumIlEEEEEvT_T0_DpT1_.has_indirect_call, 0
	.section	.AMDGPU.csdata,"",@progbits
; Kernel info:
; codeLenInByte = 1220
; TotalNumSgprs: 27
; NumVgprs: 21
; ScratchSize: 0
; MemoryBound: 0
; FloatMode: 240
; IeeeMode: 1
; LDSByteSize: 0 bytes/workgroup (compile time only)
; SGPRBlocks: 0
; VGPRBlocks: 2
; NumSGPRsForWavesPerEU: 27
; NumVGPRsForWavesPerEU: 21
; Occupancy: 16
; WaveLimiterHint : 1
; COMPUTE_PGM_RSRC2:SCRATCH_EN: 0
; COMPUTE_PGM_RSRC2:USER_SGPR: 6
; COMPUTE_PGM_RSRC2:TRAP_HANDLER: 0
; COMPUTE_PGM_RSRC2:TGID_X_EN: 1
; COMPUTE_PGM_RSRC2:TGID_Y_EN: 0
; COMPUTE_PGM_RSRC2:TGID_Z_EN: 0
; COMPUTE_PGM_RSRC2:TIDIG_COMP_CNT: 0
	.section	.text._ZN2at6native12_GLOBAL__N_125multi_tensor_apply_kernelINS1_28TensorListScalarListMetadataIsLi1EEENS1_25BinaryOpScalarListFunctorIsLi1ELi1ELi0EEEJNS0_7maximumIsEEEEEvT_T0_DpT1_,"axG",@progbits,_ZN2at6native12_GLOBAL__N_125multi_tensor_apply_kernelINS1_28TensorListScalarListMetadataIsLi1EEENS1_25BinaryOpScalarListFunctorIsLi1ELi1ELi0EEEJNS0_7maximumIsEEEEEvT_T0_DpT1_,comdat
	.globl	_ZN2at6native12_GLOBAL__N_125multi_tensor_apply_kernelINS1_28TensorListScalarListMetadataIsLi1EEENS1_25BinaryOpScalarListFunctorIsLi1ELi1ELi0EEEJNS0_7maximumIsEEEEEvT_T0_DpT1_ ; -- Begin function _ZN2at6native12_GLOBAL__N_125multi_tensor_apply_kernelINS1_28TensorListScalarListMetadataIsLi1EEENS1_25BinaryOpScalarListFunctorIsLi1ELi1ELi0EEEJNS0_7maximumIsEEEEEvT_T0_DpT1_
	.p2align	8
	.type	_ZN2at6native12_GLOBAL__N_125multi_tensor_apply_kernelINS1_28TensorListScalarListMetadataIsLi1EEENS1_25BinaryOpScalarListFunctorIsLi1ELi1ELi0EEEJNS0_7maximumIsEEEEEvT_T0_DpT1_,@function
_ZN2at6native12_GLOBAL__N_125multi_tensor_apply_kernelINS1_28TensorListScalarListMetadataIsLi1EEENS1_25BinaryOpScalarListFunctorIsLi1ELi1ELi0EEEJNS0_7maximumIsEEEEEvT_T0_DpT1_: ; @_ZN2at6native12_GLOBAL__N_125multi_tensor_apply_kernelINS1_28TensorListScalarListMetadataIsLi1EEENS1_25BinaryOpScalarListFunctorIsLi1ELi1ELi0EEEJNS0_7maximumIsEEEEEvT_T0_DpT1_
; %bb.0:
	v_mov_b32_e32 v1, s6
	s_add_u32 s0, s4, s6
	s_mul_i32 s1, s6, 3
	s_mul_hi_u32 s2, s6, 3
	s_addc_u32 s3, s5, 0
	global_load_ubyte v1, v1, s[4:5] offset:1728
	s_add_u32 s0, s0, s1
	s_addc_u32 s1, s3, s2
	s_mov_b32 s13, 0
	s_load_dword s0, s[0:1], 0x800
	s_waitcnt vmcnt(0)
	v_readfirstlane_b32 s1, v1
	v_mul_lo_u32 v2, v1, -6
	v_mul_hi_i32 v3, v1, -6
	s_lshl_b32 s6, s1, 3
	s_waitcnt lgkmcnt(0)
	s_ashr_i32 s1, s0, 31
	s_add_u32 s7, s4, s6
	s_addc_u32 s8, s5, 0
	v_add_co_u32 v1, vcc_lo, s7, v2
	v_add_co_ci_u32_e64 v2, null, s8, v3, vcc_lo
	s_load_dwordx2 s[2:3], s[4:5], s6 offset:0x300
	s_lshl_b64 s[8:9], s[0:1], 17
	s_lshl_b64 s[0:1], s[0:1], 16
	global_load_ushort v5, v[1:2], off offset:1536
	s_load_dwordx2 s[6:7], s[4:5], s6 offset:0x0
	s_waitcnt lgkmcnt(0)
	s_and_b32 s12, s6, 7
	s_sub_u32 s10, s2, s0
	s_subb_u32 s11, s3, s1
	s_and_b32 s0, s2, 3
	s_mov_b32 s1, s13
	s_or_b64 s[0:1], s[12:13], s[0:1]
	s_cmp_eq_u64 s[0:1], 0
	s_cbranch_scc1 .LBB142_21
; %bb.1:
	v_cmp_lt_i64_e64 s0, s[10:11], 1
	s_and_b32 vcc_lo, exec_lo, s0
	s_cbranch_vccnz .LBB142_20
; %bb.2:
	s_load_dword s0, s[4:5], 0xd14
	v_cmp_gt_i64_e64 s1, 0x10000, s[10:11]
	v_cmp_gt_u64_e64 s2, 0x10000, s[10:11]
	v_lshlrev_b32_e32 v1, 1, v0
	s_and_b32 s1, s1, exec_lo
	s_cselect_b32 s13, s11, 0
	s_cselect_b32 s12, s10, 0x10000
	s_waitcnt lgkmcnt(0)
	s_and_b32 s0, s0, 0xffff
	s_and_b32 s1, s2, exec_lo
	v_add_co_u32 v6, s3, v0, s0
	s_cselect_b32 s15, s11, 0
	s_cselect_b32 s14, s10, 0x10000
	s_lshl_b32 s1, s0, 1
	v_lshlrev_b32_e32 v3, 1, v6
	s_mul_i32 s2, s0, 3
	s_lshl_b32 s18, s0, 2
	s_add_u32 s16, s6, s8
	v_add_co_u32 v7, s2, s2, v0
	v_add_co_u32 v10, s1, s1, v0
	s_addc_u32 s17, s7, s9
	v_add_co_ci_u32_e64 v8, null, 0, 0, s2
	v_add_co_u32 v1, s2, s16, v1
	v_add_co_ci_u32_e64 v11, null, 0, 0, s1
	v_add_co_u32 v3, s1, s16, v3
	v_add_co_ci_u32_e64 v2, null, s17, 0, s2
	v_add_co_ci_u32_e64 v9, null, 0, 0, s3
	;; [unrolled: 1-line block ×3, first 2 shown]
	s_lshl_b32 s19, s0, 3
	s_mul_i32 s20, s0, 6
	s_mov_b64 s[16:17], 0
	s_branch .LBB142_4
.LBB142_3:                              ;   in Loop: Header=BB142_4 Depth=1
	s_or_b32 exec_lo, exec_lo, s0
	s_add_u32 s16, s16, s18
	s_addc_u32 s17, s17, 0
	v_add_co_u32 v1, vcc_lo, v1, s19
	v_cmp_lt_i64_e64 s0, s[16:17], s[12:13]
	v_add_co_ci_u32_e64 v2, null, 0, v2, vcc_lo
	v_add_co_u32 v3, vcc_lo, v3, s19
	v_add_co_ci_u32_e64 v4, null, 0, v4, vcc_lo
	s_and_b32 vcc_lo, exec_lo, s0
	s_cbranch_vccz .LBB142_20
.LBB142_4:                              ; =>This Inner Loop Header: Depth=1
	s_waitcnt vmcnt(0)
	v_add_co_u32 v12, s0, v0, s16
	v_add_co_ci_u32_e64 v13, null, 0, s17, s0
	v_cmp_gt_u64_e32 vcc_lo, s[14:15], v[12:13]
	v_mov_b32_e32 v12, 0
	s_and_saveexec_b32 s0, vcc_lo
	s_cbranch_execz .LBB142_6
; %bb.5:                                ;   in Loop: Header=BB142_4 Depth=1
	global_load_ushort v12, v[1:2], off
.LBB142_6:                              ;   in Loop: Header=BB142_4 Depth=1
	s_or_b32 exec_lo, exec_lo, s0
	v_add_co_u32 v13, s0, v6, s16
	v_add_co_ci_u32_e64 v14, null, s17, v9, s0
	v_cmp_gt_u64_e64 s0, s[14:15], v[13:14]
	v_mov_b32_e32 v13, 0
	v_mov_b32_e32 v14, 0
	s_and_saveexec_b32 s1, s0
	s_cbranch_execz .LBB142_8
; %bb.7:                                ;   in Loop: Header=BB142_4 Depth=1
	global_load_ushort v14, v[3:4], off
.LBB142_8:                              ;   in Loop: Header=BB142_4 Depth=1
	s_or_b32 exec_lo, exec_lo, s1
	v_add_co_u32 v15, s1, v10, s16
	v_add_co_ci_u32_e64 v16, null, s17, v11, s1
	v_cmp_gt_u64_e64 s1, s[14:15], v[15:16]
	s_and_saveexec_b32 s3, s1
	s_cbranch_execz .LBB142_10
; %bb.9:                                ;   in Loop: Header=BB142_4 Depth=1
	v_add_co_u32 v15, s2, v1, s18
	v_add_co_ci_u32_e64 v16, null, 0, v2, s2
	global_load_ushort v13, v[15:16], off
.LBB142_10:                             ;   in Loop: Header=BB142_4 Depth=1
	s_or_b32 exec_lo, exec_lo, s3
	v_add_co_u32 v15, s2, v7, s16
	v_add_co_ci_u32_e64 v16, null, s17, v8, s2
	v_cmp_gt_u64_e64 s2, s[14:15], v[15:16]
	v_mov_b32_e32 v15, 0
	s_and_saveexec_b32 s21, s2
	s_cbranch_execnz .LBB142_15
; %bb.11:                               ;   in Loop: Header=BB142_4 Depth=1
	s_or_b32 exec_lo, exec_lo, s21
	s_and_saveexec_b32 s3, vcc_lo
	s_cbranch_execnz .LBB142_16
.LBB142_12:                             ;   in Loop: Header=BB142_4 Depth=1
	s_or_b32 exec_lo, exec_lo, s3
	s_and_saveexec_b32 s3, s0
	s_cbranch_execnz .LBB142_17
.LBB142_13:                             ;   in Loop: Header=BB142_4 Depth=1
	s_or_b32 exec_lo, exec_lo, s3
	s_and_saveexec_b32 s0, s1
	s_cbranch_execnz .LBB142_18
.LBB142_14:                             ;   in Loop: Header=BB142_4 Depth=1
	s_or_b32 exec_lo, exec_lo, s0
	s_and_saveexec_b32 s0, s2
	s_cbranch_execz .LBB142_3
	s_branch .LBB142_19
.LBB142_15:                             ;   in Loop: Header=BB142_4 Depth=1
	v_add_co_u32 v15, s3, v1, s20
	v_add_co_ci_u32_e64 v16, null, 0, v2, s3
	global_load_ushort v15, v[15:16], off
	s_or_b32 exec_lo, exec_lo, s21
	s_and_saveexec_b32 s3, vcc_lo
	s_cbranch_execz .LBB142_12
.LBB142_16:                             ;   in Loop: Header=BB142_4 Depth=1
	s_waitcnt vmcnt(0)
	v_max_i16 v12, v12, v5
	global_store_short v[1:2], v12, off
	s_or_b32 exec_lo, exec_lo, s3
	s_and_saveexec_b32 s3, s0
	s_cbranch_execz .LBB142_13
.LBB142_17:                             ;   in Loop: Header=BB142_4 Depth=1
	s_waitcnt vmcnt(0)
	v_max_i16 v12, v14, v5
	global_store_short v[3:4], v12, off
	s_or_b32 exec_lo, exec_lo, s3
	s_and_saveexec_b32 s0, s1
	s_cbranch_execz .LBB142_14
.LBB142_18:                             ;   in Loop: Header=BB142_4 Depth=1
	s_waitcnt vmcnt(0)
	v_add_co_u32 v12, vcc_lo, v1, s18
	v_max_i16 v14, v13, v5
	v_add_co_ci_u32_e64 v13, null, 0, v2, vcc_lo
	global_store_short v[12:13], v14, off
	s_or_b32 exec_lo, exec_lo, s0
	s_and_saveexec_b32 s0, s2
	s_cbranch_execz .LBB142_3
.LBB142_19:                             ;   in Loop: Header=BB142_4 Depth=1
	s_waitcnt vmcnt(0)
	v_add_co_u32 v12, vcc_lo, v1, s20
	v_max_i16 v14, v15, v5
	v_add_co_ci_u32_e64 v13, null, 0, v2, vcc_lo
	global_store_short v[12:13], v14, off
	s_branch .LBB142_3
.LBB142_20:
	s_cbranch_execz .LBB142_22
	s_branch .LBB142_25
.LBB142_21:
.LBB142_22:
	v_cmp_gt_i64_e64 s0, 0x10000, s[10:11]
	v_mov_b32_e32 v2, 0
	v_lshlrev_b32_e32 v1, 2, v0
	s_mov_b32 s1, 0
	s_and_b32 s0, s0, exec_lo
	s_cselect_b32 s3, s11, 0
	s_cselect_b32 s2, s10, 0x10000
	s_mov_b32 s0, exec_lo
	v_cmpx_gt_i64_e64 s[2:3], v[1:2]
	s_cbranch_execz .LBB142_25
; %bb.23:
	s_load_dword s0, s[4:5], 0xd14
	v_mov_b32_e32 v1, v2
	v_lshlrev_b32_e32 v2, 3, v0
	s_waitcnt vmcnt(0)
	v_and_b32_e32 v3, 0xffff, v5
	v_lshl_or_b32 v4, v5, 16, v3
	s_waitcnt lgkmcnt(0)
	s_and_b32 s4, s0, 0xffff
	s_add_u32 s0, s6, s8
	s_addc_u32 s5, s7, s9
	v_add_co_u32 v2, s0, s0, v2
	v_add_co_ci_u32_e64 v3, null, s5, 0, s0
	s_lshl_b32 s5, s4, 3
	.p2align	6
.LBB142_24:                             ; =>This Inner Loop Header: Depth=1
	global_load_dwordx2 v[5:6], v[2:3], off
	v_add_co_u32 v0, vcc_lo, v0, s4
	v_add_co_ci_u32_e64 v1, null, 0, v1, vcc_lo
	v_lshlrev_b64 v[7:8], 2, v[0:1]
	v_cmp_le_i64_e32 vcc_lo, s[2:3], v[7:8]
	s_or_b32 s1, vcc_lo, s1
	s_waitcnt vmcnt(0)
	v_bfi_b32 v5, 0xffff, v5, v5
	v_pk_max_i16 v6, v6, v4
	v_pk_max_i16 v5, v5, v4
	global_store_dwordx2 v[2:3], v[5:6], off
	v_add_co_u32 v2, s0, v2, s5
	v_add_co_ci_u32_e64 v3, null, 0, v3, s0
	s_andn2_b32 exec_lo, exec_lo, s1
	s_cbranch_execnz .LBB142_24
.LBB142_25:
	s_endpgm
	.section	.rodata,"a",@progbits
	.p2align	6, 0x0
	.amdhsa_kernel _ZN2at6native12_GLOBAL__N_125multi_tensor_apply_kernelINS1_28TensorListScalarListMetadataIsLi1EEENS1_25BinaryOpScalarListFunctorIsLi1ELi1ELi0EEEJNS0_7maximumIsEEEEEvT_T0_DpT1_
		.amdhsa_group_segment_fixed_size 0
		.amdhsa_private_segment_fixed_size 0
		.amdhsa_kernarg_size 3592
		.amdhsa_user_sgpr_count 6
		.amdhsa_user_sgpr_private_segment_buffer 1
		.amdhsa_user_sgpr_dispatch_ptr 0
		.amdhsa_user_sgpr_queue_ptr 0
		.amdhsa_user_sgpr_kernarg_segment_ptr 1
		.amdhsa_user_sgpr_dispatch_id 0
		.amdhsa_user_sgpr_flat_scratch_init 0
		.amdhsa_user_sgpr_private_segment_size 0
		.amdhsa_wavefront_size32 1
		.amdhsa_uses_dynamic_stack 0
		.amdhsa_system_sgpr_private_segment_wavefront_offset 0
		.amdhsa_system_sgpr_workgroup_id_x 1
		.amdhsa_system_sgpr_workgroup_id_y 0
		.amdhsa_system_sgpr_workgroup_id_z 0
		.amdhsa_system_sgpr_workgroup_info 0
		.amdhsa_system_vgpr_workitem_id 0
		.amdhsa_next_free_vgpr 17
		.amdhsa_next_free_sgpr 22
		.amdhsa_reserve_vcc 1
		.amdhsa_reserve_flat_scratch 0
		.amdhsa_float_round_mode_32 0
		.amdhsa_float_round_mode_16_64 0
		.amdhsa_float_denorm_mode_32 3
		.amdhsa_float_denorm_mode_16_64 3
		.amdhsa_dx10_clamp 1
		.amdhsa_ieee_mode 1
		.amdhsa_fp16_overflow 0
		.amdhsa_workgroup_processor_mode 1
		.amdhsa_memory_ordered 1
		.amdhsa_forward_progress 1
		.amdhsa_shared_vgpr_count 0
		.amdhsa_exception_fp_ieee_invalid_op 0
		.amdhsa_exception_fp_denorm_src 0
		.amdhsa_exception_fp_ieee_div_zero 0
		.amdhsa_exception_fp_ieee_overflow 0
		.amdhsa_exception_fp_ieee_underflow 0
		.amdhsa_exception_fp_ieee_inexact 0
		.amdhsa_exception_int_div_zero 0
	.end_amdhsa_kernel
	.section	.text._ZN2at6native12_GLOBAL__N_125multi_tensor_apply_kernelINS1_28TensorListScalarListMetadataIsLi1EEENS1_25BinaryOpScalarListFunctorIsLi1ELi1ELi0EEEJNS0_7maximumIsEEEEEvT_T0_DpT1_,"axG",@progbits,_ZN2at6native12_GLOBAL__N_125multi_tensor_apply_kernelINS1_28TensorListScalarListMetadataIsLi1EEENS1_25BinaryOpScalarListFunctorIsLi1ELi1ELi0EEEJNS0_7maximumIsEEEEEvT_T0_DpT1_,comdat
.Lfunc_end142:
	.size	_ZN2at6native12_GLOBAL__N_125multi_tensor_apply_kernelINS1_28TensorListScalarListMetadataIsLi1EEENS1_25BinaryOpScalarListFunctorIsLi1ELi1ELi0EEEJNS0_7maximumIsEEEEEvT_T0_DpT1_, .Lfunc_end142-_ZN2at6native12_GLOBAL__N_125multi_tensor_apply_kernelINS1_28TensorListScalarListMetadataIsLi1EEENS1_25BinaryOpScalarListFunctorIsLi1ELi1ELi0EEEJNS0_7maximumIsEEEEEvT_T0_DpT1_
                                        ; -- End function
	.set _ZN2at6native12_GLOBAL__N_125multi_tensor_apply_kernelINS1_28TensorListScalarListMetadataIsLi1EEENS1_25BinaryOpScalarListFunctorIsLi1ELi1ELi0EEEJNS0_7maximumIsEEEEEvT_T0_DpT1_.num_vgpr, 17
	.set _ZN2at6native12_GLOBAL__N_125multi_tensor_apply_kernelINS1_28TensorListScalarListMetadataIsLi1EEENS1_25BinaryOpScalarListFunctorIsLi1ELi1ELi0EEEJNS0_7maximumIsEEEEEvT_T0_DpT1_.num_agpr, 0
	.set _ZN2at6native12_GLOBAL__N_125multi_tensor_apply_kernelINS1_28TensorListScalarListMetadataIsLi1EEENS1_25BinaryOpScalarListFunctorIsLi1ELi1ELi0EEEJNS0_7maximumIsEEEEEvT_T0_DpT1_.numbered_sgpr, 22
	.set _ZN2at6native12_GLOBAL__N_125multi_tensor_apply_kernelINS1_28TensorListScalarListMetadataIsLi1EEENS1_25BinaryOpScalarListFunctorIsLi1ELi1ELi0EEEJNS0_7maximumIsEEEEEvT_T0_DpT1_.num_named_barrier, 0
	.set _ZN2at6native12_GLOBAL__N_125multi_tensor_apply_kernelINS1_28TensorListScalarListMetadataIsLi1EEENS1_25BinaryOpScalarListFunctorIsLi1ELi1ELi0EEEJNS0_7maximumIsEEEEEvT_T0_DpT1_.private_seg_size, 0
	.set _ZN2at6native12_GLOBAL__N_125multi_tensor_apply_kernelINS1_28TensorListScalarListMetadataIsLi1EEENS1_25BinaryOpScalarListFunctorIsLi1ELi1ELi0EEEJNS0_7maximumIsEEEEEvT_T0_DpT1_.uses_vcc, 1
	.set _ZN2at6native12_GLOBAL__N_125multi_tensor_apply_kernelINS1_28TensorListScalarListMetadataIsLi1EEENS1_25BinaryOpScalarListFunctorIsLi1ELi1ELi0EEEJNS0_7maximumIsEEEEEvT_T0_DpT1_.uses_flat_scratch, 0
	.set _ZN2at6native12_GLOBAL__N_125multi_tensor_apply_kernelINS1_28TensorListScalarListMetadataIsLi1EEENS1_25BinaryOpScalarListFunctorIsLi1ELi1ELi0EEEJNS0_7maximumIsEEEEEvT_T0_DpT1_.has_dyn_sized_stack, 0
	.set _ZN2at6native12_GLOBAL__N_125multi_tensor_apply_kernelINS1_28TensorListScalarListMetadataIsLi1EEENS1_25BinaryOpScalarListFunctorIsLi1ELi1ELi0EEEJNS0_7maximumIsEEEEEvT_T0_DpT1_.has_recursion, 0
	.set _ZN2at6native12_GLOBAL__N_125multi_tensor_apply_kernelINS1_28TensorListScalarListMetadataIsLi1EEENS1_25BinaryOpScalarListFunctorIsLi1ELi1ELi0EEEJNS0_7maximumIsEEEEEvT_T0_DpT1_.has_indirect_call, 0
	.section	.AMDGPU.csdata,"",@progbits
; Kernel info:
; codeLenInByte = 1196
; TotalNumSgprs: 24
; NumVgprs: 17
; ScratchSize: 0
; MemoryBound: 0
; FloatMode: 240
; IeeeMode: 1
; LDSByteSize: 0 bytes/workgroup (compile time only)
; SGPRBlocks: 0
; VGPRBlocks: 2
; NumSGPRsForWavesPerEU: 24
; NumVGPRsForWavesPerEU: 17
; Occupancy: 16
; WaveLimiterHint : 0
; COMPUTE_PGM_RSRC2:SCRATCH_EN: 0
; COMPUTE_PGM_RSRC2:USER_SGPR: 6
; COMPUTE_PGM_RSRC2:TRAP_HANDLER: 0
; COMPUTE_PGM_RSRC2:TGID_X_EN: 1
; COMPUTE_PGM_RSRC2:TGID_Y_EN: 0
; COMPUTE_PGM_RSRC2:TGID_Z_EN: 0
; COMPUTE_PGM_RSRC2:TIDIG_COMP_CNT: 0
	.section	.text._ZN2at6native12_GLOBAL__N_125multi_tensor_apply_kernelINS1_28TensorListScalarListMetadataIdLi1EEENS1_25BinaryOpScalarListFunctorIdLi1ELi1ELi0EEEJNS0_7maximumIdEEEEEvT_T0_DpT1_,"axG",@progbits,_ZN2at6native12_GLOBAL__N_125multi_tensor_apply_kernelINS1_28TensorListScalarListMetadataIdLi1EEENS1_25BinaryOpScalarListFunctorIdLi1ELi1ELi0EEEJNS0_7maximumIdEEEEEvT_T0_DpT1_,comdat
	.globl	_ZN2at6native12_GLOBAL__N_125multi_tensor_apply_kernelINS1_28TensorListScalarListMetadataIdLi1EEENS1_25BinaryOpScalarListFunctorIdLi1ELi1ELi0EEEJNS0_7maximumIdEEEEEvT_T0_DpT1_ ; -- Begin function _ZN2at6native12_GLOBAL__N_125multi_tensor_apply_kernelINS1_28TensorListScalarListMetadataIdLi1EEENS1_25BinaryOpScalarListFunctorIdLi1ELi1ELi0EEEJNS0_7maximumIdEEEEEvT_T0_DpT1_
	.p2align	8
	.type	_ZN2at6native12_GLOBAL__N_125multi_tensor_apply_kernelINS1_28TensorListScalarListMetadataIdLi1EEENS1_25BinaryOpScalarListFunctorIdLi1ELi1ELi0EEEJNS0_7maximumIdEEEEEvT_T0_DpT1_,@function
_ZN2at6native12_GLOBAL__N_125multi_tensor_apply_kernelINS1_28TensorListScalarListMetadataIdLi1EEENS1_25BinaryOpScalarListFunctorIdLi1ELi1ELi0EEEJNS0_7maximumIdEEEEEvT_T0_DpT1_: ; @_ZN2at6native12_GLOBAL__N_125multi_tensor_apply_kernelINS1_28TensorListScalarListMetadataIdLi1EEENS1_25BinaryOpScalarListFunctorIdLi1ELi1ELi0EEEJNS0_7maximumIdEEEEEvT_T0_DpT1_
; %bb.0:
	v_mov_b32_e32 v1, 0x800
	s_add_u32 s0, s4, s6
	s_addc_u32 s1, s5, 0
	s_mov_b32 s7, 0
	global_load_ubyte v1, v1, s[0:1] offset:256
	s_lshl_b64 s[0:1], s[6:7], 2
	s_add_u32 s0, s4, s0
	s_addc_u32 s1, s5, s1
	s_load_dword s0, s[0:1], 0xa40
	s_waitcnt vmcnt(0)
	v_readfirstlane_b32 s2, v1
	s_lshl_b32 s1, s2, 3
	s_clause 0x2
	s_load_dwordx2 s[8:9], s[4:5], s1 offset:0x600
	s_load_dwordx2 s[10:11], s[4:5], s1 offset:0x0
	;; [unrolled: 1-line block ×3, first 2 shown]
	s_waitcnt lgkmcnt(0)
	s_ashr_i32 s1, s0, 31
	s_lshl_b64 s[12:13], s[0:1], 19
	s_lshl_b64 s[0:1], s[0:1], 16
	s_and_b32 s6, s10, 31
	s_sub_u32 s14, s2, s0
	s_subb_u32 s15, s3, s1
	s_and_b32 s0, s2, 3
	s_mov_b32 s1, s7
	s_or_b64 s[0:1], s[6:7], s[0:1]
	s_cmp_eq_u64 s[0:1], 0
	s_cbranch_scc1 .LBB143_21
; %bb.1:
	v_cmp_lt_i64_e64 s0, s[14:15], 1
	s_and_b32 vcc_lo, exec_lo, s0
	s_cbranch_vccnz .LBB143_20
; %bb.2:
	s_load_dword s0, s[4:5], 0xf54
	v_cmp_gt_i64_e64 s1, 0x10000, s[14:15]
	v_cmp_gt_u64_e64 s2, 0x10000, s[14:15]
	v_lshlrev_b32_e32 v1, 3, v0
	s_and_b32 s1, s1, exec_lo
	s_cselect_b32 s7, s15, 0
	s_cselect_b32 s6, s14, 0x10000
	s_waitcnt lgkmcnt(0)
	s_and_b32 s0, s0, 0xffff
	s_and_b32 s1, s2, exec_lo
	v_add_co_u32 v13, s3, v0, s0
	s_cselect_b32 s17, s15, 0
	s_cselect_b32 s16, s14, 0x10000
	s_lshl_b32 s1, s0, 1
	v_lshlrev_b32_e32 v3, 3, v13
	s_mul_i32 s2, s0, 3
	s_lshl_b32 s20, s0, 2
	s_add_u32 s18, s10, s12
	v_add_co_u32 v14, s2, s2, v0
	v_add_co_u32 v17, s1, s1, v0
	s_addc_u32 s19, s11, s13
	v_add_co_ci_u32_e64 v15, null, 0, 0, s2
	v_add_co_u32 v1, s2, s18, v1
	v_add_co_ci_u32_e64 v18, null, 0, 0, s1
	v_add_co_u32 v3, s1, s18, v3
	v_add_co_ci_u32_e64 v2, null, s19, 0, s2
	v_add_co_ci_u32_e64 v16, null, 0, 0, s3
	;; [unrolled: 1-line block ×3, first 2 shown]
	s_lshl_b32 s21, s0, 5
	s_mul_i32 s22, s0, 24
	s_lshl_b32 s23, s0, 4
	s_mov_b64 s[18:19], 0
	s_branch .LBB143_4
.LBB143_3:                              ;   in Loop: Header=BB143_4 Depth=1
	s_or_b32 exec_lo, exec_lo, s1
	s_add_u32 s18, s18, s20
	s_addc_u32 s19, s19, 0
	v_add_co_u32 v1, vcc_lo, v1, s21
	v_cmp_lt_i64_e64 s0, s[18:19], s[6:7]
	v_add_co_ci_u32_e64 v2, null, 0, v2, vcc_lo
	v_add_co_u32 v3, vcc_lo, v3, s21
	v_add_co_ci_u32_e64 v4, null, 0, v4, vcc_lo
	s_and_b32 vcc_lo, exec_lo, s0
	s_cbranch_vccz .LBB143_20
.LBB143_4:                              ; =>This Inner Loop Header: Depth=1
	s_waitcnt vmcnt(0)
	v_add_co_u32 v7, s0, v0, s18
	v_add_co_ci_u32_e64 v8, null, 0, s19, s0
	v_mov_b32_e32 v5, 0
	v_mov_b32_e32 v9, 0
	;; [unrolled: 1-line block ×3, first 2 shown]
	v_cmp_gt_u64_e32 vcc_lo, s[16:17], v[7:8]
	v_mov_b32_e32 v10, 0
	s_and_saveexec_b32 s0, vcc_lo
	s_cbranch_execz .LBB143_6
; %bb.5:                                ;   in Loop: Header=BB143_4 Depth=1
	global_load_dwordx2 v[9:10], v[1:2], off
.LBB143_6:                              ;   in Loop: Header=BB143_4 Depth=1
	s_or_b32 exec_lo, exec_lo, s0
	v_add_co_u32 v7, s0, v13, s18
	v_add_co_ci_u32_e64 v8, null, s19, v16, s0
	v_cmp_gt_u64_e64 s0, s[16:17], v[7:8]
	s_and_saveexec_b32 s1, s0
	s_cbranch_execz .LBB143_8
; %bb.7:                                ;   in Loop: Header=BB143_4 Depth=1
	global_load_dwordx2 v[5:6], v[3:4], off
.LBB143_8:                              ;   in Loop: Header=BB143_4 Depth=1
	s_or_b32 exec_lo, exec_lo, s1
	v_add_co_u32 v11, s1, v17, s18
	v_add_co_ci_u32_e64 v12, null, s19, v18, s1
	v_mov_b32_e32 v7, 0
	v_mov_b32_e32 v8, 0
	v_cmp_gt_u64_e64 s1, s[16:17], v[11:12]
	v_mov_b32_e32 v11, 0
	v_mov_b32_e32 v12, 0
	s_and_saveexec_b32 s3, s1
	s_cbranch_execz .LBB143_10
; %bb.9:                                ;   in Loop: Header=BB143_4 Depth=1
	v_add_co_u32 v11, s2, v1, s23
	v_add_co_ci_u32_e64 v12, null, 0, v2, s2
	global_load_dwordx2 v[11:12], v[11:12], off
.LBB143_10:                             ;   in Loop: Header=BB143_4 Depth=1
	s_or_b32 exec_lo, exec_lo, s3
	v_add_co_u32 v19, s2, v14, s18
	v_add_co_ci_u32_e64 v20, null, s19, v15, s2
	v_cmp_gt_u64_e64 s2, s[16:17], v[19:20]
	s_and_saveexec_b32 s24, s2
	s_cbranch_execnz .LBB143_15
; %bb.11:                               ;   in Loop: Header=BB143_4 Depth=1
	s_or_b32 exec_lo, exec_lo, s24
	s_and_saveexec_b32 s24, vcc_lo
	s_cbranch_execnz .LBB143_16
.LBB143_12:                             ;   in Loop: Header=BB143_4 Depth=1
	s_or_b32 exec_lo, exec_lo, s24
	s_and_saveexec_b32 s3, s0
	s_cbranch_execnz .LBB143_17
.LBB143_13:                             ;   in Loop: Header=BB143_4 Depth=1
	s_or_b32 exec_lo, exec_lo, s3
	s_and_saveexec_b32 s3, s1
	s_cbranch_execnz .LBB143_18
.LBB143_14:                             ;   in Loop: Header=BB143_4 Depth=1
	s_or_b32 exec_lo, exec_lo, s3
	s_and_saveexec_b32 s1, s2
	s_cbranch_execz .LBB143_3
	s_branch .LBB143_19
.LBB143_15:                             ;   in Loop: Header=BB143_4 Depth=1
	v_add_co_u32 v7, s3, v1, s22
	v_add_co_ci_u32_e64 v8, null, 0, v2, s3
	global_load_dwordx2 v[7:8], v[7:8], off
	s_or_b32 exec_lo, exec_lo, s24
	s_and_saveexec_b32 s24, vcc_lo
	s_cbranch_execz .LBB143_12
.LBB143_16:                             ;   in Loop: Header=BB143_4 Depth=1
	s_waitcnt vmcnt(0)
	v_cmp_u_f64_e32 vcc_lo, v[9:10], v[9:10]
	v_cmp_lt_f64_e64 s3, s[8:9], v[9:10]
	s_or_b32 vcc_lo, vcc_lo, s3
	v_cndmask_b32_e32 v10, s9, v10, vcc_lo
	v_cndmask_b32_e32 v9, s8, v9, vcc_lo
	global_store_dwordx2 v[1:2], v[9:10], off
	s_or_b32 exec_lo, exec_lo, s24
	s_and_saveexec_b32 s3, s0
	s_cbranch_execz .LBB143_13
.LBB143_17:                             ;   in Loop: Header=BB143_4 Depth=1
	s_waitcnt vmcnt(0)
	v_cmp_u_f64_e32 vcc_lo, v[5:6], v[5:6]
	v_cmp_lt_f64_e64 s0, s[8:9], v[5:6]
	s_or_b32 vcc_lo, vcc_lo, s0
	v_cndmask_b32_e32 v6, s9, v6, vcc_lo
	v_cndmask_b32_e32 v5, s8, v5, vcc_lo
	global_store_dwordx2 v[3:4], v[5:6], off
	s_or_b32 exec_lo, exec_lo, s3
	s_and_saveexec_b32 s3, s1
	s_cbranch_execz .LBB143_14
.LBB143_18:                             ;   in Loop: Header=BB143_4 Depth=1
	s_waitcnt vmcnt(0)
	v_cmp_u_f64_e32 vcc_lo, v[11:12], v[11:12]
	v_cmp_lt_f64_e64 s0, s[8:9], v[11:12]
	s_or_b32 vcc_lo, vcc_lo, s0
	v_cndmask_b32_e32 v6, s9, v12, vcc_lo
	v_cndmask_b32_e32 v5, s8, v11, vcc_lo
	v_add_co_u32 v9, vcc_lo, v1, s23
	v_add_co_ci_u32_e64 v10, null, 0, v2, vcc_lo
	global_store_dwordx2 v[9:10], v[5:6], off
	s_or_b32 exec_lo, exec_lo, s3
	s_and_saveexec_b32 s1, s2
	s_cbranch_execz .LBB143_3
.LBB143_19:                             ;   in Loop: Header=BB143_4 Depth=1
	s_waitcnt vmcnt(0)
	v_cmp_u_f64_e32 vcc_lo, v[7:8], v[7:8]
	v_cmp_lt_f64_e64 s0, s[8:9], v[7:8]
	s_or_b32 vcc_lo, vcc_lo, s0
	v_cndmask_b32_e32 v6, s9, v8, vcc_lo
	v_cndmask_b32_e32 v5, s8, v7, vcc_lo
	v_add_co_u32 v7, vcc_lo, v1, s22
	v_add_co_ci_u32_e64 v8, null, 0, v2, vcc_lo
	global_store_dwordx2 v[7:8], v[5:6], off
	s_branch .LBB143_3
.LBB143_20:
	s_cbranch_execz .LBB143_22
	s_branch .LBB143_25
.LBB143_21:
.LBB143_22:
	v_cmp_gt_i64_e64 s0, 0x10000, s[14:15]
	v_mov_b32_e32 v2, 0
	v_lshlrev_b32_e32 v1, 2, v0
	s_mov_b32 s16, 0
	s_and_b32 s0, s0, exec_lo
	s_cselect_b32 s15, s15, 0
	s_cselect_b32 s14, s14, 0x10000
	s_mov_b32 s0, exec_lo
	v_cmpx_gt_i64_e64 s[14:15], v[1:2]
	s_cbranch_execz .LBB143_25
; %bb.23:
	s_load_dword s0, s[4:5], 0xf54
	v_lshlrev_b32_e32 v1, 5, v0
	s_waitcnt lgkmcnt(0)
	s_and_b32 s17, s0, 0xffff
	s_add_u32 s0, s10, s12
	s_addc_u32 s1, s11, s13
	v_add_co_u32 v3, s0, s0, v1
	v_add_co_ci_u32_e64 v4, null, s1, 0, s0
	v_mov_b32_e32 v1, v2
	v_add_co_u32 v2, vcc_lo, v3, 16
	v_add_co_ci_u32_e64 v3, null, 0, v4, vcc_lo
	s_lshl_b32 s10, s17, 5
.LBB143_24:                             ; =>This Inner Loop Header: Depth=1
	s_clause 0x1
	global_load_dwordx4 v[4:7], v[2:3], off offset:-16
	global_load_dwordx4 v[8:11], v[2:3], off
	v_add_co_u32 v0, s7, v0, s17
	v_add_co_ci_u32_e64 v1, null, 0, v1, s7
	s_waitcnt vmcnt(2)
	v_lshlrev_b64 v[12:13], 2, v[0:1]
	s_waitcnt vmcnt(1)
	v_cmp_u_f64_e32 vcc_lo, v[4:5], v[4:5]
	v_cmp_lt_f64_e64 s0, s[8:9], v[4:5]
	v_cmp_u_f64_e64 s1, v[6:7], v[6:7]
	v_cmp_lt_f64_e64 s2, s[8:9], v[6:7]
	s_waitcnt vmcnt(0)
	v_cmp_u_f64_e64 s3, v[8:9], v[8:9]
	v_cmp_lt_f64_e64 s4, s[8:9], v[8:9]
	v_cmp_u_f64_e64 s5, v[10:11], v[10:11]
	v_cmp_lt_f64_e64 s6, s[8:9], v[10:11]
	s_or_b32 vcc_lo, vcc_lo, s0
	s_or_b32 s0, s1, s2
	v_cndmask_b32_e32 v5, s9, v5, vcc_lo
	s_or_b32 s1, s3, s4
	v_cndmask_b32_e64 v7, s9, v7, s0
	s_or_b32 s2, s5, s6
	v_cndmask_b32_e32 v4, s8, v4, vcc_lo
	v_cndmask_b32_e64 v6, s8, v6, s0
	v_cndmask_b32_e64 v9, s9, v9, s1
	;; [unrolled: 1-line block ×5, first 2 shown]
	v_cmp_le_i64_e32 vcc_lo, s[14:15], v[12:13]
	global_store_dwordx4 v[2:3], v[4:7], off offset:-16
	global_store_dwordx4 v[2:3], v[8:11], off
	v_add_co_u32 v2, s0, v2, s10
	v_add_co_ci_u32_e64 v3, null, 0, v3, s0
	s_or_b32 s16, vcc_lo, s16
	s_andn2_b32 exec_lo, exec_lo, s16
	s_cbranch_execnz .LBB143_24
.LBB143_25:
	s_endpgm
	.section	.rodata,"a",@progbits
	.p2align	6, 0x0
	.amdhsa_kernel _ZN2at6native12_GLOBAL__N_125multi_tensor_apply_kernelINS1_28TensorListScalarListMetadataIdLi1EEENS1_25BinaryOpScalarListFunctorIdLi1ELi1ELi0EEEJNS0_7maximumIdEEEEEvT_T0_DpT1_
		.amdhsa_group_segment_fixed_size 0
		.amdhsa_private_segment_fixed_size 0
		.amdhsa_kernarg_size 4168
		.amdhsa_user_sgpr_count 6
		.amdhsa_user_sgpr_private_segment_buffer 1
		.amdhsa_user_sgpr_dispatch_ptr 0
		.amdhsa_user_sgpr_queue_ptr 0
		.amdhsa_user_sgpr_kernarg_segment_ptr 1
		.amdhsa_user_sgpr_dispatch_id 0
		.amdhsa_user_sgpr_flat_scratch_init 0
		.amdhsa_user_sgpr_private_segment_size 0
		.amdhsa_wavefront_size32 1
		.amdhsa_uses_dynamic_stack 0
		.amdhsa_system_sgpr_private_segment_wavefront_offset 0
		.amdhsa_system_sgpr_workgroup_id_x 1
		.amdhsa_system_sgpr_workgroup_id_y 0
		.amdhsa_system_sgpr_workgroup_id_z 0
		.amdhsa_system_sgpr_workgroup_info 0
		.amdhsa_system_vgpr_workitem_id 0
		.amdhsa_next_free_vgpr 21
		.amdhsa_next_free_sgpr 25
		.amdhsa_reserve_vcc 1
		.amdhsa_reserve_flat_scratch 0
		.amdhsa_float_round_mode_32 0
		.amdhsa_float_round_mode_16_64 0
		.amdhsa_float_denorm_mode_32 3
		.amdhsa_float_denorm_mode_16_64 3
		.amdhsa_dx10_clamp 1
		.amdhsa_ieee_mode 1
		.amdhsa_fp16_overflow 0
		.amdhsa_workgroup_processor_mode 1
		.amdhsa_memory_ordered 1
		.amdhsa_forward_progress 1
		.amdhsa_shared_vgpr_count 0
		.amdhsa_exception_fp_ieee_invalid_op 0
		.amdhsa_exception_fp_denorm_src 0
		.amdhsa_exception_fp_ieee_div_zero 0
		.amdhsa_exception_fp_ieee_overflow 0
		.amdhsa_exception_fp_ieee_underflow 0
		.amdhsa_exception_fp_ieee_inexact 0
		.amdhsa_exception_int_div_zero 0
	.end_amdhsa_kernel
	.section	.text._ZN2at6native12_GLOBAL__N_125multi_tensor_apply_kernelINS1_28TensorListScalarListMetadataIdLi1EEENS1_25BinaryOpScalarListFunctorIdLi1ELi1ELi0EEEJNS0_7maximumIdEEEEEvT_T0_DpT1_,"axG",@progbits,_ZN2at6native12_GLOBAL__N_125multi_tensor_apply_kernelINS1_28TensorListScalarListMetadataIdLi1EEENS1_25BinaryOpScalarListFunctorIdLi1ELi1ELi0EEEJNS0_7maximumIdEEEEEvT_T0_DpT1_,comdat
.Lfunc_end143:
	.size	_ZN2at6native12_GLOBAL__N_125multi_tensor_apply_kernelINS1_28TensorListScalarListMetadataIdLi1EEENS1_25BinaryOpScalarListFunctorIdLi1ELi1ELi0EEEJNS0_7maximumIdEEEEEvT_T0_DpT1_, .Lfunc_end143-_ZN2at6native12_GLOBAL__N_125multi_tensor_apply_kernelINS1_28TensorListScalarListMetadataIdLi1EEENS1_25BinaryOpScalarListFunctorIdLi1ELi1ELi0EEEJNS0_7maximumIdEEEEEvT_T0_DpT1_
                                        ; -- End function
	.set _ZN2at6native12_GLOBAL__N_125multi_tensor_apply_kernelINS1_28TensorListScalarListMetadataIdLi1EEENS1_25BinaryOpScalarListFunctorIdLi1ELi1ELi0EEEJNS0_7maximumIdEEEEEvT_T0_DpT1_.num_vgpr, 21
	.set _ZN2at6native12_GLOBAL__N_125multi_tensor_apply_kernelINS1_28TensorListScalarListMetadataIdLi1EEENS1_25BinaryOpScalarListFunctorIdLi1ELi1ELi0EEEJNS0_7maximumIdEEEEEvT_T0_DpT1_.num_agpr, 0
	.set _ZN2at6native12_GLOBAL__N_125multi_tensor_apply_kernelINS1_28TensorListScalarListMetadataIdLi1EEENS1_25BinaryOpScalarListFunctorIdLi1ELi1ELi0EEEJNS0_7maximumIdEEEEEvT_T0_DpT1_.numbered_sgpr, 25
	.set _ZN2at6native12_GLOBAL__N_125multi_tensor_apply_kernelINS1_28TensorListScalarListMetadataIdLi1EEENS1_25BinaryOpScalarListFunctorIdLi1ELi1ELi0EEEJNS0_7maximumIdEEEEEvT_T0_DpT1_.num_named_barrier, 0
	.set _ZN2at6native12_GLOBAL__N_125multi_tensor_apply_kernelINS1_28TensorListScalarListMetadataIdLi1EEENS1_25BinaryOpScalarListFunctorIdLi1ELi1ELi0EEEJNS0_7maximumIdEEEEEvT_T0_DpT1_.private_seg_size, 0
	.set _ZN2at6native12_GLOBAL__N_125multi_tensor_apply_kernelINS1_28TensorListScalarListMetadataIdLi1EEENS1_25BinaryOpScalarListFunctorIdLi1ELi1ELi0EEEJNS0_7maximumIdEEEEEvT_T0_DpT1_.uses_vcc, 1
	.set _ZN2at6native12_GLOBAL__N_125multi_tensor_apply_kernelINS1_28TensorListScalarListMetadataIdLi1EEENS1_25BinaryOpScalarListFunctorIdLi1ELi1ELi0EEEJNS0_7maximumIdEEEEEvT_T0_DpT1_.uses_flat_scratch, 0
	.set _ZN2at6native12_GLOBAL__N_125multi_tensor_apply_kernelINS1_28TensorListScalarListMetadataIdLi1EEENS1_25BinaryOpScalarListFunctorIdLi1ELi1ELi0EEEJNS0_7maximumIdEEEEEvT_T0_DpT1_.has_dyn_sized_stack, 0
	.set _ZN2at6native12_GLOBAL__N_125multi_tensor_apply_kernelINS1_28TensorListScalarListMetadataIdLi1EEENS1_25BinaryOpScalarListFunctorIdLi1ELi1ELi0EEEJNS0_7maximumIdEEEEEvT_T0_DpT1_.has_recursion, 0
	.set _ZN2at6native12_GLOBAL__N_125multi_tensor_apply_kernelINS1_28TensorListScalarListMetadataIdLi1EEENS1_25BinaryOpScalarListFunctorIdLi1ELi1ELi0EEEJNS0_7maximumIdEEEEEvT_T0_DpT1_.has_indirect_call, 0
	.section	.AMDGPU.csdata,"",@progbits
; Kernel info:
; codeLenInByte = 1308
; TotalNumSgprs: 27
; NumVgprs: 21
; ScratchSize: 0
; MemoryBound: 0
; FloatMode: 240
; IeeeMode: 1
; LDSByteSize: 0 bytes/workgroup (compile time only)
; SGPRBlocks: 0
; VGPRBlocks: 2
; NumSGPRsForWavesPerEU: 27
; NumVGPRsForWavesPerEU: 21
; Occupancy: 16
; WaveLimiterHint : 1
; COMPUTE_PGM_RSRC2:SCRATCH_EN: 0
; COMPUTE_PGM_RSRC2:USER_SGPR: 6
; COMPUTE_PGM_RSRC2:TRAP_HANDLER: 0
; COMPUTE_PGM_RSRC2:TGID_X_EN: 1
; COMPUTE_PGM_RSRC2:TGID_Y_EN: 0
; COMPUTE_PGM_RSRC2:TGID_Z_EN: 0
; COMPUTE_PGM_RSRC2:TIDIG_COMP_CNT: 0
	.section	.text._ZN2at6native12_GLOBAL__N_125multi_tensor_apply_kernelINS1_28TensorListScalarListMetadataIfLi1EEENS1_25BinaryOpScalarListFunctorIfLi1ELi1ELi0EEEJNS0_7maximumIfEEEEEvT_T0_DpT1_,"axG",@progbits,_ZN2at6native12_GLOBAL__N_125multi_tensor_apply_kernelINS1_28TensorListScalarListMetadataIfLi1EEENS1_25BinaryOpScalarListFunctorIfLi1ELi1ELi0EEEJNS0_7maximumIfEEEEEvT_T0_DpT1_,comdat
	.globl	_ZN2at6native12_GLOBAL__N_125multi_tensor_apply_kernelINS1_28TensorListScalarListMetadataIfLi1EEENS1_25BinaryOpScalarListFunctorIfLi1ELi1ELi0EEEJNS0_7maximumIfEEEEEvT_T0_DpT1_ ; -- Begin function _ZN2at6native12_GLOBAL__N_125multi_tensor_apply_kernelINS1_28TensorListScalarListMetadataIfLi1EEENS1_25BinaryOpScalarListFunctorIfLi1ELi1ELi0EEEJNS0_7maximumIfEEEEEvT_T0_DpT1_
	.p2align	8
	.type	_ZN2at6native12_GLOBAL__N_125multi_tensor_apply_kernelINS1_28TensorListScalarListMetadataIfLi1EEENS1_25BinaryOpScalarListFunctorIfLi1ELi1ELi0EEEJNS0_7maximumIfEEEEEvT_T0_DpT1_,@function
_ZN2at6native12_GLOBAL__N_125multi_tensor_apply_kernelINS1_28TensorListScalarListMetadataIfLi1EEENS1_25BinaryOpScalarListFunctorIfLi1ELi1ELi0EEEJNS0_7maximumIfEEEEEvT_T0_DpT1_: ; @_ZN2at6native12_GLOBAL__N_125multi_tensor_apply_kernelINS1_28TensorListScalarListMetadataIfLi1EEENS1_25BinaryOpScalarListFunctorIfLi1ELi1ELi0EEEJNS0_7maximumIfEEEEEvT_T0_DpT1_
; %bb.0:
	v_mov_b32_e32 v1, s6
	s_add_u32 s0, s4, s6
	s_mul_i32 s1, s6, 3
	s_mul_hi_u32 s2, s6, 3
	s_addc_u32 s3, s5, 0
	global_load_ubyte v1, v1, s[4:5] offset:1920
	s_add_u32 s0, s0, s1
	s_addc_u32 s1, s3, s2
	s_mov_b32 s13, 0
	s_load_dword s0, s[0:1], 0x8c0
	s_waitcnt vmcnt(0)
	v_readfirstlane_b32 s1, v1
	v_lshlrev_b32_e32 v1, 2, v1
	s_lshl_b32 s8, s1, 3
	v_sub_co_u32 v1, s1, 0, v1
	v_sub_co_ci_u32_e64 v2, null, 0, 0, s1
	s_waitcnt lgkmcnt(0)
	s_ashr_i32 s1, s0, 31
	s_clause 0x1
	s_load_dwordx2 s[2:3], s[4:5], s8 offset:0x300
	s_load_dwordx2 s[6:7], s[4:5], s8 offset:0x0
	s_add_u32 s8, s4, s8
	s_addc_u32 s9, s5, 0
	v_add_co_u32 v1, vcc_lo, s8, v1
	v_add_co_ci_u32_e64 v2, null, s9, v2, vcc_lo
	v_readfirstlane_b32 s8, v1
	v_readfirstlane_b32 s9, v2
	s_load_dword s18, s[8:9], 0x600
	s_lshl_b64 s[8:9], s[0:1], 18
	s_lshl_b64 s[0:1], s[0:1], 16
	s_waitcnt lgkmcnt(0)
	s_and_b32 s12, s6, 15
	s_sub_u32 s10, s2, s0
	s_subb_u32 s11, s3, s1
	s_and_b32 s0, s2, 3
	s_mov_b32 s1, s13
	s_or_b64 s[0:1], s[12:13], s[0:1]
	s_cmp_eq_u64 s[0:1], 0
	s_cbranch_scc1 .LBB144_21
; %bb.1:
	v_cmp_lt_i64_e64 s0, s[10:11], 1
	s_and_b32 vcc_lo, exec_lo, s0
	s_cbranch_vccnz .LBB144_20
; %bb.2:
	s_load_dword s0, s[4:5], 0xdd4
	v_cmp_gt_i64_e64 s1, 0x10000, s[10:11]
	v_cmp_gt_u64_e64 s2, 0x10000, s[10:11]
	v_lshlrev_b32_e32 v1, 2, v0
	s_and_b32 s1, s1, exec_lo
	s_cselect_b32 s13, s11, 0
	s_cselect_b32 s12, s10, 0x10000
	s_waitcnt lgkmcnt(0)
	s_and_b32 s0, s0, 0xffff
	s_and_b32 s1, s2, exec_lo
	v_add_co_u32 v5, s3, v0, s0
	s_cselect_b32 s15, s11, 0
	s_cselect_b32 s14, s10, 0x10000
	s_lshl_b32 s1, s0, 1
	v_lshlrev_b32_e32 v3, 2, v5
	s_mul_i32 s2, s0, 3
	s_lshl_b32 s19, s0, 2
	s_add_u32 s16, s6, s8
	v_add_co_u32 v6, s2, s2, v0
	v_add_co_u32 v9, s1, s1, v0
	s_addc_u32 s17, s7, s9
	v_add_co_ci_u32_e64 v7, null, 0, 0, s2
	v_add_co_u32 v1, s2, s16, v1
	v_add_co_ci_u32_e64 v10, null, 0, 0, s1
	v_add_co_u32 v3, s1, s16, v3
	v_add_co_ci_u32_e64 v2, null, s17, 0, s2
	v_add_co_ci_u32_e64 v8, null, 0, 0, s3
	;; [unrolled: 1-line block ×3, first 2 shown]
	s_lshl_b32 s20, s0, 4
	s_mul_i32 s21, s0, 12
	s_lshl_b32 s22, s0, 3
	s_mov_b64 s[16:17], 0
	s_branch .LBB144_4
.LBB144_3:                              ;   in Loop: Header=BB144_4 Depth=1
	s_or_b32 exec_lo, exec_lo, s1
	s_add_u32 s16, s16, s19
	s_addc_u32 s17, s17, 0
	v_add_co_u32 v1, vcc_lo, v1, s20
	v_cmp_lt_i64_e64 s0, s[16:17], s[12:13]
	v_add_co_ci_u32_e64 v2, null, 0, v2, vcc_lo
	v_add_co_u32 v3, vcc_lo, v3, s20
	v_add_co_ci_u32_e64 v4, null, 0, v4, vcc_lo
	s_and_b32 vcc_lo, exec_lo, s0
	s_cbranch_vccz .LBB144_20
.LBB144_4:                              ; =>This Inner Loop Header: Depth=1
	s_waitcnt vmcnt(0)
	v_add_co_u32 v11, s0, v0, s16
	v_add_co_ci_u32_e64 v12, null, 0, s17, s0
	v_cmp_gt_u64_e32 vcc_lo, s[14:15], v[11:12]
	v_mov_b32_e32 v12, 0
	s_and_saveexec_b32 s0, vcc_lo
	s_cbranch_execz .LBB144_6
; %bb.5:                                ;   in Loop: Header=BB144_4 Depth=1
	global_load_dword v12, v[1:2], off
.LBB144_6:                              ;   in Loop: Header=BB144_4 Depth=1
	s_or_b32 exec_lo, exec_lo, s0
	v_add_co_u32 v13, s0, v5, s16
	v_add_co_ci_u32_e64 v14, null, s17, v8, s0
	v_mov_b32_e32 v11, 0
	v_cmp_gt_u64_e64 s0, s[14:15], v[13:14]
	v_mov_b32_e32 v13, 0
	s_and_saveexec_b32 s1, s0
	s_cbranch_execz .LBB144_8
; %bb.7:                                ;   in Loop: Header=BB144_4 Depth=1
	global_load_dword v13, v[3:4], off
.LBB144_8:                              ;   in Loop: Header=BB144_4 Depth=1
	s_or_b32 exec_lo, exec_lo, s1
	v_add_co_u32 v14, s1, v9, s16
	v_add_co_ci_u32_e64 v15, null, s17, v10, s1
	v_cmp_gt_u64_e64 s1, s[14:15], v[14:15]
	s_and_saveexec_b32 s3, s1
	s_cbranch_execz .LBB144_10
; %bb.9:                                ;   in Loop: Header=BB144_4 Depth=1
	v_add_co_u32 v14, s2, v1, s22
	v_add_co_ci_u32_e64 v15, null, 0, v2, s2
	global_load_dword v11, v[14:15], off
.LBB144_10:                             ;   in Loop: Header=BB144_4 Depth=1
	s_or_b32 exec_lo, exec_lo, s3
	v_add_co_u32 v14, s2, v6, s16
	v_add_co_ci_u32_e64 v15, null, s17, v7, s2
	v_cmp_gt_u64_e64 s2, s[14:15], v[14:15]
	v_mov_b32_e32 v14, 0
	s_and_saveexec_b32 s23, s2
	s_cbranch_execnz .LBB144_15
; %bb.11:                               ;   in Loop: Header=BB144_4 Depth=1
	s_or_b32 exec_lo, exec_lo, s23
	s_and_saveexec_b32 s23, vcc_lo
	s_cbranch_execnz .LBB144_16
.LBB144_12:                             ;   in Loop: Header=BB144_4 Depth=1
	s_or_b32 exec_lo, exec_lo, s23
	s_and_saveexec_b32 s3, s0
	s_cbranch_execnz .LBB144_17
.LBB144_13:                             ;   in Loop: Header=BB144_4 Depth=1
	s_or_b32 exec_lo, exec_lo, s3
	s_and_saveexec_b32 s3, s1
	s_cbranch_execnz .LBB144_18
.LBB144_14:                             ;   in Loop: Header=BB144_4 Depth=1
	s_or_b32 exec_lo, exec_lo, s3
	s_and_saveexec_b32 s1, s2
	s_cbranch_execz .LBB144_3
	s_branch .LBB144_19
.LBB144_15:                             ;   in Loop: Header=BB144_4 Depth=1
	v_add_co_u32 v14, s3, v1, s21
	v_add_co_ci_u32_e64 v15, null, 0, v2, s3
	global_load_dword v14, v[14:15], off
	s_or_b32 exec_lo, exec_lo, s23
	s_and_saveexec_b32 s23, vcc_lo
	s_cbranch_execz .LBB144_12
.LBB144_16:                             ;   in Loop: Header=BB144_4 Depth=1
	s_waitcnt vmcnt(0)
	v_cmp_u_f32_e32 vcc_lo, v12, v12
	v_cmp_lt_f32_e64 s3, s18, v12
	s_or_b32 vcc_lo, vcc_lo, s3
	v_cndmask_b32_e32 v12, s18, v12, vcc_lo
	global_store_dword v[1:2], v12, off
	s_or_b32 exec_lo, exec_lo, s23
	s_and_saveexec_b32 s3, s0
	s_cbranch_execz .LBB144_13
.LBB144_17:                             ;   in Loop: Header=BB144_4 Depth=1
	s_waitcnt vmcnt(0)
	v_cmp_u_f32_e32 vcc_lo, v13, v13
	v_cmp_lt_f32_e64 s0, s18, v13
	s_or_b32 vcc_lo, vcc_lo, s0
	v_cndmask_b32_e32 v12, s18, v13, vcc_lo
	global_store_dword v[3:4], v12, off
	s_or_b32 exec_lo, exec_lo, s3
	s_and_saveexec_b32 s3, s1
	s_cbranch_execz .LBB144_14
.LBB144_18:                             ;   in Loop: Header=BB144_4 Depth=1
	s_waitcnt vmcnt(0)
	v_cmp_u_f32_e32 vcc_lo, v11, v11
	v_cmp_lt_f32_e64 s0, s18, v11
	s_or_b32 vcc_lo, vcc_lo, s0
	v_cndmask_b32_e32 v13, s18, v11, vcc_lo
	v_add_co_u32 v11, vcc_lo, v1, s22
	v_add_co_ci_u32_e64 v12, null, 0, v2, vcc_lo
	global_store_dword v[11:12], v13, off
	s_or_b32 exec_lo, exec_lo, s3
	s_and_saveexec_b32 s1, s2
	s_cbranch_execz .LBB144_3
.LBB144_19:                             ;   in Loop: Header=BB144_4 Depth=1
	s_waitcnt vmcnt(0)
	v_cmp_u_f32_e32 vcc_lo, v14, v14
	v_cmp_lt_f32_e64 s0, s18, v14
	s_or_b32 vcc_lo, vcc_lo, s0
	v_cndmask_b32_e32 v13, s18, v14, vcc_lo
	v_add_co_u32 v11, vcc_lo, v1, s21
	v_add_co_ci_u32_e64 v12, null, 0, v2, vcc_lo
	global_store_dword v[11:12], v13, off
	s_branch .LBB144_3
.LBB144_20:
	s_cbranch_execz .LBB144_22
	s_branch .LBB144_25
.LBB144_21:
.LBB144_22:
	v_cmp_gt_i64_e64 s0, 0x10000, s[10:11]
	v_mov_b32_e32 v2, 0
	v_lshlrev_b32_e32 v1, 2, v0
	s_mov_b32 s12, 0
	s_and_b32 s0, s0, exec_lo
	s_cselect_b32 s11, s11, 0
	s_cselect_b32 s10, s10, 0x10000
	s_mov_b32 s0, exec_lo
	v_cmpx_gt_i64_e64 s[10:11], v[1:2]
	s_cbranch_execz .LBB144_25
; %bb.23:
	s_load_dword s0, s[4:5], 0xdd4
	v_lshlrev_b32_e32 v1, 4, v0
	s_waitcnt lgkmcnt(0)
	s_and_b32 s13, s0, 0xffff
	s_add_u32 s0, s6, s8
	s_addc_u32 s1, s7, s9
	v_add_co_u32 v3, s0, s0, v1
	v_add_co_ci_u32_e64 v4, null, s1, 0, s0
	v_mov_b32_e32 v1, v2
	v_add_co_u32 v2, vcc_lo, v3, 8
	v_add_co_ci_u32_e64 v3, null, 0, v4, vcc_lo
	s_lshl_b32 s7, s13, 4
	s_inst_prefetch 0x1
	.p2align	6
.LBB144_24:                             ; =>This Inner Loop Header: Depth=1
	global_load_dwordx4 v[4:7], v[2:3], off offset:-8
	v_add_co_u32 v0, vcc_lo, v0, s13
	v_add_co_ci_u32_e64 v1, null, 0, v1, vcc_lo
	v_lshlrev_b64 v[8:9], 2, v[0:1]
	s_waitcnt vmcnt(0)
	v_cmp_u_f32_e32 vcc_lo, v4, v4
	v_cmp_lt_f32_e64 s0, s18, v4
	v_cmp_u_f32_e64 s1, v5, v5
	v_cmp_lt_f32_e64 s2, s18, v5
	v_cmp_u_f32_e64 s3, v6, v6
	v_cmp_lt_f32_e64 s4, s18, v6
	s_or_b32 vcc_lo, vcc_lo, s0
	v_cmp_u_f32_e64 s5, v7, v7
	v_cmp_lt_f32_e64 s6, s18, v7
	v_cndmask_b32_e32 v4, s18, v4, vcc_lo
	s_or_b32 vcc_lo, s1, s2
	v_cndmask_b32_e32 v5, s18, v5, vcc_lo
	s_or_b32 vcc_lo, s3, s4
	;; [unrolled: 2-line block ×3, first 2 shown]
	v_cndmask_b32_e32 v7, s18, v7, vcc_lo
	v_cmp_le_i64_e32 vcc_lo, s[10:11], v[8:9]
	global_store_dwordx4 v[2:3], v[4:7], off offset:-8
	v_add_co_u32 v2, s0, v2, s7
	v_add_co_ci_u32_e64 v3, null, 0, v3, s0
	s_or_b32 s12, vcc_lo, s12
	s_andn2_b32 exec_lo, exec_lo, s12
	s_cbranch_execnz .LBB144_24
.LBB144_25:
	s_inst_prefetch 0x2
	s_endpgm
	.section	.rodata,"a",@progbits
	.p2align	6, 0x0
	.amdhsa_kernel _ZN2at6native12_GLOBAL__N_125multi_tensor_apply_kernelINS1_28TensorListScalarListMetadataIfLi1EEENS1_25BinaryOpScalarListFunctorIfLi1ELi1ELi0EEEJNS0_7maximumIfEEEEEvT_T0_DpT1_
		.amdhsa_group_segment_fixed_size 0
		.amdhsa_private_segment_fixed_size 0
		.amdhsa_kernarg_size 3784
		.amdhsa_user_sgpr_count 6
		.amdhsa_user_sgpr_private_segment_buffer 1
		.amdhsa_user_sgpr_dispatch_ptr 0
		.amdhsa_user_sgpr_queue_ptr 0
		.amdhsa_user_sgpr_kernarg_segment_ptr 1
		.amdhsa_user_sgpr_dispatch_id 0
		.amdhsa_user_sgpr_flat_scratch_init 0
		.amdhsa_user_sgpr_private_segment_size 0
		.amdhsa_wavefront_size32 1
		.amdhsa_uses_dynamic_stack 0
		.amdhsa_system_sgpr_private_segment_wavefront_offset 0
		.amdhsa_system_sgpr_workgroup_id_x 1
		.amdhsa_system_sgpr_workgroup_id_y 0
		.amdhsa_system_sgpr_workgroup_id_z 0
		.amdhsa_system_sgpr_workgroup_info 0
		.amdhsa_system_vgpr_workitem_id 0
		.amdhsa_next_free_vgpr 16
		.amdhsa_next_free_sgpr 24
		.amdhsa_reserve_vcc 1
		.amdhsa_reserve_flat_scratch 0
		.amdhsa_float_round_mode_32 0
		.amdhsa_float_round_mode_16_64 0
		.amdhsa_float_denorm_mode_32 3
		.amdhsa_float_denorm_mode_16_64 3
		.amdhsa_dx10_clamp 1
		.amdhsa_ieee_mode 1
		.amdhsa_fp16_overflow 0
		.amdhsa_workgroup_processor_mode 1
		.amdhsa_memory_ordered 1
		.amdhsa_forward_progress 1
		.amdhsa_shared_vgpr_count 0
		.amdhsa_exception_fp_ieee_invalid_op 0
		.amdhsa_exception_fp_denorm_src 0
		.amdhsa_exception_fp_ieee_div_zero 0
		.amdhsa_exception_fp_ieee_overflow 0
		.amdhsa_exception_fp_ieee_underflow 0
		.amdhsa_exception_fp_ieee_inexact 0
		.amdhsa_exception_int_div_zero 0
	.end_amdhsa_kernel
	.section	.text._ZN2at6native12_GLOBAL__N_125multi_tensor_apply_kernelINS1_28TensorListScalarListMetadataIfLi1EEENS1_25BinaryOpScalarListFunctorIfLi1ELi1ELi0EEEJNS0_7maximumIfEEEEEvT_T0_DpT1_,"axG",@progbits,_ZN2at6native12_GLOBAL__N_125multi_tensor_apply_kernelINS1_28TensorListScalarListMetadataIfLi1EEENS1_25BinaryOpScalarListFunctorIfLi1ELi1ELi0EEEJNS0_7maximumIfEEEEEvT_T0_DpT1_,comdat
.Lfunc_end144:
	.size	_ZN2at6native12_GLOBAL__N_125multi_tensor_apply_kernelINS1_28TensorListScalarListMetadataIfLi1EEENS1_25BinaryOpScalarListFunctorIfLi1ELi1ELi0EEEJNS0_7maximumIfEEEEEvT_T0_DpT1_, .Lfunc_end144-_ZN2at6native12_GLOBAL__N_125multi_tensor_apply_kernelINS1_28TensorListScalarListMetadataIfLi1EEENS1_25BinaryOpScalarListFunctorIfLi1ELi1ELi0EEEJNS0_7maximumIfEEEEEvT_T0_DpT1_
                                        ; -- End function
	.set _ZN2at6native12_GLOBAL__N_125multi_tensor_apply_kernelINS1_28TensorListScalarListMetadataIfLi1EEENS1_25BinaryOpScalarListFunctorIfLi1ELi1ELi0EEEJNS0_7maximumIfEEEEEvT_T0_DpT1_.num_vgpr, 16
	.set _ZN2at6native12_GLOBAL__N_125multi_tensor_apply_kernelINS1_28TensorListScalarListMetadataIfLi1EEENS1_25BinaryOpScalarListFunctorIfLi1ELi1ELi0EEEJNS0_7maximumIfEEEEEvT_T0_DpT1_.num_agpr, 0
	.set _ZN2at6native12_GLOBAL__N_125multi_tensor_apply_kernelINS1_28TensorListScalarListMetadataIfLi1EEENS1_25BinaryOpScalarListFunctorIfLi1ELi1ELi0EEEJNS0_7maximumIfEEEEEvT_T0_DpT1_.numbered_sgpr, 24
	.set _ZN2at6native12_GLOBAL__N_125multi_tensor_apply_kernelINS1_28TensorListScalarListMetadataIfLi1EEENS1_25BinaryOpScalarListFunctorIfLi1ELi1ELi0EEEJNS0_7maximumIfEEEEEvT_T0_DpT1_.num_named_barrier, 0
	.set _ZN2at6native12_GLOBAL__N_125multi_tensor_apply_kernelINS1_28TensorListScalarListMetadataIfLi1EEENS1_25BinaryOpScalarListFunctorIfLi1ELi1ELi0EEEJNS0_7maximumIfEEEEEvT_T0_DpT1_.private_seg_size, 0
	.set _ZN2at6native12_GLOBAL__N_125multi_tensor_apply_kernelINS1_28TensorListScalarListMetadataIfLi1EEENS1_25BinaryOpScalarListFunctorIfLi1ELi1ELi0EEEJNS0_7maximumIfEEEEEvT_T0_DpT1_.uses_vcc, 1
	.set _ZN2at6native12_GLOBAL__N_125multi_tensor_apply_kernelINS1_28TensorListScalarListMetadataIfLi1EEENS1_25BinaryOpScalarListFunctorIfLi1ELi1ELi0EEEJNS0_7maximumIfEEEEEvT_T0_DpT1_.uses_flat_scratch, 0
	.set _ZN2at6native12_GLOBAL__N_125multi_tensor_apply_kernelINS1_28TensorListScalarListMetadataIfLi1EEENS1_25BinaryOpScalarListFunctorIfLi1ELi1ELi0EEEJNS0_7maximumIfEEEEEvT_T0_DpT1_.has_dyn_sized_stack, 0
	.set _ZN2at6native12_GLOBAL__N_125multi_tensor_apply_kernelINS1_28TensorListScalarListMetadataIfLi1EEENS1_25BinaryOpScalarListFunctorIfLi1ELi1ELi0EEEJNS0_7maximumIfEEEEEvT_T0_DpT1_.has_recursion, 0
	.set _ZN2at6native12_GLOBAL__N_125multi_tensor_apply_kernelINS1_28TensorListScalarListMetadataIfLi1EEENS1_25BinaryOpScalarListFunctorIfLi1ELi1ELi0EEEJNS0_7maximumIfEEEEEvT_T0_DpT1_.has_indirect_call, 0
	.section	.AMDGPU.csdata,"",@progbits
; Kernel info:
; codeLenInByte = 1328
; TotalNumSgprs: 26
; NumVgprs: 16
; ScratchSize: 0
; MemoryBound: 0
; FloatMode: 240
; IeeeMode: 1
; LDSByteSize: 0 bytes/workgroup (compile time only)
; SGPRBlocks: 0
; VGPRBlocks: 1
; NumSGPRsForWavesPerEU: 26
; NumVGPRsForWavesPerEU: 16
; Occupancy: 16
; WaveLimiterHint : 0
; COMPUTE_PGM_RSRC2:SCRATCH_EN: 0
; COMPUTE_PGM_RSRC2:USER_SGPR: 6
; COMPUTE_PGM_RSRC2:TRAP_HANDLER: 0
; COMPUTE_PGM_RSRC2:TGID_X_EN: 1
; COMPUTE_PGM_RSRC2:TGID_Y_EN: 0
; COMPUTE_PGM_RSRC2:TGID_Z_EN: 0
; COMPUTE_PGM_RSRC2:TIDIG_COMP_CNT: 0
	.section	.text._ZN2at6native12_GLOBAL__N_125multi_tensor_apply_kernelINS1_28TensorListScalarListMetadataIfLi1EEENS1_25BinaryOpScalarListFunctorIN3c104HalfELi1ELi1ELi0EEEJNS0_7maximumIfEEEEEvT_T0_DpT1_,"axG",@progbits,_ZN2at6native12_GLOBAL__N_125multi_tensor_apply_kernelINS1_28TensorListScalarListMetadataIfLi1EEENS1_25BinaryOpScalarListFunctorIN3c104HalfELi1ELi1ELi0EEEJNS0_7maximumIfEEEEEvT_T0_DpT1_,comdat
	.globl	_ZN2at6native12_GLOBAL__N_125multi_tensor_apply_kernelINS1_28TensorListScalarListMetadataIfLi1EEENS1_25BinaryOpScalarListFunctorIN3c104HalfELi1ELi1ELi0EEEJNS0_7maximumIfEEEEEvT_T0_DpT1_ ; -- Begin function _ZN2at6native12_GLOBAL__N_125multi_tensor_apply_kernelINS1_28TensorListScalarListMetadataIfLi1EEENS1_25BinaryOpScalarListFunctorIN3c104HalfELi1ELi1ELi0EEEJNS0_7maximumIfEEEEEvT_T0_DpT1_
	.p2align	8
	.type	_ZN2at6native12_GLOBAL__N_125multi_tensor_apply_kernelINS1_28TensorListScalarListMetadataIfLi1EEENS1_25BinaryOpScalarListFunctorIN3c104HalfELi1ELi1ELi0EEEJNS0_7maximumIfEEEEEvT_T0_DpT1_,@function
_ZN2at6native12_GLOBAL__N_125multi_tensor_apply_kernelINS1_28TensorListScalarListMetadataIfLi1EEENS1_25BinaryOpScalarListFunctorIN3c104HalfELi1ELi1ELi0EEEJNS0_7maximumIfEEEEEvT_T0_DpT1_: ; @_ZN2at6native12_GLOBAL__N_125multi_tensor_apply_kernelINS1_28TensorListScalarListMetadataIfLi1EEENS1_25BinaryOpScalarListFunctorIN3c104HalfELi1ELi1ELi0EEEJNS0_7maximumIfEEEEEvT_T0_DpT1_
; %bb.0:
	v_mov_b32_e32 v1, s6
	s_add_u32 s0, s4, s6
	s_mul_i32 s1, s6, 3
	s_mul_hi_u32 s2, s6, 3
	s_addc_u32 s3, s5, 0
	global_load_ubyte v1, v1, s[4:5] offset:1920
	s_add_u32 s0, s0, s1
	s_addc_u32 s1, s3, s2
	s_mov_b32 s13, 0
	s_load_dword s0, s[0:1], 0x8c0
	s_waitcnt vmcnt(0)
	v_readfirstlane_b32 s1, v1
	v_lshlrev_b32_e32 v1, 2, v1
	s_lshl_b32 s8, s1, 3
	v_sub_co_u32 v1, s1, 0, v1
	v_sub_co_ci_u32_e64 v2, null, 0, 0, s1
	s_waitcnt lgkmcnt(0)
	s_ashr_i32 s1, s0, 31
	s_clause 0x1
	s_load_dwordx2 s[2:3], s[4:5], s8 offset:0x300
	s_load_dwordx2 s[6:7], s[4:5], s8 offset:0x0
	s_add_u32 s8, s4, s8
	s_addc_u32 s9, s5, 0
	v_add_co_u32 v1, vcc_lo, s8, v1
	v_add_co_ci_u32_e64 v2, null, s9, v2, vcc_lo
	v_readfirstlane_b32 s8, v1
	v_readfirstlane_b32 s9, v2
	s_load_dword s18, s[8:9], 0x600
	s_lshl_b64 s[8:9], s[0:1], 17
	s_lshl_b64 s[0:1], s[0:1], 16
	s_waitcnt lgkmcnt(0)
	s_and_b32 s12, s6, 7
	s_sub_u32 s10, s2, s0
	s_subb_u32 s11, s3, s1
	s_and_b32 s0, s2, 3
	s_mov_b32 s1, s13
	s_or_b64 s[0:1], s[12:13], s[0:1]
	s_cmp_eq_u64 s[0:1], 0
	s_cbranch_scc1 .LBB145_21
; %bb.1:
	v_cmp_lt_i64_e64 s0, s[10:11], 1
	s_and_b32 vcc_lo, exec_lo, s0
	s_cbranch_vccnz .LBB145_20
; %bb.2:
	s_load_dword s0, s[4:5], 0xdd4
	v_cmp_gt_i64_e64 s1, 0x10000, s[10:11]
	v_cmp_gt_u64_e64 s2, 0x10000, s[10:11]
	v_lshlrev_b32_e32 v1, 1, v0
	v_cvt_f16_f32_e32 v5, s18
	s_and_b32 s1, s1, exec_lo
	s_cselect_b32 s13, s11, 0
	s_cselect_b32 s12, s10, 0x10000
	s_waitcnt lgkmcnt(0)
	s_and_b32 s0, s0, 0xffff
	s_and_b32 s1, s2, exec_lo
	v_add_co_u32 v6, s3, v0, s0
	s_cselect_b32 s15, s11, 0
	s_cselect_b32 s14, s10, 0x10000
	s_lshl_b32 s1, s0, 1
	v_lshlrev_b32_e32 v3, 1, v6
	s_mul_i32 s2, s0, 3
	s_lshl_b32 s19, s0, 2
	s_add_u32 s16, s6, s8
	v_add_co_u32 v7, s2, s2, v0
	v_add_co_u32 v10, s1, s1, v0
	s_addc_u32 s17, s7, s9
	v_add_co_ci_u32_e64 v8, null, 0, 0, s2
	v_add_co_u32 v1, s2, s16, v1
	v_add_co_ci_u32_e64 v11, null, 0, 0, s1
	v_add_co_u32 v3, s1, s16, v3
	v_add_co_ci_u32_e64 v2, null, s17, 0, s2
	v_add_co_ci_u32_e64 v9, null, 0, 0, s3
	;; [unrolled: 1-line block ×3, first 2 shown]
	s_lshl_b32 s20, s0, 3
	s_mul_i32 s21, s0, 6
	s_mov_b64 s[16:17], 0
	s_branch .LBB145_4
.LBB145_3:                              ;   in Loop: Header=BB145_4 Depth=1
	s_or_b32 exec_lo, exec_lo, s1
	s_add_u32 s16, s16, s19
	s_addc_u32 s17, s17, 0
	v_add_co_u32 v1, vcc_lo, v1, s20
	v_cmp_lt_i64_e64 s0, s[16:17], s[12:13]
	v_add_co_ci_u32_e64 v2, null, 0, v2, vcc_lo
	v_add_co_u32 v3, vcc_lo, v3, s20
	v_add_co_ci_u32_e64 v4, null, 0, v4, vcc_lo
	s_and_b32 vcc_lo, exec_lo, s0
	s_cbranch_vccz .LBB145_20
.LBB145_4:                              ; =>This Inner Loop Header: Depth=1
	s_waitcnt vmcnt(0)
	v_add_co_u32 v12, s0, v0, s16
	v_add_co_ci_u32_e64 v13, null, 0, s17, s0
	v_cmp_gt_u64_e32 vcc_lo, s[14:15], v[12:13]
	v_mov_b32_e32 v13, 0
	s_and_saveexec_b32 s0, vcc_lo
	s_cbranch_execz .LBB145_6
; %bb.5:                                ;   in Loop: Header=BB145_4 Depth=1
	global_load_ushort v13, v[1:2], off
.LBB145_6:                              ;   in Loop: Header=BB145_4 Depth=1
	s_or_b32 exec_lo, exec_lo, s0
	v_add_co_u32 v14, s0, v6, s16
	v_add_co_ci_u32_e64 v15, null, s17, v9, s0
	v_mov_b32_e32 v12, 0
	v_cmp_gt_u64_e64 s0, s[14:15], v[14:15]
	v_mov_b32_e32 v14, 0
	s_and_saveexec_b32 s1, s0
	s_cbranch_execz .LBB145_8
; %bb.7:                                ;   in Loop: Header=BB145_4 Depth=1
	global_load_ushort v14, v[3:4], off
.LBB145_8:                              ;   in Loop: Header=BB145_4 Depth=1
	s_or_b32 exec_lo, exec_lo, s1
	v_add_co_u32 v15, s1, v10, s16
	v_add_co_ci_u32_e64 v16, null, s17, v11, s1
	v_cmp_gt_u64_e64 s1, s[14:15], v[15:16]
	s_and_saveexec_b32 s3, s1
	s_cbranch_execz .LBB145_10
; %bb.9:                                ;   in Loop: Header=BB145_4 Depth=1
	v_add_co_u32 v15, s2, v1, s19
	v_add_co_ci_u32_e64 v16, null, 0, v2, s2
	global_load_ushort v12, v[15:16], off
.LBB145_10:                             ;   in Loop: Header=BB145_4 Depth=1
	s_or_b32 exec_lo, exec_lo, s3
	v_add_co_u32 v15, s2, v7, s16
	v_add_co_ci_u32_e64 v16, null, s17, v8, s2
	v_cmp_gt_u64_e64 s2, s[14:15], v[15:16]
	v_mov_b32_e32 v15, 0
	s_and_saveexec_b32 s22, s2
	s_cbranch_execnz .LBB145_15
; %bb.11:                               ;   in Loop: Header=BB145_4 Depth=1
	s_or_b32 exec_lo, exec_lo, s22
	s_and_saveexec_b32 s22, vcc_lo
	s_cbranch_execnz .LBB145_16
.LBB145_12:                             ;   in Loop: Header=BB145_4 Depth=1
	s_or_b32 exec_lo, exec_lo, s22
	s_and_saveexec_b32 s3, s0
	s_cbranch_execnz .LBB145_17
.LBB145_13:                             ;   in Loop: Header=BB145_4 Depth=1
	s_or_b32 exec_lo, exec_lo, s3
	s_and_saveexec_b32 s3, s1
	s_cbranch_execnz .LBB145_18
.LBB145_14:                             ;   in Loop: Header=BB145_4 Depth=1
	s_or_b32 exec_lo, exec_lo, s3
	s_and_saveexec_b32 s1, s2
	s_cbranch_execz .LBB145_3
	s_branch .LBB145_19
.LBB145_15:                             ;   in Loop: Header=BB145_4 Depth=1
	v_add_co_u32 v15, s3, v1, s21
	v_add_co_ci_u32_e64 v16, null, 0, v2, s3
	global_load_ushort v15, v[15:16], off
	s_or_b32 exec_lo, exec_lo, s22
	s_and_saveexec_b32 s22, vcc_lo
	s_cbranch_execz .LBB145_12
.LBB145_16:                             ;   in Loop: Header=BB145_4 Depth=1
	s_waitcnt vmcnt(0)
	v_cvt_f32_f16_e32 v16, v13
	v_cmp_u_f16_e32 vcc_lo, v13, v13
	v_cmp_lt_f32_e64 s3, s18, v16
	s_or_b32 vcc_lo, vcc_lo, s3
	v_cndmask_b32_e32 v13, v5, v13, vcc_lo
	global_store_short v[1:2], v13, off
	s_or_b32 exec_lo, exec_lo, s22
	s_and_saveexec_b32 s3, s0
	s_cbranch_execz .LBB145_13
.LBB145_17:                             ;   in Loop: Header=BB145_4 Depth=1
	s_waitcnt vmcnt(0)
	v_cvt_f32_f16_e32 v13, v14
	v_cmp_u_f16_e32 vcc_lo, v14, v14
	v_cmp_lt_f32_e64 s0, s18, v13
	s_or_b32 vcc_lo, vcc_lo, s0
	v_cndmask_b32_e32 v13, v5, v14, vcc_lo
	global_store_short v[3:4], v13, off
	s_or_b32 exec_lo, exec_lo, s3
	s_and_saveexec_b32 s3, s1
	s_cbranch_execz .LBB145_14
.LBB145_18:                             ;   in Loop: Header=BB145_4 Depth=1
	s_waitcnt vmcnt(0)
	v_cvt_f32_f16_e32 v13, v12
	v_cmp_u_f16_e32 vcc_lo, v12, v12
	v_cmp_lt_f32_e64 s0, s18, v13
	s_or_b32 vcc_lo, vcc_lo, s0
	v_cndmask_b32_e32 v14, v5, v12, vcc_lo
	v_add_co_u32 v12, vcc_lo, v1, s19
	v_add_co_ci_u32_e64 v13, null, 0, v2, vcc_lo
	global_store_short v[12:13], v14, off
	s_or_b32 exec_lo, exec_lo, s3
	s_and_saveexec_b32 s1, s2
	s_cbranch_execz .LBB145_3
.LBB145_19:                             ;   in Loop: Header=BB145_4 Depth=1
	s_waitcnt vmcnt(0)
	v_cvt_f32_f16_e32 v12, v15
	v_cmp_u_f16_e32 vcc_lo, v15, v15
	v_cmp_lt_f32_e64 s0, s18, v12
	s_or_b32 vcc_lo, vcc_lo, s0
	v_cndmask_b32_e32 v14, v5, v15, vcc_lo
	v_add_co_u32 v12, vcc_lo, v1, s21
	v_add_co_ci_u32_e64 v13, null, 0, v2, vcc_lo
	global_store_short v[12:13], v14, off
	s_branch .LBB145_3
.LBB145_20:
	s_cbranch_execz .LBB145_22
	s_branch .LBB145_25
.LBB145_21:
.LBB145_22:
	v_cmp_gt_i64_e64 s0, 0x10000, s[10:11]
	v_mov_b32_e32 v2, 0
	v_lshlrev_b32_e32 v1, 2, v0
	s_mov_b32 s12, 0
	s_and_b32 s0, s0, exec_lo
	s_cselect_b32 s11, s11, 0
	s_cselect_b32 s10, s10, 0x10000
	s_mov_b32 s0, exec_lo
	v_cmpx_gt_i64_e64 s[10:11], v[1:2]
	s_cbranch_execz .LBB145_25
; %bb.23:
	s_load_dword s0, s[4:5], 0xdd4
	v_cvt_f16_f32_e32 v4, s18
	v_mov_b32_e32 v1, v2
	v_lshlrev_b32_e32 v2, 3, v0
	v_and_b32_e32 v3, 0xffff, v4
	v_lshl_or_b32 v5, v4, 16, v3
	s_waitcnt lgkmcnt(0)
	s_and_b32 s13, s0, 0xffff
	s_add_u32 s0, s6, s8
	s_addc_u32 s1, s7, s9
	v_add_co_u32 v2, s0, s0, v2
	v_add_co_ci_u32_e64 v6, null, s1, 0, s0
	s_mov_b32 s6, s18
	v_add_co_u32 v2, vcc_lo, v2, 6
	v_add_co_ci_u32_e64 v3, null, 0, v6, vcc_lo
	v_lshrrev_b32_e32 v6, 16, v5
	s_lshl_b32 s7, s13, 3
.LBB145_24:                             ; =>This Inner Loop Header: Depth=1
	global_load_dwordx2 v[7:8], v[2:3], off offset:-6
	v_add_co_u32 v0, vcc_lo, v0, s13
	v_add_co_ci_u32_e64 v1, null, 0, v1, vcc_lo
	s_waitcnt vmcnt(0)
	v_cvt_f32_f16_e32 v9, v7
	v_lshrrev_b32_e32 v10, 16, v8
	v_lshrrev_b32_e32 v11, 16, v7
	v_cmp_u_f16_e32 vcc_lo, v7, v7
	v_cvt_f32_f16_e32 v12, v8
	v_cmp_lt_f32_e64 s1, s18, v9
	v_cvt_f32_f16_e32 v9, v10
	v_cvt_f32_f16_e32 v13, v11
	v_cmp_u_f16_e64 s0, v8, v8
	v_cmp_lt_f32_e64 s4, s6, v12
	s_or_b32 vcc_lo, vcc_lo, s1
	v_cmp_u_f16_e64 s2, v10, v10
	v_cmp_u_f16_e64 s3, v11, v11
	v_cmp_lt_f32_e64 s5, s18, v9
	v_cndmask_b32_e32 v9, v4, v7, vcc_lo
	v_cmp_lt_f32_e32 vcc_lo, s18, v13
	s_or_b32 s0, s0, s4
	v_cndmask_b32_e64 v12, v6, v8, s0
	s_or_b32 s0, s2, s5
	s_or_b32 vcc_lo, s3, vcc_lo
	v_cndmask_b32_e64 v10, v4, v10, s0
	v_cndmask_b32_e32 v11, v5, v11, vcc_lo
	v_lshlrev_b64 v[7:8], 2, v[0:1]
	v_perm_b32 v10, v10, v12, 0x5040100
	v_perm_b32 v9, v11, v9, 0x5040100
	v_cmp_le_i64_e32 vcc_lo, s[10:11], v[7:8]
	global_store_dwordx2 v[2:3], v[9:10], off offset:-6
	v_add_co_u32 v2, s0, v2, s7
	v_add_co_ci_u32_e64 v3, null, 0, v3, s0
	s_or_b32 s12, vcc_lo, s12
	s_andn2_b32 exec_lo, exec_lo, s12
	s_cbranch_execnz .LBB145_24
.LBB145_25:
	s_endpgm
	.section	.rodata,"a",@progbits
	.p2align	6, 0x0
	.amdhsa_kernel _ZN2at6native12_GLOBAL__N_125multi_tensor_apply_kernelINS1_28TensorListScalarListMetadataIfLi1EEENS1_25BinaryOpScalarListFunctorIN3c104HalfELi1ELi1ELi0EEEJNS0_7maximumIfEEEEEvT_T0_DpT1_
		.amdhsa_group_segment_fixed_size 0
		.amdhsa_private_segment_fixed_size 0
		.amdhsa_kernarg_size 3784
		.amdhsa_user_sgpr_count 6
		.amdhsa_user_sgpr_private_segment_buffer 1
		.amdhsa_user_sgpr_dispatch_ptr 0
		.amdhsa_user_sgpr_queue_ptr 0
		.amdhsa_user_sgpr_kernarg_segment_ptr 1
		.amdhsa_user_sgpr_dispatch_id 0
		.amdhsa_user_sgpr_flat_scratch_init 0
		.amdhsa_user_sgpr_private_segment_size 0
		.amdhsa_wavefront_size32 1
		.amdhsa_uses_dynamic_stack 0
		.amdhsa_system_sgpr_private_segment_wavefront_offset 0
		.amdhsa_system_sgpr_workgroup_id_x 1
		.amdhsa_system_sgpr_workgroup_id_y 0
		.amdhsa_system_sgpr_workgroup_id_z 0
		.amdhsa_system_sgpr_workgroup_info 0
		.amdhsa_system_vgpr_workitem_id 0
		.amdhsa_next_free_vgpr 17
		.amdhsa_next_free_sgpr 23
		.amdhsa_reserve_vcc 1
		.amdhsa_reserve_flat_scratch 0
		.amdhsa_float_round_mode_32 0
		.amdhsa_float_round_mode_16_64 0
		.amdhsa_float_denorm_mode_32 3
		.amdhsa_float_denorm_mode_16_64 3
		.amdhsa_dx10_clamp 1
		.amdhsa_ieee_mode 1
		.amdhsa_fp16_overflow 0
		.amdhsa_workgroup_processor_mode 1
		.amdhsa_memory_ordered 1
		.amdhsa_forward_progress 1
		.amdhsa_shared_vgpr_count 0
		.amdhsa_exception_fp_ieee_invalid_op 0
		.amdhsa_exception_fp_denorm_src 0
		.amdhsa_exception_fp_ieee_div_zero 0
		.amdhsa_exception_fp_ieee_overflow 0
		.amdhsa_exception_fp_ieee_underflow 0
		.amdhsa_exception_fp_ieee_inexact 0
		.amdhsa_exception_int_div_zero 0
	.end_amdhsa_kernel
	.section	.text._ZN2at6native12_GLOBAL__N_125multi_tensor_apply_kernelINS1_28TensorListScalarListMetadataIfLi1EEENS1_25BinaryOpScalarListFunctorIN3c104HalfELi1ELi1ELi0EEEJNS0_7maximumIfEEEEEvT_T0_DpT1_,"axG",@progbits,_ZN2at6native12_GLOBAL__N_125multi_tensor_apply_kernelINS1_28TensorListScalarListMetadataIfLi1EEENS1_25BinaryOpScalarListFunctorIN3c104HalfELi1ELi1ELi0EEEJNS0_7maximumIfEEEEEvT_T0_DpT1_,comdat
.Lfunc_end145:
	.size	_ZN2at6native12_GLOBAL__N_125multi_tensor_apply_kernelINS1_28TensorListScalarListMetadataIfLi1EEENS1_25BinaryOpScalarListFunctorIN3c104HalfELi1ELi1ELi0EEEJNS0_7maximumIfEEEEEvT_T0_DpT1_, .Lfunc_end145-_ZN2at6native12_GLOBAL__N_125multi_tensor_apply_kernelINS1_28TensorListScalarListMetadataIfLi1EEENS1_25BinaryOpScalarListFunctorIN3c104HalfELi1ELi1ELi0EEEJNS0_7maximumIfEEEEEvT_T0_DpT1_
                                        ; -- End function
	.set _ZN2at6native12_GLOBAL__N_125multi_tensor_apply_kernelINS1_28TensorListScalarListMetadataIfLi1EEENS1_25BinaryOpScalarListFunctorIN3c104HalfELi1ELi1ELi0EEEJNS0_7maximumIfEEEEEvT_T0_DpT1_.num_vgpr, 17
	.set _ZN2at6native12_GLOBAL__N_125multi_tensor_apply_kernelINS1_28TensorListScalarListMetadataIfLi1EEENS1_25BinaryOpScalarListFunctorIN3c104HalfELi1ELi1ELi0EEEJNS0_7maximumIfEEEEEvT_T0_DpT1_.num_agpr, 0
	.set _ZN2at6native12_GLOBAL__N_125multi_tensor_apply_kernelINS1_28TensorListScalarListMetadataIfLi1EEENS1_25BinaryOpScalarListFunctorIN3c104HalfELi1ELi1ELi0EEEJNS0_7maximumIfEEEEEvT_T0_DpT1_.numbered_sgpr, 23
	.set _ZN2at6native12_GLOBAL__N_125multi_tensor_apply_kernelINS1_28TensorListScalarListMetadataIfLi1EEENS1_25BinaryOpScalarListFunctorIN3c104HalfELi1ELi1ELi0EEEJNS0_7maximumIfEEEEEvT_T0_DpT1_.num_named_barrier, 0
	.set _ZN2at6native12_GLOBAL__N_125multi_tensor_apply_kernelINS1_28TensorListScalarListMetadataIfLi1EEENS1_25BinaryOpScalarListFunctorIN3c104HalfELi1ELi1ELi0EEEJNS0_7maximumIfEEEEEvT_T0_DpT1_.private_seg_size, 0
	.set _ZN2at6native12_GLOBAL__N_125multi_tensor_apply_kernelINS1_28TensorListScalarListMetadataIfLi1EEENS1_25BinaryOpScalarListFunctorIN3c104HalfELi1ELi1ELi0EEEJNS0_7maximumIfEEEEEvT_T0_DpT1_.uses_vcc, 1
	.set _ZN2at6native12_GLOBAL__N_125multi_tensor_apply_kernelINS1_28TensorListScalarListMetadataIfLi1EEENS1_25BinaryOpScalarListFunctorIN3c104HalfELi1ELi1ELi0EEEJNS0_7maximumIfEEEEEvT_T0_DpT1_.uses_flat_scratch, 0
	.set _ZN2at6native12_GLOBAL__N_125multi_tensor_apply_kernelINS1_28TensorListScalarListMetadataIfLi1EEENS1_25BinaryOpScalarListFunctorIN3c104HalfELi1ELi1ELi0EEEJNS0_7maximumIfEEEEEvT_T0_DpT1_.has_dyn_sized_stack, 0
	.set _ZN2at6native12_GLOBAL__N_125multi_tensor_apply_kernelINS1_28TensorListScalarListMetadataIfLi1EEENS1_25BinaryOpScalarListFunctorIN3c104HalfELi1ELi1ELi0EEEJNS0_7maximumIfEEEEEvT_T0_DpT1_.has_recursion, 0
	.set _ZN2at6native12_GLOBAL__N_125multi_tensor_apply_kernelINS1_28TensorListScalarListMetadataIfLi1EEENS1_25BinaryOpScalarListFunctorIN3c104HalfELi1ELi1ELi0EEEJNS0_7maximumIfEEEEEvT_T0_DpT1_.has_indirect_call, 0
	.section	.AMDGPU.csdata,"",@progbits
; Kernel info:
; codeLenInByte = 1360
; TotalNumSgprs: 25
; NumVgprs: 17
; ScratchSize: 0
; MemoryBound: 0
; FloatMode: 240
; IeeeMode: 1
; LDSByteSize: 0 bytes/workgroup (compile time only)
; SGPRBlocks: 0
; VGPRBlocks: 2
; NumSGPRsForWavesPerEU: 25
; NumVGPRsForWavesPerEU: 17
; Occupancy: 16
; WaveLimiterHint : 0
; COMPUTE_PGM_RSRC2:SCRATCH_EN: 0
; COMPUTE_PGM_RSRC2:USER_SGPR: 6
; COMPUTE_PGM_RSRC2:TRAP_HANDLER: 0
; COMPUTE_PGM_RSRC2:TGID_X_EN: 1
; COMPUTE_PGM_RSRC2:TGID_Y_EN: 0
; COMPUTE_PGM_RSRC2:TGID_Z_EN: 0
; COMPUTE_PGM_RSRC2:TIDIG_COMP_CNT: 0
	.section	.text._ZN2at6native12_GLOBAL__N_125multi_tensor_apply_kernelINS1_28TensorListScalarListMetadataIfLi1EEENS1_25BinaryOpScalarListFunctorIN3c108BFloat16ELi1ELi1ELi0EEEJNS0_7maximumIfEEEEEvT_T0_DpT1_,"axG",@progbits,_ZN2at6native12_GLOBAL__N_125multi_tensor_apply_kernelINS1_28TensorListScalarListMetadataIfLi1EEENS1_25BinaryOpScalarListFunctorIN3c108BFloat16ELi1ELi1ELi0EEEJNS0_7maximumIfEEEEEvT_T0_DpT1_,comdat
	.globl	_ZN2at6native12_GLOBAL__N_125multi_tensor_apply_kernelINS1_28TensorListScalarListMetadataIfLi1EEENS1_25BinaryOpScalarListFunctorIN3c108BFloat16ELi1ELi1ELi0EEEJNS0_7maximumIfEEEEEvT_T0_DpT1_ ; -- Begin function _ZN2at6native12_GLOBAL__N_125multi_tensor_apply_kernelINS1_28TensorListScalarListMetadataIfLi1EEENS1_25BinaryOpScalarListFunctorIN3c108BFloat16ELi1ELi1ELi0EEEJNS0_7maximumIfEEEEEvT_T0_DpT1_
	.p2align	8
	.type	_ZN2at6native12_GLOBAL__N_125multi_tensor_apply_kernelINS1_28TensorListScalarListMetadataIfLi1EEENS1_25BinaryOpScalarListFunctorIN3c108BFloat16ELi1ELi1ELi0EEEJNS0_7maximumIfEEEEEvT_T0_DpT1_,@function
_ZN2at6native12_GLOBAL__N_125multi_tensor_apply_kernelINS1_28TensorListScalarListMetadataIfLi1EEENS1_25BinaryOpScalarListFunctorIN3c108BFloat16ELi1ELi1ELi0EEEJNS0_7maximumIfEEEEEvT_T0_DpT1_: ; @_ZN2at6native12_GLOBAL__N_125multi_tensor_apply_kernelINS1_28TensorListScalarListMetadataIfLi1EEENS1_25BinaryOpScalarListFunctorIN3c108BFloat16ELi1ELi1ELi0EEEJNS0_7maximumIfEEEEEvT_T0_DpT1_
; %bb.0:
	v_mov_b32_e32 v1, s6
	s_add_u32 s0, s4, s6
	s_mul_i32 s1, s6, 3
	s_mul_hi_u32 s2, s6, 3
	s_addc_u32 s3, s5, 0
	global_load_ubyte v1, v1, s[4:5] offset:1920
	s_add_u32 s0, s0, s1
	s_addc_u32 s1, s3, s2
	s_mov_b32 s13, 0
	s_load_dword s0, s[0:1], 0x8c0
	s_waitcnt vmcnt(0)
	v_readfirstlane_b32 s1, v1
	v_lshlrev_b32_e32 v1, 2, v1
	s_lshl_b32 s8, s1, 3
	v_sub_co_u32 v1, s1, 0, v1
	v_sub_co_ci_u32_e64 v2, null, 0, 0, s1
	s_waitcnt lgkmcnt(0)
	s_ashr_i32 s1, s0, 31
	s_clause 0x1
	s_load_dwordx2 s[2:3], s[4:5], s8 offset:0x300
	s_load_dwordx2 s[6:7], s[4:5], s8 offset:0x0
	s_add_u32 s8, s4, s8
	s_addc_u32 s9, s5, 0
	v_add_co_u32 v1, vcc_lo, s8, v1
	v_add_co_ci_u32_e64 v2, null, s9, v2, vcc_lo
	v_readfirstlane_b32 s8, v1
	v_readfirstlane_b32 s9, v2
	s_load_dword s18, s[8:9], 0x600
	s_lshl_b64 s[8:9], s[0:1], 17
	s_lshl_b64 s[0:1], s[0:1], 16
	s_waitcnt lgkmcnt(0)
	s_and_b32 s12, s6, 7
	s_sub_u32 s10, s2, s0
	s_subb_u32 s11, s3, s1
	s_and_b32 s0, s2, 3
	s_mov_b32 s1, s13
	s_or_b64 s[0:1], s[12:13], s[0:1]
	s_cmp_eq_u64 s[0:1], 0
	s_cbranch_scc1 .LBB146_21
; %bb.1:
	v_cmp_lt_i64_e64 s0, s[10:11], 1
	s_and_b32 vcc_lo, exec_lo, s0
	s_cbranch_vccnz .LBB146_20
; %bb.2:
	s_load_dword s0, s[4:5], 0xdd4
	v_cmp_gt_i64_e64 s1, 0x10000, s[10:11]
	v_cmp_gt_u64_e64 s2, 0x10000, s[10:11]
	v_lshlrev_b32_e32 v1, 1, v0
	v_mov_b32_e32 v11, 0x7fc0
	s_and_b32 s1, s1, exec_lo
	s_cselect_b32 s13, s11, 0
	s_cselect_b32 s12, s10, 0x10000
	s_waitcnt lgkmcnt(0)
	s_and_b32 s0, s0, 0xffff
	s_and_b32 s1, s2, exec_lo
	v_add_co_u32 v5, s3, v0, s0
	s_cselect_b32 s15, s11, 0
	s_cselect_b32 s14, s10, 0x10000
	s_lshl_b32 s1, s0, 1
	v_lshlrev_b32_e32 v3, 1, v5
	s_mul_i32 s2, s0, 3
	s_lshl_b32 s19, s0, 2
	s_add_u32 s16, s6, s8
	v_add_co_u32 v6, s2, s2, v0
	v_add_co_u32 v9, s1, s1, v0
	s_addc_u32 s17, s7, s9
	v_add_co_ci_u32_e64 v7, null, 0, 0, s2
	v_add_co_u32 v1, s2, s16, v1
	v_add_co_ci_u32_e64 v10, null, 0, 0, s1
	v_add_co_u32 v3, s1, s16, v3
	v_add_co_ci_u32_e64 v2, null, s17, 0, s2
	v_add_co_ci_u32_e64 v8, null, 0, 0, s3
	;; [unrolled: 1-line block ×3, first 2 shown]
	s_lshl_b32 s20, s0, 3
	s_mul_i32 s21, s0, 6
	s_mov_b64 s[16:17], 0
	s_branch .LBB146_4
.LBB146_3:                              ;   in Loop: Header=BB146_4 Depth=1
	s_or_b32 exec_lo, exec_lo, s1
	s_add_u32 s16, s16, s19
	s_addc_u32 s17, s17, 0
	v_add_co_u32 v1, vcc_lo, v1, s20
	v_cmp_lt_i64_e64 s0, s[16:17], s[12:13]
	v_add_co_ci_u32_e64 v2, null, 0, v2, vcc_lo
	v_add_co_u32 v3, vcc_lo, v3, s20
	v_add_co_ci_u32_e64 v4, null, 0, v4, vcc_lo
	s_and_b32 vcc_lo, exec_lo, s0
	s_cbranch_vccz .LBB146_20
.LBB146_4:                              ; =>This Inner Loop Header: Depth=1
	v_add_co_u32 v12, s0, v0, s16
	v_add_co_ci_u32_e64 v13, null, 0, s17, s0
	v_cmp_gt_u64_e32 vcc_lo, s[14:15], v[12:13]
	v_mov_b32_e32 v13, 0
	s_and_saveexec_b32 s0, vcc_lo
	s_cbranch_execz .LBB146_6
; %bb.5:                                ;   in Loop: Header=BB146_4 Depth=1
	global_load_ushort v12, v[1:2], off
	s_waitcnt vmcnt(0)
	v_lshlrev_b32_e32 v13, 16, v12
.LBB146_6:                              ;   in Loop: Header=BB146_4 Depth=1
	s_or_b32 exec_lo, exec_lo, s0
	v_add_co_u32 v14, s0, v5, s16
	v_add_co_ci_u32_e64 v15, null, s17, v8, s0
	v_mov_b32_e32 v12, 0
	v_cmp_gt_u64_e64 s1, s[14:15], v[14:15]
	v_mov_b32_e32 v14, 0
	s_and_saveexec_b32 s0, s1
	s_cbranch_execz .LBB146_8
; %bb.7:                                ;   in Loop: Header=BB146_4 Depth=1
	global_load_ushort v14, v[3:4], off
	s_waitcnt vmcnt(0)
	v_lshlrev_b32_e32 v14, 16, v14
.LBB146_8:                              ;   in Loop: Header=BB146_4 Depth=1
	s_or_b32 exec_lo, exec_lo, s0
	v_add_co_u32 v15, s0, v9, s16
	v_add_co_ci_u32_e64 v16, null, s17, v10, s0
	v_cmp_gt_u64_e64 s2, s[14:15], v[15:16]
	s_and_saveexec_b32 s3, s2
	s_cbranch_execz .LBB146_10
; %bb.9:                                ;   in Loop: Header=BB146_4 Depth=1
	v_add_co_u32 v15, s0, v1, s19
	v_add_co_ci_u32_e64 v16, null, 0, v2, s0
	global_load_ushort v12, v[15:16], off
	s_waitcnt vmcnt(0)
	v_lshlrev_b32_e32 v12, 16, v12
.LBB146_10:                             ;   in Loop: Header=BB146_4 Depth=1
	s_or_b32 exec_lo, exec_lo, s3
	v_add_co_u32 v15, s0, v6, s16
	v_add_co_ci_u32_e64 v16, null, s17, v7, s0
	v_cmp_gt_u64_e64 s0, s[14:15], v[15:16]
	v_mov_b32_e32 v15, 0
	s_and_saveexec_b32 s22, s0
	s_cbranch_execnz .LBB146_15
; %bb.11:                               ;   in Loop: Header=BB146_4 Depth=1
	s_or_b32 exec_lo, exec_lo, s22
	s_and_saveexec_b32 s22, vcc_lo
	s_cbranch_execnz .LBB146_16
.LBB146_12:                             ;   in Loop: Header=BB146_4 Depth=1
	s_or_b32 exec_lo, exec_lo, s22
	s_and_saveexec_b32 s3, s1
	s_cbranch_execnz .LBB146_17
.LBB146_13:                             ;   in Loop: Header=BB146_4 Depth=1
	s_or_b32 exec_lo, exec_lo, s3
	s_and_saveexec_b32 s3, s2
	s_cbranch_execnz .LBB146_18
.LBB146_14:                             ;   in Loop: Header=BB146_4 Depth=1
	s_or_b32 exec_lo, exec_lo, s3
	s_and_saveexec_b32 s1, s0
	s_cbranch_execz .LBB146_3
	s_branch .LBB146_19
.LBB146_15:                             ;   in Loop: Header=BB146_4 Depth=1
	v_add_co_u32 v15, s3, v1, s21
	v_add_co_ci_u32_e64 v16, null, 0, v2, s3
	global_load_ushort v15, v[15:16], off
	s_waitcnt vmcnt(0)
	v_lshlrev_b32_e32 v15, 16, v15
	s_or_b32 exec_lo, exec_lo, s22
	s_and_saveexec_b32 s22, vcc_lo
	s_cbranch_execz .LBB146_12
.LBB146_16:                             ;   in Loop: Header=BB146_4 Depth=1
	v_cmp_u_f32_e32 vcc_lo, v13, v13
	v_cmp_lt_f32_e64 s3, s18, v13
	s_or_b32 vcc_lo, vcc_lo, s3
	v_cndmask_b32_e32 v13, s18, v13, vcc_lo
	v_bfe_u32 v16, v13, 16, 1
	v_cmp_o_f32_e32 vcc_lo, v13, v13
	v_add3_u32 v13, v13, v16, 0x7fff
	v_cndmask_b32_sdwa v13, v11, v13, vcc_lo dst_sel:DWORD dst_unused:UNUSED_PAD src0_sel:DWORD src1_sel:WORD_1
	global_store_short v[1:2], v13, off
	s_or_b32 exec_lo, exec_lo, s22
	s_and_saveexec_b32 s3, s1
	s_cbranch_execz .LBB146_13
.LBB146_17:                             ;   in Loop: Header=BB146_4 Depth=1
	v_cmp_u_f32_e32 vcc_lo, v14, v14
	v_cmp_lt_f32_e64 s1, s18, v14
	s_or_b32 vcc_lo, vcc_lo, s1
	v_cndmask_b32_e32 v13, s18, v14, vcc_lo
	v_bfe_u32 v14, v13, 16, 1
	v_cmp_o_f32_e32 vcc_lo, v13, v13
	v_add3_u32 v13, v13, v14, 0x7fff
	v_cndmask_b32_sdwa v13, v11, v13, vcc_lo dst_sel:DWORD dst_unused:UNUSED_PAD src0_sel:DWORD src1_sel:WORD_1
	global_store_short v[3:4], v13, off
	s_or_b32 exec_lo, exec_lo, s3
	s_and_saveexec_b32 s3, s2
	s_cbranch_execz .LBB146_14
.LBB146_18:                             ;   in Loop: Header=BB146_4 Depth=1
	v_cmp_u_f32_e32 vcc_lo, v12, v12
	v_cmp_lt_f32_e64 s1, s18, v12
	s_or_b32 vcc_lo, vcc_lo, s1
	v_cndmask_b32_e32 v12, s18, v12, vcc_lo
	v_bfe_u32 v13, v12, 16, 1
	v_cmp_o_f32_e32 vcc_lo, v12, v12
	v_add3_u32 v12, v12, v13, 0x7fff
	v_cndmask_b32_sdwa v14, v11, v12, vcc_lo dst_sel:DWORD dst_unused:UNUSED_PAD src0_sel:DWORD src1_sel:WORD_1
	v_add_co_u32 v12, vcc_lo, v1, s19
	v_add_co_ci_u32_e64 v13, null, 0, v2, vcc_lo
	global_store_short v[12:13], v14, off
	s_or_b32 exec_lo, exec_lo, s3
	s_and_saveexec_b32 s1, s0
	s_cbranch_execz .LBB146_3
.LBB146_19:                             ;   in Loop: Header=BB146_4 Depth=1
	v_cmp_u_f32_e32 vcc_lo, v15, v15
	v_cmp_lt_f32_e64 s0, s18, v15
	s_or_b32 vcc_lo, vcc_lo, s0
	v_cndmask_b32_e32 v12, s18, v15, vcc_lo
	v_bfe_u32 v13, v12, 16, 1
	v_cmp_o_f32_e32 vcc_lo, v12, v12
	v_add3_u32 v12, v12, v13, 0x7fff
	v_cndmask_b32_sdwa v14, v11, v12, vcc_lo dst_sel:DWORD dst_unused:UNUSED_PAD src0_sel:DWORD src1_sel:WORD_1
	v_add_co_u32 v12, vcc_lo, v1, s21
	v_add_co_ci_u32_e64 v13, null, 0, v2, vcc_lo
	global_store_short v[12:13], v14, off
	s_branch .LBB146_3
.LBB146_20:
	s_cbranch_execz .LBB146_22
	s_branch .LBB146_25
.LBB146_21:
.LBB146_22:
	v_cmp_gt_i64_e64 s0, 0x10000, s[10:11]
	v_mov_b32_e32 v2, 0
	v_lshlrev_b32_e32 v1, 2, v0
	s_mov_b32 s12, 0
	s_and_b32 s0, s0, exec_lo
	s_cselect_b32 s11, s11, 0
	s_cselect_b32 s10, s10, 0x10000
	s_mov_b32 s0, exec_lo
	v_cmpx_gt_i64_e64 s[10:11], v[1:2]
	s_cbranch_execz .LBB146_25
; %bb.23:
	s_load_dword s0, s[4:5], 0xdd4
	v_mov_b32_e32 v1, v2
	v_lshlrev_b32_e32 v2, 3, v0
	s_waitcnt lgkmcnt(0)
	s_and_b32 s5, s0, 0xffff
	s_add_u32 s0, s6, s8
	s_addc_u32 s1, s7, s9
	v_add_co_u32 v2, s0, s0, v2
	v_add_co_ci_u32_e64 v3, null, s1, 0, s0
	s_lshl_b32 s6, s5, 3
.LBB146_24:                             ; =>This Inner Loop Header: Depth=1
	global_load_dwordx2 v[4:5], v[2:3], off
	s_waitcnt vmcnt(0)
	v_and_b32_e32 v7, 0xffff0000, v4
	v_lshlrev_b32_e32 v6, 16, v4
	v_alignbit_b32 v4, v5, v4, 16
	v_and_b32_e32 v5, 0xffff0000, v5
	v_cmp_u_f32_e64 s1, v7, v7
	v_cmp_lt_f32_e64 s2, s18, v7
	v_cmp_u_f32_e32 vcc_lo, v6, v6
	v_cmp_lt_f32_e64 s0, s18, v6
	v_and_b32_e32 v4, 0xffff0000, v4
	v_cmp_u_f32_e64 s3, v5, v5
	s_or_b32 s1, s1, s2
	v_cmp_lt_f32_e64 s4, s18, v5
	v_cndmask_b32_e64 v7, s18, v7, s1
	s_or_b32 vcc_lo, vcc_lo, s0
	v_cmp_lt_f32_e64 s0, s18, v4
	v_cndmask_b32_e32 v6, s18, v6, vcc_lo
	v_cmp_u_f32_e32 vcc_lo, v4, v4
	v_bfe_u32 v9, v7, 16, 1
	s_or_b32 s1, s3, s4
	v_cndmask_b32_e64 v5, s18, v5, s1
	v_bfe_u32 v8, v6, 16, 1
	v_add3_u32 v9, v7, v9, 0x7fff
	s_or_b32 vcc_lo, vcc_lo, s0
	v_cndmask_b32_e32 v4, s18, v4, vcc_lo
	v_add_co_u32 v0, vcc_lo, v0, s5
	v_bfe_u32 v10, v5, 16, 1
	v_add3_u32 v8, v6, v8, 0x7fff
	v_add_co_ci_u32_e64 v1, null, 0, v1, vcc_lo
	v_and_b32_e32 v9, 0xffff0000, v9
	v_cmp_o_f32_e32 vcc_lo, v7, v7
	v_bfe_u32 v11, v4, 16, 1
	v_add3_u32 v10, v5, v10, 0x7fff
	v_lshrrev_b32_e32 v8, 16, v8
	v_cndmask_b32_e32 v7, 0x7fc00000, v9, vcc_lo
	v_cmp_o_f32_e32 vcc_lo, v6, v6
	v_add3_u32 v11, v4, v11, 0x7fff
	v_and_b32_e32 v10, 0xffff0000, v10
	v_cndmask_b32_e32 v6, 0x7fc0, v8, vcc_lo
	v_cmp_o_f32_e32 vcc_lo, v5, v5
	v_lshrrev_b32_e32 v11, 16, v11
	v_or_b32_e32 v6, v6, v7
	v_cndmask_b32_e32 v8, 0x7fc00000, v10, vcc_lo
	v_cmp_o_f32_e32 vcc_lo, v4, v4
	v_lshlrev_b64 v[4:5], 2, v[0:1]
	v_or3_b32 v6, v6, 0, 0
	v_cndmask_b32_e32 v9, 0x7fc0, v11, vcc_lo
	v_cmp_le_i64_e32 vcc_lo, s[10:11], v[4:5]
	v_or3_b32 v7, 0, v9, v8
	s_or_b32 s12, vcc_lo, s12
	global_store_dwordx2 v[2:3], v[6:7], off
	v_add_co_u32 v2, s0, v2, s6
	v_add_co_ci_u32_e64 v3, null, 0, v3, s0
	s_andn2_b32 exec_lo, exec_lo, s12
	s_cbranch_execnz .LBB146_24
.LBB146_25:
	s_endpgm
	.section	.rodata,"a",@progbits
	.p2align	6, 0x0
	.amdhsa_kernel _ZN2at6native12_GLOBAL__N_125multi_tensor_apply_kernelINS1_28TensorListScalarListMetadataIfLi1EEENS1_25BinaryOpScalarListFunctorIN3c108BFloat16ELi1ELi1ELi0EEEJNS0_7maximumIfEEEEEvT_T0_DpT1_
		.amdhsa_group_segment_fixed_size 0
		.amdhsa_private_segment_fixed_size 0
		.amdhsa_kernarg_size 3784
		.amdhsa_user_sgpr_count 6
		.amdhsa_user_sgpr_private_segment_buffer 1
		.amdhsa_user_sgpr_dispatch_ptr 0
		.amdhsa_user_sgpr_queue_ptr 0
		.amdhsa_user_sgpr_kernarg_segment_ptr 1
		.amdhsa_user_sgpr_dispatch_id 0
		.amdhsa_user_sgpr_flat_scratch_init 0
		.amdhsa_user_sgpr_private_segment_size 0
		.amdhsa_wavefront_size32 1
		.amdhsa_uses_dynamic_stack 0
		.amdhsa_system_sgpr_private_segment_wavefront_offset 0
		.amdhsa_system_sgpr_workgroup_id_x 1
		.amdhsa_system_sgpr_workgroup_id_y 0
		.amdhsa_system_sgpr_workgroup_id_z 0
		.amdhsa_system_sgpr_workgroup_info 0
		.amdhsa_system_vgpr_workitem_id 0
		.amdhsa_next_free_vgpr 17
		.amdhsa_next_free_sgpr 23
		.amdhsa_reserve_vcc 1
		.amdhsa_reserve_flat_scratch 0
		.amdhsa_float_round_mode_32 0
		.amdhsa_float_round_mode_16_64 0
		.amdhsa_float_denorm_mode_32 3
		.amdhsa_float_denorm_mode_16_64 3
		.amdhsa_dx10_clamp 1
		.amdhsa_ieee_mode 1
		.amdhsa_fp16_overflow 0
		.amdhsa_workgroup_processor_mode 1
		.amdhsa_memory_ordered 1
		.amdhsa_forward_progress 1
		.amdhsa_shared_vgpr_count 0
		.amdhsa_exception_fp_ieee_invalid_op 0
		.amdhsa_exception_fp_denorm_src 0
		.amdhsa_exception_fp_ieee_div_zero 0
		.amdhsa_exception_fp_ieee_overflow 0
		.amdhsa_exception_fp_ieee_underflow 0
		.amdhsa_exception_fp_ieee_inexact 0
		.amdhsa_exception_int_div_zero 0
	.end_amdhsa_kernel
	.section	.text._ZN2at6native12_GLOBAL__N_125multi_tensor_apply_kernelINS1_28TensorListScalarListMetadataIfLi1EEENS1_25BinaryOpScalarListFunctorIN3c108BFloat16ELi1ELi1ELi0EEEJNS0_7maximumIfEEEEEvT_T0_DpT1_,"axG",@progbits,_ZN2at6native12_GLOBAL__N_125multi_tensor_apply_kernelINS1_28TensorListScalarListMetadataIfLi1EEENS1_25BinaryOpScalarListFunctorIN3c108BFloat16ELi1ELi1ELi0EEEJNS0_7maximumIfEEEEEvT_T0_DpT1_,comdat
.Lfunc_end146:
	.size	_ZN2at6native12_GLOBAL__N_125multi_tensor_apply_kernelINS1_28TensorListScalarListMetadataIfLi1EEENS1_25BinaryOpScalarListFunctorIN3c108BFloat16ELi1ELi1ELi0EEEJNS0_7maximumIfEEEEEvT_T0_DpT1_, .Lfunc_end146-_ZN2at6native12_GLOBAL__N_125multi_tensor_apply_kernelINS1_28TensorListScalarListMetadataIfLi1EEENS1_25BinaryOpScalarListFunctorIN3c108BFloat16ELi1ELi1ELi0EEEJNS0_7maximumIfEEEEEvT_T0_DpT1_
                                        ; -- End function
	.set _ZN2at6native12_GLOBAL__N_125multi_tensor_apply_kernelINS1_28TensorListScalarListMetadataIfLi1EEENS1_25BinaryOpScalarListFunctorIN3c108BFloat16ELi1ELi1ELi0EEEJNS0_7maximumIfEEEEEvT_T0_DpT1_.num_vgpr, 17
	.set _ZN2at6native12_GLOBAL__N_125multi_tensor_apply_kernelINS1_28TensorListScalarListMetadataIfLi1EEENS1_25BinaryOpScalarListFunctorIN3c108BFloat16ELi1ELi1ELi0EEEJNS0_7maximumIfEEEEEvT_T0_DpT1_.num_agpr, 0
	.set _ZN2at6native12_GLOBAL__N_125multi_tensor_apply_kernelINS1_28TensorListScalarListMetadataIfLi1EEENS1_25BinaryOpScalarListFunctorIN3c108BFloat16ELi1ELi1ELi0EEEJNS0_7maximumIfEEEEEvT_T0_DpT1_.numbered_sgpr, 23
	.set _ZN2at6native12_GLOBAL__N_125multi_tensor_apply_kernelINS1_28TensorListScalarListMetadataIfLi1EEENS1_25BinaryOpScalarListFunctorIN3c108BFloat16ELi1ELi1ELi0EEEJNS0_7maximumIfEEEEEvT_T0_DpT1_.num_named_barrier, 0
	.set _ZN2at6native12_GLOBAL__N_125multi_tensor_apply_kernelINS1_28TensorListScalarListMetadataIfLi1EEENS1_25BinaryOpScalarListFunctorIN3c108BFloat16ELi1ELi1ELi0EEEJNS0_7maximumIfEEEEEvT_T0_DpT1_.private_seg_size, 0
	.set _ZN2at6native12_GLOBAL__N_125multi_tensor_apply_kernelINS1_28TensorListScalarListMetadataIfLi1EEENS1_25BinaryOpScalarListFunctorIN3c108BFloat16ELi1ELi1ELi0EEEJNS0_7maximumIfEEEEEvT_T0_DpT1_.uses_vcc, 1
	.set _ZN2at6native12_GLOBAL__N_125multi_tensor_apply_kernelINS1_28TensorListScalarListMetadataIfLi1EEENS1_25BinaryOpScalarListFunctorIN3c108BFloat16ELi1ELi1ELi0EEEJNS0_7maximumIfEEEEEvT_T0_DpT1_.uses_flat_scratch, 0
	.set _ZN2at6native12_GLOBAL__N_125multi_tensor_apply_kernelINS1_28TensorListScalarListMetadataIfLi1EEENS1_25BinaryOpScalarListFunctorIN3c108BFloat16ELi1ELi1ELi0EEEJNS0_7maximumIfEEEEEvT_T0_DpT1_.has_dyn_sized_stack, 0
	.set _ZN2at6native12_GLOBAL__N_125multi_tensor_apply_kernelINS1_28TensorListScalarListMetadataIfLi1EEENS1_25BinaryOpScalarListFunctorIN3c108BFloat16ELi1ELi1ELi0EEEJNS0_7maximumIfEEEEEvT_T0_DpT1_.has_recursion, 0
	.set _ZN2at6native12_GLOBAL__N_125multi_tensor_apply_kernelINS1_28TensorListScalarListMetadataIfLi1EEENS1_25BinaryOpScalarListFunctorIN3c108BFloat16ELi1ELi1ELi0EEEJNS0_7maximumIfEEEEEvT_T0_DpT1_.has_indirect_call, 0
	.section	.AMDGPU.csdata,"",@progbits
; Kernel info:
; codeLenInByte = 1604
; TotalNumSgprs: 25
; NumVgprs: 17
; ScratchSize: 0
; MemoryBound: 0
; FloatMode: 240
; IeeeMode: 1
; LDSByteSize: 0 bytes/workgroup (compile time only)
; SGPRBlocks: 0
; VGPRBlocks: 2
; NumSGPRsForWavesPerEU: 25
; NumVGPRsForWavesPerEU: 17
; Occupancy: 16
; WaveLimiterHint : 0
; COMPUTE_PGM_RSRC2:SCRATCH_EN: 0
; COMPUTE_PGM_RSRC2:USER_SGPR: 6
; COMPUTE_PGM_RSRC2:TRAP_HANDLER: 0
; COMPUTE_PGM_RSRC2:TGID_X_EN: 1
; COMPUTE_PGM_RSRC2:TGID_Y_EN: 0
; COMPUTE_PGM_RSRC2:TGID_Z_EN: 0
; COMPUTE_PGM_RSRC2:TIDIG_COMP_CNT: 0
	.section	.text._ZN2at6native12_GLOBAL__N_125multi_tensor_apply_kernelINS1_28TensorListScalarListMetadataIhLi2EEENS1_25BinaryOpScalarListFunctorIhLi2ELi1ELi1EEEJNS0_7maximumIhEEEEEvT_T0_DpT1_,"axG",@progbits,_ZN2at6native12_GLOBAL__N_125multi_tensor_apply_kernelINS1_28TensorListScalarListMetadataIhLi2EEENS1_25BinaryOpScalarListFunctorIhLi2ELi1ELi1EEEJNS0_7maximumIhEEEEEvT_T0_DpT1_,comdat
	.globl	_ZN2at6native12_GLOBAL__N_125multi_tensor_apply_kernelINS1_28TensorListScalarListMetadataIhLi2EEENS1_25BinaryOpScalarListFunctorIhLi2ELi1ELi1EEEJNS0_7maximumIhEEEEEvT_T0_DpT1_ ; -- Begin function _ZN2at6native12_GLOBAL__N_125multi_tensor_apply_kernelINS1_28TensorListScalarListMetadataIhLi2EEENS1_25BinaryOpScalarListFunctorIhLi2ELi1ELi1EEEJNS0_7maximumIhEEEEEvT_T0_DpT1_
	.p2align	8
	.type	_ZN2at6native12_GLOBAL__N_125multi_tensor_apply_kernelINS1_28TensorListScalarListMetadataIhLi2EEENS1_25BinaryOpScalarListFunctorIhLi2ELi1ELi1EEEJNS0_7maximumIhEEEEEvT_T0_DpT1_,@function
_ZN2at6native12_GLOBAL__N_125multi_tensor_apply_kernelINS1_28TensorListScalarListMetadataIhLi2EEENS1_25BinaryOpScalarListFunctorIhLi2ELi1ELi1EEEJNS0_7maximumIhEEEEEvT_T0_DpT1_: ; @_ZN2at6native12_GLOBAL__N_125multi_tensor_apply_kernelINS1_28TensorListScalarListMetadataIhLi2EEENS1_25BinaryOpScalarListFunctorIhLi2ELi1ELi1EEEJNS0_7maximumIhEEEEEvT_T0_DpT1_
; %bb.0:
	v_mov_b32_e32 v1, s6
	s_mul_hi_u32 s1, s6, 3
	global_load_ubyte v3, v1, s[4:5] offset:1600
	s_waitcnt vmcnt(0)
	v_add_co_u32 v1, s0, s4, v3
	v_add_co_ci_u32_e64 v2, null, s5, 0, s0
	s_add_u32 s0, s4, s6
	s_mul_i32 s6, s6, 3
	s_addc_u32 s2, s5, 0
	global_load_ubyte v1, v[1:2], off offset:1536
	s_add_u32 s0, s0, s6
	s_addc_u32 s1, s2, s1
	v_readfirstlane_b32 s3, v3
	s_load_dword s0, s[0:1], 0x780
	s_lshl_b32 s1, s3, 3
	s_clause 0x2
	s_load_dwordx2 s[6:7], s[4:5], s1 offset:0x0
	s_load_dwordx2 s[2:3], s[4:5], s1 offset:0x400
	;; [unrolled: 1-line block ×3, first 2 shown]
	s_waitcnt lgkmcnt(0)
	s_ashr_i32 s1, s0, 31
	s_lshl_b64 s[10:11], s[0:1], 16
	s_add_u32 s0, s6, s10
	s_sub_u32 s12, s2, s10
	s_subb_u32 s13, s3, s11
	s_or_b32 s1, s2, s8
	s_or_b32 s0, s1, s0
	s_and_b32 s0, s0, 3
	s_cmp_eq_u32 s0, 0
	s_mov_b32 s0, -1
	s_waitcnt vmcnt(0)
	v_readfirstlane_b32 s20, v1
	s_cbranch_scc1 .LBB147_21
; %bb.1:
	v_cmp_lt_i64_e64 s0, s[12:13], 1
	s_and_b32 vcc_lo, exec_lo, s0
	s_cbranch_vccnz .LBB147_20
; %bb.2:
	s_load_dword s0, s[4:5], 0xc94
	v_cmp_gt_i64_e64 s1, 0x10000, s[12:13]
	v_add_co_u32 v15, s2, s10, v0
	v_add_co_ci_u32_e64 v16, null, s11, 0, s2
	v_cmp_gt_u64_e64 s2, 0x10000, s[12:13]
	s_and_b32 s1, s1, exec_lo
	s_cselect_b32 s15, s13, 0
	s_cselect_b32 s14, s12, 0x10000
	v_add_co_u32 v1, vcc_lo, s6, v15
	v_add_co_ci_u32_e64 v2, null, s7, v16, vcc_lo
	v_add_co_u32 v3, vcc_lo, s8, v15
	v_add_co_ci_u32_e64 v4, null, s9, v16, vcc_lo
	s_waitcnt lgkmcnt(0)
	s_and_b32 s0, s0, 0xffff
	s_and_b32 s1, s2, exec_lo
	s_mul_i32 s2, s0, 3
	s_cselect_b32 s17, s13, 0
	s_cselect_b32 s16, s12, 0x10000
	s_lshl_b32 s1, s0, 1
	s_lshl_b32 s21, s0, 2
	s_add_u32 s3, s10, s2
	s_addc_u32 s18, s11, 0
	v_add_co_u32 v7, s3, s3, v0
	v_add_co_ci_u32_e64 v8, null, s18, 0, s3
	s_add_u32 s3, s10, s1
	s_addc_u32 s18, s11, 0
	v_add_co_u32 v13, s3, s3, v0
	v_add_co_u32 v5, vcc_lo, s6, v7
	v_add_co_ci_u32_e64 v14, null, s18, 0, s3
	v_add_co_ci_u32_e64 v6, null, s7, v8, vcc_lo
	v_add_co_u32 v7, vcc_lo, s8, v7
	v_add_co_ci_u32_e64 v8, null, s9, v8, vcc_lo
	v_add_co_u32 v11, vcc_lo, s6, v13
	;; [unrolled: 2-line block ×4, first 2 shown]
	v_add_co_ci_u32_e64 v20, null, 0, v16, vcc_lo
	v_add_co_u32 v9, s2, s2, v0
	v_add_co_u32 v17, vcc_lo, s6, v19
	v_add_co_u32 v15, s1, s1, v0
	v_add_co_ci_u32_e64 v18, null, s7, v20, vcc_lo
	v_add_co_u32 v19, vcc_lo, s8, v19
	v_add_co_u32 v21, s0, v0, s0
	v_add_co_ci_u32_e64 v10, null, 0, 0, s2
	v_add_co_ci_u32_e64 v16, null, 0, 0, s1
	v_add_co_ci_u32_e64 v20, null, s9, v20, vcc_lo
	v_add_co_ci_u32_e64 v22, null, 0, 0, s0
	s_mov_b64 s[18:19], 0
	s_and_b32 s22, s20, 0xff
	s_branch .LBB147_4
.LBB147_3:                              ;   in Loop: Header=BB147_4 Depth=1
	s_or_b32 exec_lo, exec_lo, s0
	s_add_u32 s18, s18, s21
	s_addc_u32 s19, s19, 0
	v_cmp_lt_i64_e64 s0, s[18:19], s[14:15]
	s_and_b32 vcc_lo, exec_lo, s0
	s_cbranch_vccz .LBB147_20
.LBB147_4:                              ; =>This Inner Loop Header: Depth=1
	v_add_co_u32 v23, s0, v0, s18
	v_add_co_ci_u32_e64 v24, null, 0, s19, s0
	v_cmp_gt_u64_e32 vcc_lo, s[16:17], v[23:24]
	v_mov_b32_e32 v23, s20
	s_and_saveexec_b32 s1, vcc_lo
	s_cbranch_execz .LBB147_6
; %bb.5:                                ;   in Loop: Header=BB147_4 Depth=1
	v_add_co_u32 v23, s0, v1, s18
	v_add_co_ci_u32_e64 v24, null, s19, v2, s0
	global_load_ubyte v23, v[23:24], off
	s_waitcnt vmcnt(0)
	v_max_u16 v23, v23, s22
.LBB147_6:                              ;   in Loop: Header=BB147_4 Depth=1
	s_or_b32 exec_lo, exec_lo, s1
	v_add_co_u32 v24, s0, v21, s18
	v_add_co_ci_u32_e64 v25, null, s19, v22, s0
	v_cmp_gt_u64_e64 s0, s[16:17], v[24:25]
	v_mov_b32_e32 v24, s20
	s_and_saveexec_b32 s2, s0
	s_cbranch_execz .LBB147_8
; %bb.7:                                ;   in Loop: Header=BB147_4 Depth=1
	v_add_co_u32 v24, s1, v17, s18
	v_add_co_ci_u32_e64 v25, null, s19, v18, s1
	global_load_ubyte v24, v[24:25], off
	s_waitcnt vmcnt(0)
	v_max_u16 v24, v24, s22
.LBB147_8:                              ;   in Loop: Header=BB147_4 Depth=1
	s_or_b32 exec_lo, exec_lo, s2
	v_add_co_u32 v25, s1, v15, s18
	v_add_co_ci_u32_e64 v26, null, s19, v16, s1
	v_cmp_gt_u64_e64 s1, s[16:17], v[25:26]
	v_mov_b32_e32 v25, s20
	s_and_saveexec_b32 s3, s1
	s_cbranch_execz .LBB147_10
; %bb.9:                                ;   in Loop: Header=BB147_4 Depth=1
	v_add_co_u32 v25, s2, v11, s18
	v_add_co_ci_u32_e64 v26, null, s19, v12, s2
	global_load_ubyte v25, v[25:26], off
	s_waitcnt vmcnt(0)
	v_max_u16 v25, v25, s22
.LBB147_10:                             ;   in Loop: Header=BB147_4 Depth=1
	s_or_b32 exec_lo, exec_lo, s3
	v_add_co_u32 v26, s2, v9, s18
	v_add_co_ci_u32_e64 v27, null, s19, v10, s2
	v_cmp_gt_u64_e64 s2, s[16:17], v[26:27]
	v_mov_b32_e32 v26, s20
	s_and_saveexec_b32 s23, s2
	s_cbranch_execnz .LBB147_15
; %bb.11:                               ;   in Loop: Header=BB147_4 Depth=1
	s_or_b32 exec_lo, exec_lo, s23
	s_and_saveexec_b32 s3, vcc_lo
	s_cbranch_execnz .LBB147_16
.LBB147_12:                             ;   in Loop: Header=BB147_4 Depth=1
	s_or_b32 exec_lo, exec_lo, s3
	s_and_saveexec_b32 s3, s0
	s_cbranch_execnz .LBB147_17
.LBB147_13:                             ;   in Loop: Header=BB147_4 Depth=1
	s_or_b32 exec_lo, exec_lo, s3
	s_and_saveexec_b32 s0, s1
	s_cbranch_execnz .LBB147_18
.LBB147_14:                             ;   in Loop: Header=BB147_4 Depth=1
	s_or_b32 exec_lo, exec_lo, s0
	s_and_saveexec_b32 s0, s2
	s_cbranch_execz .LBB147_3
	s_branch .LBB147_19
.LBB147_15:                             ;   in Loop: Header=BB147_4 Depth=1
	v_add_co_u32 v26, s3, v5, s18
	v_add_co_ci_u32_e64 v27, null, s19, v6, s3
	global_load_ubyte v26, v[26:27], off
	s_waitcnt vmcnt(0)
	v_max_u16 v26, v26, s22
	s_or_b32 exec_lo, exec_lo, s23
	s_and_saveexec_b32 s3, vcc_lo
	s_cbranch_execz .LBB147_12
.LBB147_16:                             ;   in Loop: Header=BB147_4 Depth=1
	v_add_co_u32 v27, vcc_lo, v3, s18
	v_add_co_ci_u32_e64 v28, null, s19, v4, vcc_lo
	global_store_byte v[27:28], v23, off
	s_or_b32 exec_lo, exec_lo, s3
	s_and_saveexec_b32 s3, s0
	s_cbranch_execz .LBB147_13
.LBB147_17:                             ;   in Loop: Header=BB147_4 Depth=1
	v_add_co_u32 v27, vcc_lo, v19, s18
	v_add_co_ci_u32_e64 v28, null, s19, v20, vcc_lo
	global_store_byte v[27:28], v24, off
	s_or_b32 exec_lo, exec_lo, s3
	s_and_saveexec_b32 s0, s1
	s_cbranch_execz .LBB147_14
.LBB147_18:                             ;   in Loop: Header=BB147_4 Depth=1
	v_add_co_u32 v23, vcc_lo, v13, s18
	v_add_co_ci_u32_e64 v24, null, s19, v14, vcc_lo
	global_store_byte v[23:24], v25, off
	s_or_b32 exec_lo, exec_lo, s0
	s_and_saveexec_b32 s0, s2
	s_cbranch_execz .LBB147_3
.LBB147_19:                             ;   in Loop: Header=BB147_4 Depth=1
	v_add_co_u32 v23, vcc_lo, v7, s18
	v_add_co_ci_u32_e64 v24, null, s19, v8, vcc_lo
	global_store_byte v[23:24], v26, off
	s_branch .LBB147_3
.LBB147_20:
	s_mov_b32 s0, 0
.LBB147_21:
	s_andn2_b32 vcc_lo, exec_lo, s0
	s_cbranch_vccnz .LBB147_25
; %bb.22:
	v_cmp_gt_i64_e64 s0, 0x10000, s[12:13]
	v_mov_b32_e32 v3, 0
	v_lshlrev_b32_e32 v2, 2, v0
	s_mov_b32 s1, 0
	s_and_b32 s0, s0, exec_lo
	s_cselect_b32 s3, s13, 0
	s_cselect_b32 s2, s12, 0x10000
	s_mov_b32 s0, exec_lo
	v_cmpx_gt_i64_e64 s[2:3], v[2:3]
	s_cbranch_execz .LBB147_25
; %bb.23:
	s_load_dword s0, s[4:5], 0xc94
	v_add_co_u32 v2, s4, s10, v2
	v_mov_b32_e32 v1, v3
	v_add_co_ci_u32_e64 v3, null, s11, 0, s4
	v_mov_b32_e32 v4, 0xff
	s_and_b32 s10, s20, 0xff
	s_waitcnt lgkmcnt(0)
	s_and_b32 s4, s0, 0xffff
	s_lshl_b32 s5, s4, 2
.LBB147_24:                             ; =>This Inner Loop Header: Depth=1
	v_add_co_u32 v5, vcc_lo, s6, v2
	v_add_co_ci_u32_e64 v6, null, s7, v3, vcc_lo
	v_add_co_u32 v0, vcc_lo, v0, s4
	v_add_co_ci_u32_e64 v1, null, 0, v1, vcc_lo
	global_load_dword v6, v[5:6], off
	v_add_co_u32 v5, vcc_lo, s8, v2
	v_lshlrev_b64 v[7:8], 2, v[0:1]
	v_add_co_u32 v2, s0, v2, s5
	s_waitcnt vmcnt(0)
	v_lshrrev_b32_e32 v9, 8, v6
	v_lshrrev_b32_e32 v10, 24, v6
	v_and_b32_e32 v11, 0xff, v6
	v_and_b32_sdwa v6, v6, v4 dst_sel:DWORD dst_unused:UNUSED_PAD src0_sel:WORD_1 src1_sel:DWORD
	v_and_b32_e32 v9, 0xff, v9
	v_max_u16 v10, v10, s10
	v_max_u16 v11, v11, s10
	;; [unrolled: 1-line block ×3, first 2 shown]
	v_add_co_ci_u32_e64 v6, null, s9, v3, vcc_lo
	v_max_u16 v9, v9, s10
	v_lshlrev_b16 v10, 8, v10
	v_cmp_le_i64_e32 vcc_lo, s[2:3], v[7:8]
	v_add_co_ci_u32_e64 v3, null, 0, v3, s0
	v_lshlrev_b16 v9, 8, v9
	v_or_b32_sdwa v10, v12, v10 dst_sel:WORD_1 dst_unused:UNUSED_PAD src0_sel:DWORD src1_sel:DWORD
	s_or_b32 s1, vcc_lo, s1
	v_or_b32_e32 v9, v11, v9
	v_or_b32_sdwa v7, v9, v10 dst_sel:DWORD dst_unused:UNUSED_PAD src0_sel:WORD_0 src1_sel:DWORD
	global_store_dword v[5:6], v7, off
	s_andn2_b32 exec_lo, exec_lo, s1
	s_cbranch_execnz .LBB147_24
.LBB147_25:
	s_endpgm
	.section	.rodata,"a",@progbits
	.p2align	6, 0x0
	.amdhsa_kernel _ZN2at6native12_GLOBAL__N_125multi_tensor_apply_kernelINS1_28TensorListScalarListMetadataIhLi2EEENS1_25BinaryOpScalarListFunctorIhLi2ELi1ELi1EEEJNS0_7maximumIhEEEEEvT_T0_DpT1_
		.amdhsa_group_segment_fixed_size 0
		.amdhsa_private_segment_fixed_size 0
		.amdhsa_kernarg_size 3464
		.amdhsa_user_sgpr_count 6
		.amdhsa_user_sgpr_private_segment_buffer 1
		.amdhsa_user_sgpr_dispatch_ptr 0
		.amdhsa_user_sgpr_queue_ptr 0
		.amdhsa_user_sgpr_kernarg_segment_ptr 1
		.amdhsa_user_sgpr_dispatch_id 0
		.amdhsa_user_sgpr_flat_scratch_init 0
		.amdhsa_user_sgpr_private_segment_size 0
		.amdhsa_wavefront_size32 1
		.amdhsa_uses_dynamic_stack 0
		.amdhsa_system_sgpr_private_segment_wavefront_offset 0
		.amdhsa_system_sgpr_workgroup_id_x 1
		.amdhsa_system_sgpr_workgroup_id_y 0
		.amdhsa_system_sgpr_workgroup_id_z 0
		.amdhsa_system_sgpr_workgroup_info 0
		.amdhsa_system_vgpr_workitem_id 0
		.amdhsa_next_free_vgpr 29
		.amdhsa_next_free_sgpr 24
		.amdhsa_reserve_vcc 1
		.amdhsa_reserve_flat_scratch 0
		.amdhsa_float_round_mode_32 0
		.amdhsa_float_round_mode_16_64 0
		.amdhsa_float_denorm_mode_32 3
		.amdhsa_float_denorm_mode_16_64 3
		.amdhsa_dx10_clamp 1
		.amdhsa_ieee_mode 1
		.amdhsa_fp16_overflow 0
		.amdhsa_workgroup_processor_mode 1
		.amdhsa_memory_ordered 1
		.amdhsa_forward_progress 1
		.amdhsa_shared_vgpr_count 0
		.amdhsa_exception_fp_ieee_invalid_op 0
		.amdhsa_exception_fp_denorm_src 0
		.amdhsa_exception_fp_ieee_div_zero 0
		.amdhsa_exception_fp_ieee_overflow 0
		.amdhsa_exception_fp_ieee_underflow 0
		.amdhsa_exception_fp_ieee_inexact 0
		.amdhsa_exception_int_div_zero 0
	.end_amdhsa_kernel
	.section	.text._ZN2at6native12_GLOBAL__N_125multi_tensor_apply_kernelINS1_28TensorListScalarListMetadataIhLi2EEENS1_25BinaryOpScalarListFunctorIhLi2ELi1ELi1EEEJNS0_7maximumIhEEEEEvT_T0_DpT1_,"axG",@progbits,_ZN2at6native12_GLOBAL__N_125multi_tensor_apply_kernelINS1_28TensorListScalarListMetadataIhLi2EEENS1_25BinaryOpScalarListFunctorIhLi2ELi1ELi1EEEJNS0_7maximumIhEEEEEvT_T0_DpT1_,comdat
.Lfunc_end147:
	.size	_ZN2at6native12_GLOBAL__N_125multi_tensor_apply_kernelINS1_28TensorListScalarListMetadataIhLi2EEENS1_25BinaryOpScalarListFunctorIhLi2ELi1ELi1EEEJNS0_7maximumIhEEEEEvT_T0_DpT1_, .Lfunc_end147-_ZN2at6native12_GLOBAL__N_125multi_tensor_apply_kernelINS1_28TensorListScalarListMetadataIhLi2EEENS1_25BinaryOpScalarListFunctorIhLi2ELi1ELi1EEEJNS0_7maximumIhEEEEEvT_T0_DpT1_
                                        ; -- End function
	.set _ZN2at6native12_GLOBAL__N_125multi_tensor_apply_kernelINS1_28TensorListScalarListMetadataIhLi2EEENS1_25BinaryOpScalarListFunctorIhLi2ELi1ELi1EEEJNS0_7maximumIhEEEEEvT_T0_DpT1_.num_vgpr, 29
	.set _ZN2at6native12_GLOBAL__N_125multi_tensor_apply_kernelINS1_28TensorListScalarListMetadataIhLi2EEENS1_25BinaryOpScalarListFunctorIhLi2ELi1ELi1EEEJNS0_7maximumIhEEEEEvT_T0_DpT1_.num_agpr, 0
	.set _ZN2at6native12_GLOBAL__N_125multi_tensor_apply_kernelINS1_28TensorListScalarListMetadataIhLi2EEENS1_25BinaryOpScalarListFunctorIhLi2ELi1ELi1EEEJNS0_7maximumIhEEEEEvT_T0_DpT1_.numbered_sgpr, 24
	.set _ZN2at6native12_GLOBAL__N_125multi_tensor_apply_kernelINS1_28TensorListScalarListMetadataIhLi2EEENS1_25BinaryOpScalarListFunctorIhLi2ELi1ELi1EEEJNS0_7maximumIhEEEEEvT_T0_DpT1_.num_named_barrier, 0
	.set _ZN2at6native12_GLOBAL__N_125multi_tensor_apply_kernelINS1_28TensorListScalarListMetadataIhLi2EEENS1_25BinaryOpScalarListFunctorIhLi2ELi1ELi1EEEJNS0_7maximumIhEEEEEvT_T0_DpT1_.private_seg_size, 0
	.set _ZN2at6native12_GLOBAL__N_125multi_tensor_apply_kernelINS1_28TensorListScalarListMetadataIhLi2EEENS1_25BinaryOpScalarListFunctorIhLi2ELi1ELi1EEEJNS0_7maximumIhEEEEEvT_T0_DpT1_.uses_vcc, 1
	.set _ZN2at6native12_GLOBAL__N_125multi_tensor_apply_kernelINS1_28TensorListScalarListMetadataIhLi2EEENS1_25BinaryOpScalarListFunctorIhLi2ELi1ELi1EEEJNS0_7maximumIhEEEEEvT_T0_DpT1_.uses_flat_scratch, 0
	.set _ZN2at6native12_GLOBAL__N_125multi_tensor_apply_kernelINS1_28TensorListScalarListMetadataIhLi2EEENS1_25BinaryOpScalarListFunctorIhLi2ELi1ELi1EEEJNS0_7maximumIhEEEEEvT_T0_DpT1_.has_dyn_sized_stack, 0
	.set _ZN2at6native12_GLOBAL__N_125multi_tensor_apply_kernelINS1_28TensorListScalarListMetadataIhLi2EEENS1_25BinaryOpScalarListFunctorIhLi2ELi1ELi1EEEJNS0_7maximumIhEEEEEvT_T0_DpT1_.has_recursion, 0
	.set _ZN2at6native12_GLOBAL__N_125multi_tensor_apply_kernelINS1_28TensorListScalarListMetadataIhLi2EEENS1_25BinaryOpScalarListFunctorIhLi2ELi1ELi1EEEJNS0_7maximumIhEEEEEvT_T0_DpT1_.has_indirect_call, 0
	.section	.AMDGPU.csdata,"",@progbits
; Kernel info:
; codeLenInByte = 1404
; TotalNumSgprs: 26
; NumVgprs: 29
; ScratchSize: 0
; MemoryBound: 0
; FloatMode: 240
; IeeeMode: 1
; LDSByteSize: 0 bytes/workgroup (compile time only)
; SGPRBlocks: 0
; VGPRBlocks: 3
; NumSGPRsForWavesPerEU: 26
; NumVGPRsForWavesPerEU: 29
; Occupancy: 16
; WaveLimiterHint : 0
; COMPUTE_PGM_RSRC2:SCRATCH_EN: 0
; COMPUTE_PGM_RSRC2:USER_SGPR: 6
; COMPUTE_PGM_RSRC2:TRAP_HANDLER: 0
; COMPUTE_PGM_RSRC2:TGID_X_EN: 1
; COMPUTE_PGM_RSRC2:TGID_Y_EN: 0
; COMPUTE_PGM_RSRC2:TGID_Z_EN: 0
; COMPUTE_PGM_RSRC2:TIDIG_COMP_CNT: 0
	.section	.text._ZN2at6native12_GLOBAL__N_125multi_tensor_apply_kernelINS1_28TensorListScalarListMetadataIaLi2EEENS1_25BinaryOpScalarListFunctorIaLi2ELi1ELi1EEEJNS0_7maximumIaEEEEEvT_T0_DpT1_,"axG",@progbits,_ZN2at6native12_GLOBAL__N_125multi_tensor_apply_kernelINS1_28TensorListScalarListMetadataIaLi2EEENS1_25BinaryOpScalarListFunctorIaLi2ELi1ELi1EEEJNS0_7maximumIaEEEEEvT_T0_DpT1_,comdat
	.globl	_ZN2at6native12_GLOBAL__N_125multi_tensor_apply_kernelINS1_28TensorListScalarListMetadataIaLi2EEENS1_25BinaryOpScalarListFunctorIaLi2ELi1ELi1EEEJNS0_7maximumIaEEEEEvT_T0_DpT1_ ; -- Begin function _ZN2at6native12_GLOBAL__N_125multi_tensor_apply_kernelINS1_28TensorListScalarListMetadataIaLi2EEENS1_25BinaryOpScalarListFunctorIaLi2ELi1ELi1EEEJNS0_7maximumIaEEEEEvT_T0_DpT1_
	.p2align	8
	.type	_ZN2at6native12_GLOBAL__N_125multi_tensor_apply_kernelINS1_28TensorListScalarListMetadataIaLi2EEENS1_25BinaryOpScalarListFunctorIaLi2ELi1ELi1EEEJNS0_7maximumIaEEEEEvT_T0_DpT1_,@function
_ZN2at6native12_GLOBAL__N_125multi_tensor_apply_kernelINS1_28TensorListScalarListMetadataIaLi2EEENS1_25BinaryOpScalarListFunctorIaLi2ELi1ELi1EEEJNS0_7maximumIaEEEEEvT_T0_DpT1_: ; @_ZN2at6native12_GLOBAL__N_125multi_tensor_apply_kernelINS1_28TensorListScalarListMetadataIaLi2EEENS1_25BinaryOpScalarListFunctorIaLi2ELi1ELi1EEEJNS0_7maximumIaEEEEEvT_T0_DpT1_
; %bb.0:
	v_mov_b32_e32 v1, s6
	s_mul_hi_u32 s1, s6, 3
	global_load_ubyte v3, v1, s[4:5] offset:1600
	s_waitcnt vmcnt(0)
	v_add_co_u32 v1, s0, s4, v3
	v_add_co_ci_u32_e64 v2, null, s5, 0, s0
	s_add_u32 s0, s4, s6
	s_mul_i32 s6, s6, 3
	s_addc_u32 s2, s5, 0
	global_load_ubyte v1, v[1:2], off offset:1536
	s_add_u32 s0, s0, s6
	s_addc_u32 s1, s2, s1
	v_readfirstlane_b32 s3, v3
	s_load_dword s0, s[0:1], 0x780
	s_lshl_b32 s1, s3, 3
	s_clause 0x2
	s_load_dwordx2 s[6:7], s[4:5], s1 offset:0x0
	s_load_dwordx2 s[2:3], s[4:5], s1 offset:0x400
	;; [unrolled: 1-line block ×3, first 2 shown]
	s_waitcnt lgkmcnt(0)
	s_ashr_i32 s1, s0, 31
	s_lshl_b64 s[10:11], s[0:1], 16
	s_add_u32 s0, s6, s10
	s_sub_u32 s12, s2, s10
	s_subb_u32 s13, s3, s11
	s_or_b32 s1, s2, s8
	s_or_b32 s0, s1, s0
	s_and_b32 s0, s0, 3
	s_cmp_eq_u32 s0, 0
	s_mov_b32 s0, -1
	s_waitcnt vmcnt(0)
	v_readfirstlane_b32 s20, v1
	s_cbranch_scc1 .LBB148_21
; %bb.1:
	v_cmp_lt_i64_e64 s0, s[12:13], 1
	s_and_b32 vcc_lo, exec_lo, s0
	s_cbranch_vccnz .LBB148_20
; %bb.2:
	s_load_dword s0, s[4:5], 0xc94
	v_cmp_gt_i64_e64 s1, 0x10000, s[12:13]
	v_add_co_u32 v15, s2, s10, v0
	v_add_co_ci_u32_e64 v16, null, s11, 0, s2
	v_cmp_gt_u64_e64 s2, 0x10000, s[12:13]
	s_and_b32 s1, s1, exec_lo
	s_cselect_b32 s15, s13, 0
	s_cselect_b32 s14, s12, 0x10000
	v_add_co_u32 v1, vcc_lo, s6, v15
	v_add_co_ci_u32_e64 v2, null, s7, v16, vcc_lo
	v_add_co_u32 v3, vcc_lo, s8, v15
	v_add_co_ci_u32_e64 v4, null, s9, v16, vcc_lo
	s_waitcnt lgkmcnt(0)
	s_and_b32 s0, s0, 0xffff
	s_and_b32 s1, s2, exec_lo
	s_mul_i32 s2, s0, 3
	s_cselect_b32 s17, s13, 0
	s_cselect_b32 s16, s12, 0x10000
	s_lshl_b32 s1, s0, 1
	s_lshl_b32 s21, s0, 2
	s_add_u32 s3, s10, s2
	s_addc_u32 s18, s11, 0
	v_add_co_u32 v7, s3, s3, v0
	v_add_co_ci_u32_e64 v8, null, s18, 0, s3
	s_add_u32 s3, s10, s1
	s_addc_u32 s18, s11, 0
	v_add_co_u32 v13, s3, s3, v0
	v_add_co_u32 v5, vcc_lo, s6, v7
	v_add_co_ci_u32_e64 v14, null, s18, 0, s3
	v_add_co_ci_u32_e64 v6, null, s7, v8, vcc_lo
	v_add_co_u32 v7, vcc_lo, s8, v7
	v_add_co_ci_u32_e64 v8, null, s9, v8, vcc_lo
	v_add_co_u32 v11, vcc_lo, s6, v13
	;; [unrolled: 2-line block ×4, first 2 shown]
	v_add_co_ci_u32_e64 v20, null, 0, v16, vcc_lo
	v_add_co_u32 v9, s2, s2, v0
	v_add_co_u32 v17, vcc_lo, s6, v19
	v_add_co_u32 v15, s1, s1, v0
	v_add_co_ci_u32_e64 v18, null, s7, v20, vcc_lo
	v_add_co_u32 v19, vcc_lo, s8, v19
	v_add_co_u32 v21, s0, v0, s0
	v_add_co_ci_u32_e64 v10, null, 0, 0, s2
	v_add_co_ci_u32_e64 v16, null, 0, 0, s1
	v_add_co_ci_u32_e64 v20, null, s9, v20, vcc_lo
	v_add_co_ci_u32_e64 v22, null, 0, 0, s0
	s_mov_b64 s[18:19], 0
	s_bfe_i32 s22, s20, 0x80000
	s_branch .LBB148_4
.LBB148_3:                              ;   in Loop: Header=BB148_4 Depth=1
	s_or_b32 exec_lo, exec_lo, s0
	s_add_u32 s18, s18, s21
	s_addc_u32 s19, s19, 0
	v_cmp_lt_i64_e64 s0, s[18:19], s[14:15]
	s_and_b32 vcc_lo, exec_lo, s0
	s_cbranch_vccz .LBB148_20
.LBB148_4:                              ; =>This Inner Loop Header: Depth=1
	s_waitcnt vmcnt(0)
	v_add_co_u32 v23, s0, v0, s18
	v_add_co_ci_u32_e64 v24, null, 0, s19, s0
	v_cmp_gt_u64_e32 vcc_lo, s[16:17], v[23:24]
	v_mov_b32_e32 v24, 0
	s_and_saveexec_b32 s1, vcc_lo
	s_cbranch_execz .LBB148_6
; %bb.5:                                ;   in Loop: Header=BB148_4 Depth=1
	v_add_co_u32 v23, s0, v1, s18
	v_add_co_ci_u32_e64 v24, null, s19, v2, s0
	global_load_ubyte v24, v[23:24], off
.LBB148_6:                              ;   in Loop: Header=BB148_4 Depth=1
	s_or_b32 exec_lo, exec_lo, s1
	v_add_co_u32 v25, s0, v21, s18
	v_add_co_ci_u32_e64 v26, null, s19, v22, s0
	v_mov_b32_e32 v23, 0
	v_cmp_gt_u64_e64 s0, s[16:17], v[25:26]
	v_mov_b32_e32 v25, 0
	s_and_saveexec_b32 s2, s0
	s_cbranch_execz .LBB148_8
; %bb.7:                                ;   in Loop: Header=BB148_4 Depth=1
	v_add_co_u32 v25, s1, v17, s18
	v_add_co_ci_u32_e64 v26, null, s19, v18, s1
	global_load_ubyte v25, v[25:26], off
.LBB148_8:                              ;   in Loop: Header=BB148_4 Depth=1
	s_or_b32 exec_lo, exec_lo, s2
	v_add_co_u32 v26, s1, v15, s18
	v_add_co_ci_u32_e64 v27, null, s19, v16, s1
	v_cmp_gt_u64_e64 s1, s[16:17], v[26:27]
	s_and_saveexec_b32 s3, s1
	s_cbranch_execz .LBB148_10
; %bb.9:                                ;   in Loop: Header=BB148_4 Depth=1
	v_add_co_u32 v26, s2, v11, s18
	v_add_co_ci_u32_e64 v27, null, s19, v12, s2
	global_load_ubyte v23, v[26:27], off
.LBB148_10:                             ;   in Loop: Header=BB148_4 Depth=1
	s_or_b32 exec_lo, exec_lo, s3
	v_add_co_u32 v26, s2, v9, s18
	v_add_co_ci_u32_e64 v27, null, s19, v10, s2
	v_cmp_gt_u64_e64 s2, s[16:17], v[26:27]
	v_mov_b32_e32 v26, 0
	s_and_saveexec_b32 s23, s2
	s_cbranch_execnz .LBB148_15
; %bb.11:                               ;   in Loop: Header=BB148_4 Depth=1
	s_or_b32 exec_lo, exec_lo, s23
	s_and_saveexec_b32 s3, vcc_lo
	s_cbranch_execnz .LBB148_16
.LBB148_12:                             ;   in Loop: Header=BB148_4 Depth=1
	s_or_b32 exec_lo, exec_lo, s3
	s_and_saveexec_b32 s3, s0
	s_cbranch_execnz .LBB148_17
.LBB148_13:                             ;   in Loop: Header=BB148_4 Depth=1
	s_or_b32 exec_lo, exec_lo, s3
	s_and_saveexec_b32 s0, s1
	s_cbranch_execnz .LBB148_18
.LBB148_14:                             ;   in Loop: Header=BB148_4 Depth=1
	s_or_b32 exec_lo, exec_lo, s0
	s_and_saveexec_b32 s0, s2
	s_cbranch_execz .LBB148_3
	s_branch .LBB148_19
.LBB148_15:                             ;   in Loop: Header=BB148_4 Depth=1
	v_add_co_u32 v26, s3, v5, s18
	v_add_co_ci_u32_e64 v27, null, s19, v6, s3
	global_load_ubyte v26, v[26:27], off
	s_or_b32 exec_lo, exec_lo, s23
	s_and_saveexec_b32 s3, vcc_lo
	s_cbranch_execz .LBB148_12
.LBB148_16:                             ;   in Loop: Header=BB148_4 Depth=1
	s_waitcnt vmcnt(0)
	v_bfe_i32 v24, v24, 0, 8
	v_add_co_u32 v27, vcc_lo, v3, s18
	v_add_co_ci_u32_e64 v28, null, s19, v4, vcc_lo
	v_max_i16 v24, v24, s22
	global_store_byte v[27:28], v24, off
	s_or_b32 exec_lo, exec_lo, s3
	s_and_saveexec_b32 s3, s0
	s_cbranch_execz .LBB148_13
.LBB148_17:                             ;   in Loop: Header=BB148_4 Depth=1
	s_waitcnt vmcnt(0)
	v_bfe_i32 v24, v25, 0, 8
	v_max_i16 v27, v24, s22
	v_add_co_u32 v24, vcc_lo, v19, s18
	v_add_co_ci_u32_e64 v25, null, s19, v20, vcc_lo
	global_store_byte v[24:25], v27, off
	s_or_b32 exec_lo, exec_lo, s3
	s_and_saveexec_b32 s0, s1
	s_cbranch_execz .LBB148_14
.LBB148_18:                             ;   in Loop: Header=BB148_4 Depth=1
	s_waitcnt vmcnt(0)
	v_bfe_i32 v23, v23, 0, 8
	v_max_i16 v25, v23, s22
	v_add_co_u32 v23, vcc_lo, v13, s18
	v_add_co_ci_u32_e64 v24, null, s19, v14, vcc_lo
	global_store_byte v[23:24], v25, off
	s_or_b32 exec_lo, exec_lo, s0
	s_and_saveexec_b32 s0, s2
	s_cbranch_execz .LBB148_3
.LBB148_19:                             ;   in Loop: Header=BB148_4 Depth=1
	s_waitcnt vmcnt(0)
	v_bfe_i32 v23, v26, 0, 8
	v_max_i16 v25, v23, s22
	v_add_co_u32 v23, vcc_lo, v7, s18
	v_add_co_ci_u32_e64 v24, null, s19, v8, vcc_lo
	global_store_byte v[23:24], v25, off
	s_branch .LBB148_3
.LBB148_20:
	s_mov_b32 s0, 0
.LBB148_21:
	s_andn2_b32 vcc_lo, exec_lo, s0
	s_cbranch_vccnz .LBB148_25
; %bb.22:
	v_cmp_gt_i64_e64 s0, 0x10000, s[12:13]
	v_mov_b32_e32 v3, 0
	v_lshlrev_b32_e32 v2, 2, v0
	s_mov_b32 s1, 0
	s_and_b32 s0, s0, exec_lo
	s_cselect_b32 s3, s13, 0
	s_cselect_b32 s2, s12, 0x10000
	s_mov_b32 s0, exec_lo
	v_cmpx_gt_i64_e64 s[2:3], v[2:3]
	s_cbranch_execz .LBB148_25
; %bb.23:
	s_load_dword s0, s[4:5], 0xc94
	v_add_co_u32 v2, s4, s10, v2
	v_mov_b32_e32 v1, v3
	v_add_co_ci_u32_e64 v3, null, s11, 0, s4
	s_bfe_i32 s10, s20, 0x80000
	s_waitcnt lgkmcnt(0)
	s_and_b32 s4, s0, 0xffff
	s_lshl_b32 s5, s4, 2
.LBB148_24:                             ; =>This Inner Loop Header: Depth=1
	v_add_co_u32 v4, vcc_lo, s6, v2
	v_add_co_ci_u32_e64 v5, null, s7, v3, vcc_lo
	v_add_co_u32 v0, vcc_lo, v0, s4
	v_add_co_ci_u32_e64 v1, null, 0, v1, vcc_lo
	global_load_dword v5, v[4:5], off
	v_add_co_u32 v4, vcc_lo, s8, v2
	v_lshlrev_b64 v[6:7], 2, v[0:1]
	v_add_co_u32 v2, s0, v2, s5
	s_waitcnt vmcnt(0)
	v_lshrrev_b32_e32 v8, 8, v5
	v_lshrrev_b32_e32 v9, 24, v5
	;; [unrolled: 1-line block ×3, first 2 shown]
	v_bfe_i32 v5, v5, 0, 8
	v_bfe_i32 v8, v8, 0, 8
	v_bfe_i32 v9, v9, 0, 8
	v_bfe_i32 v10, v10, 0, 8
	v_max_i16 v11, v5, s10
	v_add_co_ci_u32_e64 v5, null, s9, v3, vcc_lo
	v_max_i16 v8, v8, s10
	v_max_i16 v9, v9, s10
	;; [unrolled: 1-line block ×3, first 2 shown]
	v_cmp_le_i64_e32 vcc_lo, s[2:3], v[6:7]
	v_add_co_ci_u32_e64 v3, null, 0, v3, s0
	v_lshlrev_b16 v8, 8, v8
	v_lshlrev_b16 v9, 8, v9
	s_or_b32 s1, vcc_lo, s1
	v_or_b32_sdwa v8, v11, v8 dst_sel:DWORD dst_unused:UNUSED_PAD src0_sel:BYTE_0 src1_sel:DWORD
	v_or_b32_sdwa v9, v10, v9 dst_sel:WORD_1 dst_unused:UNUSED_PAD src0_sel:BYTE_0 src1_sel:DWORD
	v_or_b32_sdwa v6, v8, v9 dst_sel:DWORD dst_unused:UNUSED_PAD src0_sel:WORD_0 src1_sel:DWORD
	global_store_dword v[4:5], v6, off
	s_andn2_b32 exec_lo, exec_lo, s1
	s_cbranch_execnz .LBB148_24
.LBB148_25:
	s_endpgm
	.section	.rodata,"a",@progbits
	.p2align	6, 0x0
	.amdhsa_kernel _ZN2at6native12_GLOBAL__N_125multi_tensor_apply_kernelINS1_28TensorListScalarListMetadataIaLi2EEENS1_25BinaryOpScalarListFunctorIaLi2ELi1ELi1EEEJNS0_7maximumIaEEEEEvT_T0_DpT1_
		.amdhsa_group_segment_fixed_size 0
		.amdhsa_private_segment_fixed_size 0
		.amdhsa_kernarg_size 3464
		.amdhsa_user_sgpr_count 6
		.amdhsa_user_sgpr_private_segment_buffer 1
		.amdhsa_user_sgpr_dispatch_ptr 0
		.amdhsa_user_sgpr_queue_ptr 0
		.amdhsa_user_sgpr_kernarg_segment_ptr 1
		.amdhsa_user_sgpr_dispatch_id 0
		.amdhsa_user_sgpr_flat_scratch_init 0
		.amdhsa_user_sgpr_private_segment_size 0
		.amdhsa_wavefront_size32 1
		.amdhsa_uses_dynamic_stack 0
		.amdhsa_system_sgpr_private_segment_wavefront_offset 0
		.amdhsa_system_sgpr_workgroup_id_x 1
		.amdhsa_system_sgpr_workgroup_id_y 0
		.amdhsa_system_sgpr_workgroup_id_z 0
		.amdhsa_system_sgpr_workgroup_info 0
		.amdhsa_system_vgpr_workitem_id 0
		.amdhsa_next_free_vgpr 29
		.amdhsa_next_free_sgpr 24
		.amdhsa_reserve_vcc 1
		.amdhsa_reserve_flat_scratch 0
		.amdhsa_float_round_mode_32 0
		.amdhsa_float_round_mode_16_64 0
		.amdhsa_float_denorm_mode_32 3
		.amdhsa_float_denorm_mode_16_64 3
		.amdhsa_dx10_clamp 1
		.amdhsa_ieee_mode 1
		.amdhsa_fp16_overflow 0
		.amdhsa_workgroup_processor_mode 1
		.amdhsa_memory_ordered 1
		.amdhsa_forward_progress 1
		.amdhsa_shared_vgpr_count 0
		.amdhsa_exception_fp_ieee_invalid_op 0
		.amdhsa_exception_fp_denorm_src 0
		.amdhsa_exception_fp_ieee_div_zero 0
		.amdhsa_exception_fp_ieee_overflow 0
		.amdhsa_exception_fp_ieee_underflow 0
		.amdhsa_exception_fp_ieee_inexact 0
		.amdhsa_exception_int_div_zero 0
	.end_amdhsa_kernel
	.section	.text._ZN2at6native12_GLOBAL__N_125multi_tensor_apply_kernelINS1_28TensorListScalarListMetadataIaLi2EEENS1_25BinaryOpScalarListFunctorIaLi2ELi1ELi1EEEJNS0_7maximumIaEEEEEvT_T0_DpT1_,"axG",@progbits,_ZN2at6native12_GLOBAL__N_125multi_tensor_apply_kernelINS1_28TensorListScalarListMetadataIaLi2EEENS1_25BinaryOpScalarListFunctorIaLi2ELi1ELi1EEEJNS0_7maximumIaEEEEEvT_T0_DpT1_,comdat
.Lfunc_end148:
	.size	_ZN2at6native12_GLOBAL__N_125multi_tensor_apply_kernelINS1_28TensorListScalarListMetadataIaLi2EEENS1_25BinaryOpScalarListFunctorIaLi2ELi1ELi1EEEJNS0_7maximumIaEEEEEvT_T0_DpT1_, .Lfunc_end148-_ZN2at6native12_GLOBAL__N_125multi_tensor_apply_kernelINS1_28TensorListScalarListMetadataIaLi2EEENS1_25BinaryOpScalarListFunctorIaLi2ELi1ELi1EEEJNS0_7maximumIaEEEEEvT_T0_DpT1_
                                        ; -- End function
	.set _ZN2at6native12_GLOBAL__N_125multi_tensor_apply_kernelINS1_28TensorListScalarListMetadataIaLi2EEENS1_25BinaryOpScalarListFunctorIaLi2ELi1ELi1EEEJNS0_7maximumIaEEEEEvT_T0_DpT1_.num_vgpr, 29
	.set _ZN2at6native12_GLOBAL__N_125multi_tensor_apply_kernelINS1_28TensorListScalarListMetadataIaLi2EEENS1_25BinaryOpScalarListFunctorIaLi2ELi1ELi1EEEJNS0_7maximumIaEEEEEvT_T0_DpT1_.num_agpr, 0
	.set _ZN2at6native12_GLOBAL__N_125multi_tensor_apply_kernelINS1_28TensorListScalarListMetadataIaLi2EEENS1_25BinaryOpScalarListFunctorIaLi2ELi1ELi1EEEJNS0_7maximumIaEEEEEvT_T0_DpT1_.numbered_sgpr, 24
	.set _ZN2at6native12_GLOBAL__N_125multi_tensor_apply_kernelINS1_28TensorListScalarListMetadataIaLi2EEENS1_25BinaryOpScalarListFunctorIaLi2ELi1ELi1EEEJNS0_7maximumIaEEEEEvT_T0_DpT1_.num_named_barrier, 0
	.set _ZN2at6native12_GLOBAL__N_125multi_tensor_apply_kernelINS1_28TensorListScalarListMetadataIaLi2EEENS1_25BinaryOpScalarListFunctorIaLi2ELi1ELi1EEEJNS0_7maximumIaEEEEEvT_T0_DpT1_.private_seg_size, 0
	.set _ZN2at6native12_GLOBAL__N_125multi_tensor_apply_kernelINS1_28TensorListScalarListMetadataIaLi2EEENS1_25BinaryOpScalarListFunctorIaLi2ELi1ELi1EEEJNS0_7maximumIaEEEEEvT_T0_DpT1_.uses_vcc, 1
	.set _ZN2at6native12_GLOBAL__N_125multi_tensor_apply_kernelINS1_28TensorListScalarListMetadataIaLi2EEENS1_25BinaryOpScalarListFunctorIaLi2ELi1ELi1EEEJNS0_7maximumIaEEEEEvT_T0_DpT1_.uses_flat_scratch, 0
	.set _ZN2at6native12_GLOBAL__N_125multi_tensor_apply_kernelINS1_28TensorListScalarListMetadataIaLi2EEENS1_25BinaryOpScalarListFunctorIaLi2ELi1ELi1EEEJNS0_7maximumIaEEEEEvT_T0_DpT1_.has_dyn_sized_stack, 0
	.set _ZN2at6native12_GLOBAL__N_125multi_tensor_apply_kernelINS1_28TensorListScalarListMetadataIaLi2EEENS1_25BinaryOpScalarListFunctorIaLi2ELi1ELi1EEEJNS0_7maximumIaEEEEEvT_T0_DpT1_.has_recursion, 0
	.set _ZN2at6native12_GLOBAL__N_125multi_tensor_apply_kernelINS1_28TensorListScalarListMetadataIaLi2EEENS1_25BinaryOpScalarListFunctorIaLi2ELi1ELi1EEEJNS0_7maximumIaEEEEEvT_T0_DpT1_.has_indirect_call, 0
	.section	.AMDGPU.csdata,"",@progbits
; Kernel info:
; codeLenInByte = 1448
; TotalNumSgprs: 26
; NumVgprs: 29
; ScratchSize: 0
; MemoryBound: 0
; FloatMode: 240
; IeeeMode: 1
; LDSByteSize: 0 bytes/workgroup (compile time only)
; SGPRBlocks: 0
; VGPRBlocks: 3
; NumSGPRsForWavesPerEU: 26
; NumVGPRsForWavesPerEU: 29
; Occupancy: 16
; WaveLimiterHint : 0
; COMPUTE_PGM_RSRC2:SCRATCH_EN: 0
; COMPUTE_PGM_RSRC2:USER_SGPR: 6
; COMPUTE_PGM_RSRC2:TRAP_HANDLER: 0
; COMPUTE_PGM_RSRC2:TGID_X_EN: 1
; COMPUTE_PGM_RSRC2:TGID_Y_EN: 0
; COMPUTE_PGM_RSRC2:TGID_Z_EN: 0
; COMPUTE_PGM_RSRC2:TIDIG_COMP_CNT: 0
	.section	.text._ZN2at6native12_GLOBAL__N_125multi_tensor_apply_kernelINS1_28TensorListScalarListMetadataIiLi2EEENS1_25BinaryOpScalarListFunctorIiLi2ELi1ELi1EEEJNS0_7maximumIiEEEEEvT_T0_DpT1_,"axG",@progbits,_ZN2at6native12_GLOBAL__N_125multi_tensor_apply_kernelINS1_28TensorListScalarListMetadataIiLi2EEENS1_25BinaryOpScalarListFunctorIiLi2ELi1ELi1EEEJNS0_7maximumIiEEEEEvT_T0_DpT1_,comdat
	.globl	_ZN2at6native12_GLOBAL__N_125multi_tensor_apply_kernelINS1_28TensorListScalarListMetadataIiLi2EEENS1_25BinaryOpScalarListFunctorIiLi2ELi1ELi1EEEJNS0_7maximumIiEEEEEvT_T0_DpT1_ ; -- Begin function _ZN2at6native12_GLOBAL__N_125multi_tensor_apply_kernelINS1_28TensorListScalarListMetadataIiLi2EEENS1_25BinaryOpScalarListFunctorIiLi2ELi1ELi1EEEJNS0_7maximumIiEEEEEvT_T0_DpT1_
	.p2align	8
	.type	_ZN2at6native12_GLOBAL__N_125multi_tensor_apply_kernelINS1_28TensorListScalarListMetadataIiLi2EEENS1_25BinaryOpScalarListFunctorIiLi2ELi1ELi1EEEJNS0_7maximumIiEEEEEvT_T0_DpT1_,@function
_ZN2at6native12_GLOBAL__N_125multi_tensor_apply_kernelINS1_28TensorListScalarListMetadataIiLi2EEENS1_25BinaryOpScalarListFunctorIiLi2ELi1ELi1EEEJNS0_7maximumIiEEEEEvT_T0_DpT1_: ; @_ZN2at6native12_GLOBAL__N_125multi_tensor_apply_kernelINS1_28TensorListScalarListMetadataIiLi2EEENS1_25BinaryOpScalarListFunctorIiLi2ELi1ELi1EEEJNS0_7maximumIiEEEEEvT_T0_DpT1_
; %bb.0:
	v_mov_b32_e32 v1, s6
	s_add_u32 s0, s4, s6
	s_mul_hi_u32 s1, s6, 3
	s_mul_i32 s6, s6, 3
	s_addc_u32 s2, s5, 0
	global_load_ubyte v1, v1, s[4:5] offset:1792
	s_add_u32 s0, s0, s6
	s_addc_u32 s1, s2, s1
	s_mov_b32 s15, 0
	s_load_dword s0, s[0:1], 0x840
	s_mov_b32 s17, s15
	s_waitcnt vmcnt(0)
	v_readfirstlane_b32 s1, v1
	v_lshlrev_b32_e32 v1, 2, v1
	s_lshl_b32 s10, s1, 3
	v_sub_co_u32 v1, s1, 0, v1
	v_sub_co_ci_u32_e64 v2, null, 0, 0, s1
	s_waitcnt lgkmcnt(0)
	s_ashr_i32 s1, s0, 31
	s_clause 0x2
	s_load_dwordx2 s[2:3], s[4:5], s10 offset:0x400
	s_load_dwordx2 s[6:7], s[4:5], s10 offset:0x0
	;; [unrolled: 1-line block ×3, first 2 shown]
	s_add_u32 s10, s4, s10
	s_addc_u32 s11, s5, 0
	v_add_co_u32 v1, vcc_lo, s10, v1
	v_add_co_ci_u32_e64 v2, null, s11, v2, vcc_lo
	v_readfirstlane_b32 s10, v1
	v_readfirstlane_b32 s11, v2
	s_load_dword s20, s[10:11], 0x600
	s_lshl_b64 s[10:11], s[0:1], 18
	s_lshl_b64 s[0:1], s[0:1], 16
	s_waitcnt lgkmcnt(0)
	s_add_u32 s12, s6, s10
	s_and_b32 s16, s8, 15
	s_and_b32 s14, s12, 15
	s_sub_u32 s12, s2, s0
	s_subb_u32 s13, s3, s1
	s_and_b32 s0, s2, 3
	s_mov_b32 s1, s15
	s_or_b64 s[0:1], s[16:17], s[0:1]
	s_or_b64 s[0:1], s[0:1], s[14:15]
	s_cmp_eq_u64 s[0:1], 0
	s_mov_b32 s0, -1
	s_cbranch_scc1 .LBB149_21
; %bb.1:
	v_cmp_lt_i64_e64 s0, s[12:13], 1
	s_and_b32 vcc_lo, exec_lo, s0
	s_cbranch_vccnz .LBB149_20
; %bb.2:
	s_load_dword s0, s[4:5], 0xd54
	v_cmp_gt_i64_e64 s1, 0x10000, s[12:13]
	v_lshlrev_b32_e32 v9, 2, v0
	v_cmp_gt_u64_e64 s2, 0x10000, s[12:13]
	v_mov_b32_e32 v10, 0
	s_mov_b64 s[18:19], 0
	s_and_b32 s1, s1, exec_lo
	v_add_co_u32 v3, s1, s8, v9
	v_add_co_u32 v1, s3, s6, v9
	s_cselect_b32 s15, s13, 0
	s_cselect_b32 s14, s12, 0x10000
	v_add_co_ci_u32_e64 v4, null, s9, 0, s1
	v_add_co_ci_u32_e64 v2, null, s7, 0, s3
	s_waitcnt lgkmcnt(0)
	s_and_b32 s0, s0, 0xffff
	s_and_b32 s1, s2, exec_lo
	s_cselect_b32 s17, s13, 0
	s_cselect_b32 s16, s12, 0x10000
	s_mul_i32 s2, s0, 3
	s_lshl_b32 s3, s0, 3
	v_mad_u64_u32 v[7:8], null, s0, 12, v[9:10]
	v_add_co_u32 v14, s3, s3, v9
	v_add_co_u32 v9, s2, s2, v0
	v_add_co_ci_u32_e64 v10, null, 0, 0, s2
	v_add_co_u32 v13, s2, v0, s0
	s_lshl_b32 s1, s0, 1
	v_add_co_u32 v5, vcc_lo, s6, v7
	v_lshlrev_b32_e32 v21, 2, v13
	v_add_co_ci_u32_e64 v15, null, 0, 0, s3
	v_add_co_ci_u32_e64 v6, null, s7, v8, vcc_lo
	v_add_co_u32 v7, vcc_lo, s8, v7
	v_add_co_u32 v17, s1, s1, v0
	v_add_co_ci_u32_e64 v8, null, s9, v8, vcc_lo
	v_add_co_u32 v11, vcc_lo, s6, v14
	v_add_co_ci_u32_e64 v18, null, 0, 0, s1
	v_add_co_u32 v19, s1, s6, v21
	v_add_co_ci_u32_e64 v12, null, s7, v15, vcc_lo
	v_add_co_u32 v14, vcc_lo, s8, v14
	v_add_co_ci_u32_e64 v20, null, s7, 0, s1
	v_add_co_u32 v21, s1, s8, v21
	v_add_co_ci_u32_e64 v15, null, s9, v15, vcc_lo
	v_add_co_ci_u32_e64 v16, null, 0, 0, s2
	v_add_co_ci_u32_e64 v22, null, s9, 0, s1
	s_lshl_b32 s21, s0, 2
	s_lshl_b32 s22, s0, 4
	s_branch .LBB149_4
.LBB149_3:                              ;   in Loop: Header=BB149_4 Depth=1
	s_or_b32 exec_lo, exec_lo, s0
	v_add_co_u32 v1, vcc_lo, v1, s22
	v_add_co_ci_u32_e64 v2, null, 0, v2, vcc_lo
	v_add_co_u32 v3, vcc_lo, v3, s22
	v_add_co_ci_u32_e64 v4, null, 0, v4, vcc_lo
	;; [unrolled: 2-line block ×4, first 2 shown]
	v_add_co_u32 v11, vcc_lo, v11, s22
	s_add_u32 s18, s18, s21
	v_add_co_ci_u32_e64 v12, null, 0, v12, vcc_lo
	v_add_co_u32 v14, vcc_lo, v14, s22
	s_addc_u32 s19, s19, 0
	v_add_co_ci_u32_e64 v15, null, 0, v15, vcc_lo
	v_add_co_u32 v19, vcc_lo, v19, s22
	v_cmp_lt_i64_e64 s0, s[18:19], s[14:15]
	v_add_co_ci_u32_e64 v20, null, 0, v20, vcc_lo
	v_add_co_u32 v21, vcc_lo, v21, s22
	v_add_co_ci_u32_e64 v22, null, 0, v22, vcc_lo
	s_and_b32 vcc_lo, exec_lo, s0
	s_cbranch_vccz .LBB149_20
.LBB149_4:                              ; =>This Inner Loop Header: Depth=1
	s_waitcnt vmcnt(0)
	v_add_co_u32 v23, s0, v0, s18
	v_add_co_ci_u32_e64 v24, null, 0, s19, s0
	v_cmp_gt_u64_e32 vcc_lo, s[16:17], v[23:24]
	v_mov_b32_e32 v24, 0
	s_and_saveexec_b32 s1, vcc_lo
	s_cbranch_execz .LBB149_6
; %bb.5:                                ;   in Loop: Header=BB149_4 Depth=1
	v_add_co_u32 v23, s0, v1, s10
	v_add_co_ci_u32_e64 v24, null, s11, v2, s0
	global_load_dword v24, v[23:24], off
.LBB149_6:                              ;   in Loop: Header=BB149_4 Depth=1
	s_or_b32 exec_lo, exec_lo, s1
	v_add_co_u32 v25, s0, v13, s18
	v_add_co_ci_u32_e64 v26, null, s19, v16, s0
	v_mov_b32_e32 v23, 0
	v_cmp_gt_u64_e64 s0, s[16:17], v[25:26]
	v_mov_b32_e32 v25, 0
	s_and_saveexec_b32 s2, s0
	s_cbranch_execz .LBB149_8
; %bb.7:                                ;   in Loop: Header=BB149_4 Depth=1
	v_add_co_u32 v25, s1, v19, s10
	v_add_co_ci_u32_e64 v26, null, s11, v20, s1
	global_load_dword v25, v[25:26], off
.LBB149_8:                              ;   in Loop: Header=BB149_4 Depth=1
	s_or_b32 exec_lo, exec_lo, s2
	v_add_co_u32 v26, s1, v17, s18
	v_add_co_ci_u32_e64 v27, null, s19, v18, s1
	v_cmp_gt_u64_e64 s1, s[16:17], v[26:27]
	s_and_saveexec_b32 s3, s1
	s_cbranch_execz .LBB149_10
; %bb.9:                                ;   in Loop: Header=BB149_4 Depth=1
	v_add_co_u32 v26, s2, v11, s10
	v_add_co_ci_u32_e64 v27, null, s11, v12, s2
	global_load_dword v23, v[26:27], off
.LBB149_10:                             ;   in Loop: Header=BB149_4 Depth=1
	s_or_b32 exec_lo, exec_lo, s3
	v_add_co_u32 v26, s2, v9, s18
	v_add_co_ci_u32_e64 v27, null, s19, v10, s2
	v_cmp_gt_u64_e64 s2, s[16:17], v[26:27]
	v_mov_b32_e32 v26, 0
	s_and_saveexec_b32 s23, s2
	s_cbranch_execnz .LBB149_15
; %bb.11:                               ;   in Loop: Header=BB149_4 Depth=1
	s_or_b32 exec_lo, exec_lo, s23
	s_and_saveexec_b32 s3, vcc_lo
	s_cbranch_execnz .LBB149_16
.LBB149_12:                             ;   in Loop: Header=BB149_4 Depth=1
	s_or_b32 exec_lo, exec_lo, s3
	s_and_saveexec_b32 s3, s0
	s_cbranch_execnz .LBB149_17
.LBB149_13:                             ;   in Loop: Header=BB149_4 Depth=1
	s_or_b32 exec_lo, exec_lo, s3
	s_and_saveexec_b32 s0, s1
	s_cbranch_execnz .LBB149_18
.LBB149_14:                             ;   in Loop: Header=BB149_4 Depth=1
	s_or_b32 exec_lo, exec_lo, s0
	s_and_saveexec_b32 s0, s2
	s_cbranch_execz .LBB149_3
	s_branch .LBB149_19
.LBB149_15:                             ;   in Loop: Header=BB149_4 Depth=1
	v_add_co_u32 v26, s3, v5, s10
	v_add_co_ci_u32_e64 v27, null, s11, v6, s3
	global_load_dword v26, v[26:27], off
	s_or_b32 exec_lo, exec_lo, s23
	s_and_saveexec_b32 s3, vcc_lo
	s_cbranch_execz .LBB149_12
.LBB149_16:                             ;   in Loop: Header=BB149_4 Depth=1
	v_add_co_u32 v27, vcc_lo, v3, s10
	s_waitcnt vmcnt(0)
	v_max_i32_e32 v24, s20, v24
	v_add_co_ci_u32_e64 v28, null, s11, v4, vcc_lo
	global_store_dword v[27:28], v24, off
	s_or_b32 exec_lo, exec_lo, s3
	s_and_saveexec_b32 s3, s0
	s_cbranch_execz .LBB149_13
.LBB149_17:                             ;   in Loop: Header=BB149_4 Depth=1
	s_waitcnt vmcnt(0)
	v_add_co_u32 v24, vcc_lo, v21, s10
	v_max_i32_e32 v27, s20, v25
	v_add_co_ci_u32_e64 v25, null, s11, v22, vcc_lo
	global_store_dword v[24:25], v27, off
	s_or_b32 exec_lo, exec_lo, s3
	s_and_saveexec_b32 s0, s1
	s_cbranch_execz .LBB149_14
.LBB149_18:                             ;   in Loop: Header=BB149_4 Depth=1
	s_waitcnt vmcnt(0)
	v_max_i32_e32 v25, s20, v23
	v_add_co_u32 v23, vcc_lo, v14, s10
	v_add_co_ci_u32_e64 v24, null, s11, v15, vcc_lo
	global_store_dword v[23:24], v25, off
	s_or_b32 exec_lo, exec_lo, s0
	s_and_saveexec_b32 s0, s2
	s_cbranch_execz .LBB149_3
.LBB149_19:                             ;   in Loop: Header=BB149_4 Depth=1
	s_waitcnt vmcnt(0)
	v_add_co_u32 v23, vcc_lo, v7, s10
	v_max_i32_e32 v25, s20, v26
	v_add_co_ci_u32_e64 v24, null, s11, v8, vcc_lo
	global_store_dword v[23:24], v25, off
	s_branch .LBB149_3
.LBB149_20:
	s_mov_b32 s0, 0
.LBB149_21:
	s_andn2_b32 vcc_lo, exec_lo, s0
	s_cbranch_vccnz .LBB149_25
; %bb.22:
	v_cmp_gt_i64_e64 s0, 0x10000, s[12:13]
	v_mov_b32_e32 v2, 0
	v_lshlrev_b32_e32 v1, 2, v0
	s_mov_b32 s1, 0
	s_and_b32 s0, s0, exec_lo
	s_cselect_b32 s3, s13, 0
	s_cselect_b32 s2, s12, 0x10000
	s_mov_b32 s0, exec_lo
	v_cmpx_gt_i64_e64 s[2:3], v[1:2]
	s_cbranch_execz .LBB149_25
; %bb.23:
	s_load_dword s0, s[4:5], 0xd54
	v_lshlrev_b32_e32 v3, 4, v0
	v_mov_b32_e32 v1, v2
	v_add_co_u32 v2, s4, s10, v3
	v_add_co_ci_u32_e64 v3, null, s11, 0, s4
	s_waitcnt lgkmcnt(0)
	s_and_b32 s4, s0, 0xffff
	s_lshl_b32 s5, s4, 4
	.p2align	6
.LBB149_24:                             ; =>This Inner Loop Header: Depth=1
	v_add_co_u32 v4, vcc_lo, s6, v2
	v_add_co_ci_u32_e64 v5, null, s7, v3, vcc_lo
	v_add_co_u32 v0, vcc_lo, v0, s4
	v_add_co_ci_u32_e64 v1, null, 0, v1, vcc_lo
	global_load_dwordx4 v[4:7], v[4:5], off
	v_add_co_u32 v8, vcc_lo, s8, v2
	v_lshlrev_b64 v[10:11], 2, v[0:1]
	v_add_co_ci_u32_e64 v9, null, s9, v3, vcc_lo
	v_add_co_u32 v2, vcc_lo, v2, s5
	v_add_co_ci_u32_e64 v3, null, 0, v3, vcc_lo
	v_cmp_le_i64_e64 s0, s[2:3], v[10:11]
	s_or_b32 s1, s0, s1
	s_waitcnt vmcnt(0)
	v_max_i32_e32 v4, s20, v4
	v_max_i32_e32 v5, s20, v5
	;; [unrolled: 1-line block ×4, first 2 shown]
	global_store_dwordx4 v[8:9], v[4:7], off
	s_andn2_b32 exec_lo, exec_lo, s1
	s_cbranch_execnz .LBB149_24
.LBB149_25:
	s_endpgm
	.section	.rodata,"a",@progbits
	.p2align	6, 0x0
	.amdhsa_kernel _ZN2at6native12_GLOBAL__N_125multi_tensor_apply_kernelINS1_28TensorListScalarListMetadataIiLi2EEENS1_25BinaryOpScalarListFunctorIiLi2ELi1ELi1EEEJNS0_7maximumIiEEEEEvT_T0_DpT1_
		.amdhsa_group_segment_fixed_size 0
		.amdhsa_private_segment_fixed_size 0
		.amdhsa_kernarg_size 3656
		.amdhsa_user_sgpr_count 6
		.amdhsa_user_sgpr_private_segment_buffer 1
		.amdhsa_user_sgpr_dispatch_ptr 0
		.amdhsa_user_sgpr_queue_ptr 0
		.amdhsa_user_sgpr_kernarg_segment_ptr 1
		.amdhsa_user_sgpr_dispatch_id 0
		.amdhsa_user_sgpr_flat_scratch_init 0
		.amdhsa_user_sgpr_private_segment_size 0
		.amdhsa_wavefront_size32 1
		.amdhsa_uses_dynamic_stack 0
		.amdhsa_system_sgpr_private_segment_wavefront_offset 0
		.amdhsa_system_sgpr_workgroup_id_x 1
		.amdhsa_system_sgpr_workgroup_id_y 0
		.amdhsa_system_sgpr_workgroup_id_z 0
		.amdhsa_system_sgpr_workgroup_info 0
		.amdhsa_system_vgpr_workitem_id 0
		.amdhsa_next_free_vgpr 29
		.amdhsa_next_free_sgpr 24
		.amdhsa_reserve_vcc 1
		.amdhsa_reserve_flat_scratch 0
		.amdhsa_float_round_mode_32 0
		.amdhsa_float_round_mode_16_64 0
		.amdhsa_float_denorm_mode_32 3
		.amdhsa_float_denorm_mode_16_64 3
		.amdhsa_dx10_clamp 1
		.amdhsa_ieee_mode 1
		.amdhsa_fp16_overflow 0
		.amdhsa_workgroup_processor_mode 1
		.amdhsa_memory_ordered 1
		.amdhsa_forward_progress 1
		.amdhsa_shared_vgpr_count 0
		.amdhsa_exception_fp_ieee_invalid_op 0
		.amdhsa_exception_fp_denorm_src 0
		.amdhsa_exception_fp_ieee_div_zero 0
		.amdhsa_exception_fp_ieee_overflow 0
		.amdhsa_exception_fp_ieee_underflow 0
		.amdhsa_exception_fp_ieee_inexact 0
		.amdhsa_exception_int_div_zero 0
	.end_amdhsa_kernel
	.section	.text._ZN2at6native12_GLOBAL__N_125multi_tensor_apply_kernelINS1_28TensorListScalarListMetadataIiLi2EEENS1_25BinaryOpScalarListFunctorIiLi2ELi1ELi1EEEJNS0_7maximumIiEEEEEvT_T0_DpT1_,"axG",@progbits,_ZN2at6native12_GLOBAL__N_125multi_tensor_apply_kernelINS1_28TensorListScalarListMetadataIiLi2EEENS1_25BinaryOpScalarListFunctorIiLi2ELi1ELi1EEEJNS0_7maximumIiEEEEEvT_T0_DpT1_,comdat
.Lfunc_end149:
	.size	_ZN2at6native12_GLOBAL__N_125multi_tensor_apply_kernelINS1_28TensorListScalarListMetadataIiLi2EEENS1_25BinaryOpScalarListFunctorIiLi2ELi1ELi1EEEJNS0_7maximumIiEEEEEvT_T0_DpT1_, .Lfunc_end149-_ZN2at6native12_GLOBAL__N_125multi_tensor_apply_kernelINS1_28TensorListScalarListMetadataIiLi2EEENS1_25BinaryOpScalarListFunctorIiLi2ELi1ELi1EEEJNS0_7maximumIiEEEEEvT_T0_DpT1_
                                        ; -- End function
	.set _ZN2at6native12_GLOBAL__N_125multi_tensor_apply_kernelINS1_28TensorListScalarListMetadataIiLi2EEENS1_25BinaryOpScalarListFunctorIiLi2ELi1ELi1EEEJNS0_7maximumIiEEEEEvT_T0_DpT1_.num_vgpr, 29
	.set _ZN2at6native12_GLOBAL__N_125multi_tensor_apply_kernelINS1_28TensorListScalarListMetadataIiLi2EEENS1_25BinaryOpScalarListFunctorIiLi2ELi1ELi1EEEJNS0_7maximumIiEEEEEvT_T0_DpT1_.num_agpr, 0
	.set _ZN2at6native12_GLOBAL__N_125multi_tensor_apply_kernelINS1_28TensorListScalarListMetadataIiLi2EEENS1_25BinaryOpScalarListFunctorIiLi2ELi1ELi1EEEJNS0_7maximumIiEEEEEvT_T0_DpT1_.numbered_sgpr, 24
	.set _ZN2at6native12_GLOBAL__N_125multi_tensor_apply_kernelINS1_28TensorListScalarListMetadataIiLi2EEENS1_25BinaryOpScalarListFunctorIiLi2ELi1ELi1EEEJNS0_7maximumIiEEEEEvT_T0_DpT1_.num_named_barrier, 0
	.set _ZN2at6native12_GLOBAL__N_125multi_tensor_apply_kernelINS1_28TensorListScalarListMetadataIiLi2EEENS1_25BinaryOpScalarListFunctorIiLi2ELi1ELi1EEEJNS0_7maximumIiEEEEEvT_T0_DpT1_.private_seg_size, 0
	.set _ZN2at6native12_GLOBAL__N_125multi_tensor_apply_kernelINS1_28TensorListScalarListMetadataIiLi2EEENS1_25BinaryOpScalarListFunctorIiLi2ELi1ELi1EEEJNS0_7maximumIiEEEEEvT_T0_DpT1_.uses_vcc, 1
	.set _ZN2at6native12_GLOBAL__N_125multi_tensor_apply_kernelINS1_28TensorListScalarListMetadataIiLi2EEENS1_25BinaryOpScalarListFunctorIiLi2ELi1ELi1EEEJNS0_7maximumIiEEEEEvT_T0_DpT1_.uses_flat_scratch, 0
	.set _ZN2at6native12_GLOBAL__N_125multi_tensor_apply_kernelINS1_28TensorListScalarListMetadataIiLi2EEENS1_25BinaryOpScalarListFunctorIiLi2ELi1ELi1EEEJNS0_7maximumIiEEEEEvT_T0_DpT1_.has_dyn_sized_stack, 0
	.set _ZN2at6native12_GLOBAL__N_125multi_tensor_apply_kernelINS1_28TensorListScalarListMetadataIiLi2EEENS1_25BinaryOpScalarListFunctorIiLi2ELi1ELi1EEEJNS0_7maximumIiEEEEEvT_T0_DpT1_.has_recursion, 0
	.set _ZN2at6native12_GLOBAL__N_125multi_tensor_apply_kernelINS1_28TensorListScalarListMetadataIiLi2EEENS1_25BinaryOpScalarListFunctorIiLi2ELi1ELi1EEEJNS0_7maximumIiEEEEEvT_T0_DpT1_.has_indirect_call, 0
	.section	.AMDGPU.csdata,"",@progbits
; Kernel info:
; codeLenInByte = 1476
; TotalNumSgprs: 26
; NumVgprs: 29
; ScratchSize: 0
; MemoryBound: 0
; FloatMode: 240
; IeeeMode: 1
; LDSByteSize: 0 bytes/workgroup (compile time only)
; SGPRBlocks: 0
; VGPRBlocks: 3
; NumSGPRsForWavesPerEU: 26
; NumVGPRsForWavesPerEU: 29
; Occupancy: 16
; WaveLimiterHint : 0
; COMPUTE_PGM_RSRC2:SCRATCH_EN: 0
; COMPUTE_PGM_RSRC2:USER_SGPR: 6
; COMPUTE_PGM_RSRC2:TRAP_HANDLER: 0
; COMPUTE_PGM_RSRC2:TGID_X_EN: 1
; COMPUTE_PGM_RSRC2:TGID_Y_EN: 0
; COMPUTE_PGM_RSRC2:TGID_Z_EN: 0
; COMPUTE_PGM_RSRC2:TIDIG_COMP_CNT: 0
	.section	.text._ZN2at6native12_GLOBAL__N_125multi_tensor_apply_kernelINS1_28TensorListScalarListMetadataIlLi2EEENS1_25BinaryOpScalarListFunctorIlLi2ELi1ELi1EEEJNS0_7maximumIlEEEEEvT_T0_DpT1_,"axG",@progbits,_ZN2at6native12_GLOBAL__N_125multi_tensor_apply_kernelINS1_28TensorListScalarListMetadataIlLi2EEENS1_25BinaryOpScalarListFunctorIlLi2ELi1ELi1EEEJNS0_7maximumIlEEEEEvT_T0_DpT1_,comdat
	.globl	_ZN2at6native12_GLOBAL__N_125multi_tensor_apply_kernelINS1_28TensorListScalarListMetadataIlLi2EEENS1_25BinaryOpScalarListFunctorIlLi2ELi1ELi1EEEJNS0_7maximumIlEEEEEvT_T0_DpT1_ ; -- Begin function _ZN2at6native12_GLOBAL__N_125multi_tensor_apply_kernelINS1_28TensorListScalarListMetadataIlLi2EEENS1_25BinaryOpScalarListFunctorIlLi2ELi1ELi1EEEJNS0_7maximumIlEEEEEvT_T0_DpT1_
	.p2align	8
	.type	_ZN2at6native12_GLOBAL__N_125multi_tensor_apply_kernelINS1_28TensorListScalarListMetadataIlLi2EEENS1_25BinaryOpScalarListFunctorIlLi2ELi1ELi1EEEJNS0_7maximumIlEEEEEvT_T0_DpT1_,@function
_ZN2at6native12_GLOBAL__N_125multi_tensor_apply_kernelINS1_28TensorListScalarListMetadataIlLi2EEENS1_25BinaryOpScalarListFunctorIlLi2ELi1ELi1EEEJNS0_7maximumIlEEEEEvT_T0_DpT1_: ; @_ZN2at6native12_GLOBAL__N_125multi_tensor_apply_kernelINS1_28TensorListScalarListMetadataIlLi2EEENS1_25BinaryOpScalarListFunctorIlLi2ELi1ELi1EEEJNS0_7maximumIlEEEEEvT_T0_DpT1_
; %bb.0:
	v_mov_b32_e32 v1, 0x800
	s_add_u32 s0, s4, s6
	s_addc_u32 s1, s5, 0
	s_mov_b32 s7, 0
	s_mov_b32 s19, s7
	global_load_ubyte v1, v1, s[0:1]
	s_lshl_b64 s[0:1], s[6:7], 2
	s_add_u32 s0, s4, s0
	s_addc_u32 s1, s5, s1
	s_load_dword s0, s[0:1], 0x940
	s_waitcnt vmcnt(0)
	v_readfirstlane_b32 s1, v1
	s_lshl_b32 s1, s1, 3
	s_clause 0x3
	s_load_dwordx2 s[8:9], s[4:5], s1 offset:0x0
	s_load_dwordx2 s[10:11], s[4:5], s1 offset:0x600
	;; [unrolled: 1-line block ×4, first 2 shown]
	s_waitcnt lgkmcnt(0)
	s_ashr_i32 s1, s0, 31
	s_lshl_b64 s[14:15], s[0:1], 19
	s_lshl_b64 s[0:1], s[0:1], 16
	s_add_u32 s6, s8, s14
	s_and_b32 s18, s12, 31
	s_and_b32 s6, s6, 31
	s_sub_u32 s16, s2, s0
	s_subb_u32 s17, s3, s1
	s_and_b32 s0, s2, 3
	s_mov_b32 s1, s7
	s_or_b64 s[0:1], s[18:19], s[0:1]
	s_or_b64 s[0:1], s[0:1], s[6:7]
	s_cmp_eq_u64 s[0:1], 0
	s_mov_b32 s0, -1
	s_cbranch_scc1 .LBB150_21
; %bb.1:
	v_cmp_lt_i64_e64 s0, s[16:17], 1
	s_and_b32 vcc_lo, exec_lo, s0
	s_cbranch_vccnz .LBB150_20
; %bb.2:
	s_load_dword s0, s[4:5], 0xe54
	v_cmp_gt_i64_e64 s1, 0x10000, s[16:17]
	v_lshlrev_b32_e32 v1, 3, v0
	v_mov_b32_e32 v2, 0
	v_cmp_gt_u64_e64 s2, 0x10000, s[16:17]
	s_mov_b64 s[20:21], 0
	s_and_b32 s1, s1, exec_lo
	s_cselect_b32 s7, s17, 0
	s_cselect_b32 s6, s16, 0x10000
	v_add_co_u32 v11, s1, s12, v1
	v_add_co_u32 v9, s3, s8, v1
	v_add_co_ci_u32_e64 v12, null, s13, 0, s1
	v_add_co_ci_u32_e64 v10, null, s9, 0, s3
	s_waitcnt lgkmcnt(0)
	s_and_b32 s0, s0, 0xffff
	s_and_b32 s1, s2, exec_lo
	v_mad_u64_u32 v[2:3], null, s0, 24, v[1:2]
	s_cselect_b32 s19, s17, 0
	s_cselect_b32 s18, s16, 0x10000
	s_mul_i32 s2, s0, 3
	s_lshl_b32 s3, s0, 4
	v_add_co_u32 v17, s2, s2, v0
	v_add_co_u32 v13, vcc_lo, s8, v2
	v_add_co_u32 v1, s3, s3, v1
	v_add_co_ci_u32_e64 v14, null, s9, v3, vcc_lo
	v_add_co_u32 v15, vcc_lo, s12, v2
	v_add_co_ci_u32_e64 v2, null, 0, 0, s3
	v_add_co_ci_u32_e64 v18, null, 0, 0, s2
	v_add_co_u32 v21, s2, v0, s0
	v_add_co_ci_u32_e64 v16, null, s13, v3, vcc_lo
	v_add_co_u32 v19, vcc_lo, s8, v1
	v_add_co_ci_u32_e64 v20, null, s9, v2, vcc_lo
	v_add_co_u32 v22, vcc_lo, s12, v1
	v_lshlrev_b32_e32 v1, 3, v21
	s_lshl_b32 s1, s0, 1
	v_add_co_ci_u32_e64 v23, null, s13, v2, vcc_lo
	v_add_co_u32 v25, s1, s1, v0
	v_add_co_ci_u32_e64 v26, null, 0, 0, s1
	v_add_co_u32 v27, s1, s8, v1
	v_add_co_ci_u32_e64 v28, null, s9, 0, s1
	;; [unrolled: 2-line block ×3, first 2 shown]
	v_add_co_ci_u32_e64 v30, null, s13, 0, s1
	s_lshl_b32 s22, s0, 2
	s_lshl_b32 s23, s0, 5
	s_branch .LBB150_4
.LBB150_3:                              ;   in Loop: Header=BB150_4 Depth=1
	s_or_b32 exec_lo, exec_lo, s0
	v_add_co_u32 v9, vcc_lo, v9, s23
	v_add_co_ci_u32_e64 v10, null, 0, v10, vcc_lo
	v_add_co_u32 v11, vcc_lo, v11, s23
	v_add_co_ci_u32_e64 v12, null, 0, v12, vcc_lo
	;; [unrolled: 2-line block ×4, first 2 shown]
	v_add_co_u32 v19, vcc_lo, v19, s23
	s_add_u32 s20, s20, s22
	v_add_co_ci_u32_e64 v20, null, 0, v20, vcc_lo
	v_add_co_u32 v22, vcc_lo, v22, s23
	s_addc_u32 s21, s21, 0
	v_add_co_ci_u32_e64 v23, null, 0, v23, vcc_lo
	v_add_co_u32 v27, vcc_lo, v27, s23
	v_cmp_lt_i64_e64 s0, s[20:21], s[6:7]
	v_add_co_ci_u32_e64 v28, null, 0, v28, vcc_lo
	v_add_co_u32 v29, vcc_lo, v29, s23
	v_add_co_ci_u32_e64 v30, null, 0, v30, vcc_lo
	s_and_b32 vcc_lo, exec_lo, s0
	s_cbranch_vccz .LBB150_20
.LBB150_4:                              ; =>This Inner Loop Header: Depth=1
	s_waitcnt vmcnt(0)
	v_add_co_u32 v3, s0, v0, s20
	v_add_co_ci_u32_e64 v4, null, 0, s21, s0
	v_mov_b32_e32 v1, 0
	v_mov_b32_e32 v5, 0
	;; [unrolled: 1-line block ×3, first 2 shown]
	v_cmp_gt_u64_e32 vcc_lo, s[18:19], v[3:4]
	v_mov_b32_e32 v6, 0
	s_and_saveexec_b32 s1, vcc_lo
	s_cbranch_execz .LBB150_6
; %bb.5:                                ;   in Loop: Header=BB150_4 Depth=1
	v_add_co_u32 v3, s0, v9, s14
	v_add_co_ci_u32_e64 v4, null, s15, v10, s0
	global_load_dwordx2 v[5:6], v[3:4], off
.LBB150_6:                              ;   in Loop: Header=BB150_4 Depth=1
	s_or_b32 exec_lo, exec_lo, s1
	v_add_co_u32 v3, s0, v21, s20
	v_add_co_ci_u32_e64 v4, null, s21, v24, s0
	v_cmp_gt_u64_e64 s0, s[18:19], v[3:4]
	s_and_saveexec_b32 s2, s0
	s_cbranch_execz .LBB150_8
; %bb.7:                                ;   in Loop: Header=BB150_4 Depth=1
	v_add_co_u32 v1, s1, v27, s14
	v_add_co_ci_u32_e64 v2, null, s15, v28, s1
	global_load_dwordx2 v[1:2], v[1:2], off
.LBB150_8:                              ;   in Loop: Header=BB150_4 Depth=1
	s_or_b32 exec_lo, exec_lo, s2
	v_add_co_u32 v7, s1, v25, s20
	v_add_co_ci_u32_e64 v8, null, s21, v26, s1
	v_mov_b32_e32 v3, 0
	v_mov_b32_e32 v4, 0
	v_cmp_gt_u64_e64 s1, s[18:19], v[7:8]
	v_mov_b32_e32 v7, 0
	v_mov_b32_e32 v8, 0
	s_and_saveexec_b32 s3, s1
	s_cbranch_execz .LBB150_10
; %bb.9:                                ;   in Loop: Header=BB150_4 Depth=1
	v_add_co_u32 v7, s2, v19, s14
	v_add_co_ci_u32_e64 v8, null, s15, v20, s2
	global_load_dwordx2 v[7:8], v[7:8], off
.LBB150_10:                             ;   in Loop: Header=BB150_4 Depth=1
	s_or_b32 exec_lo, exec_lo, s3
	v_add_co_u32 v31, s2, v17, s20
	v_add_co_ci_u32_e64 v32, null, s21, v18, s2
	v_cmp_gt_u64_e64 s2, s[18:19], v[31:32]
	s_and_saveexec_b32 s24, s2
	s_cbranch_execnz .LBB150_15
; %bb.11:                               ;   in Loop: Header=BB150_4 Depth=1
	s_or_b32 exec_lo, exec_lo, s24
	s_and_saveexec_b32 s3, vcc_lo
	s_cbranch_execnz .LBB150_16
.LBB150_12:                             ;   in Loop: Header=BB150_4 Depth=1
	s_or_b32 exec_lo, exec_lo, s3
	s_and_saveexec_b32 s3, s0
	s_cbranch_execnz .LBB150_17
.LBB150_13:                             ;   in Loop: Header=BB150_4 Depth=1
	s_or_b32 exec_lo, exec_lo, s3
	s_and_saveexec_b32 s0, s1
	s_cbranch_execnz .LBB150_18
.LBB150_14:                             ;   in Loop: Header=BB150_4 Depth=1
	s_or_b32 exec_lo, exec_lo, s0
	s_and_saveexec_b32 s0, s2
	s_cbranch_execz .LBB150_3
	s_branch .LBB150_19
.LBB150_15:                             ;   in Loop: Header=BB150_4 Depth=1
	v_add_co_u32 v3, s3, v13, s14
	v_add_co_ci_u32_e64 v4, null, s15, v14, s3
	global_load_dwordx2 v[3:4], v[3:4], off
	s_or_b32 exec_lo, exec_lo, s24
	s_and_saveexec_b32 s3, vcc_lo
	s_cbranch_execz .LBB150_12
.LBB150_16:                             ;   in Loop: Header=BB150_4 Depth=1
	s_waitcnt vmcnt(0)
	v_cmp_lt_i64_e32 vcc_lo, s[10:11], v[5:6]
	v_cndmask_b32_e32 v6, s11, v6, vcc_lo
	v_cndmask_b32_e32 v5, s10, v5, vcc_lo
	v_add_co_u32 v31, vcc_lo, v11, s14
	v_add_co_ci_u32_e64 v32, null, s15, v12, vcc_lo
	global_store_dwordx2 v[31:32], v[5:6], off
	s_or_b32 exec_lo, exec_lo, s3
	s_and_saveexec_b32 s3, s0
	s_cbranch_execz .LBB150_13
.LBB150_17:                             ;   in Loop: Header=BB150_4 Depth=1
	s_waitcnt vmcnt(0)
	v_cmp_lt_i64_e32 vcc_lo, s[10:11], v[1:2]
	v_cndmask_b32_e32 v2, s11, v2, vcc_lo
	v_cndmask_b32_e32 v1, s10, v1, vcc_lo
	v_add_co_u32 v5, vcc_lo, v29, s14
	v_add_co_ci_u32_e64 v6, null, s15, v30, vcc_lo
	global_store_dwordx2 v[5:6], v[1:2], off
	s_or_b32 exec_lo, exec_lo, s3
	s_and_saveexec_b32 s0, s1
	s_cbranch_execz .LBB150_14
.LBB150_18:                             ;   in Loop: Header=BB150_4 Depth=1
	s_waitcnt vmcnt(0)
	v_cmp_lt_i64_e32 vcc_lo, s[10:11], v[7:8]
	v_cndmask_b32_e32 v2, s11, v8, vcc_lo
	v_cndmask_b32_e32 v1, s10, v7, vcc_lo
	v_add_co_u32 v5, vcc_lo, v22, s14
	v_add_co_ci_u32_e64 v6, null, s15, v23, vcc_lo
	global_store_dwordx2 v[5:6], v[1:2], off
	s_or_b32 exec_lo, exec_lo, s0
	s_and_saveexec_b32 s0, s2
	s_cbranch_execz .LBB150_3
.LBB150_19:                             ;   in Loop: Header=BB150_4 Depth=1
	s_waitcnt vmcnt(0)
	v_cmp_lt_i64_e32 vcc_lo, s[10:11], v[3:4]
	v_cndmask_b32_e32 v2, s11, v4, vcc_lo
	v_cndmask_b32_e32 v1, s10, v3, vcc_lo
	v_add_co_u32 v3, vcc_lo, v15, s14
	v_add_co_ci_u32_e64 v4, null, s15, v16, vcc_lo
	global_store_dwordx2 v[3:4], v[1:2], off
	s_branch .LBB150_3
.LBB150_20:
	s_mov_b32 s0, 0
.LBB150_21:
	s_andn2_b32 vcc_lo, exec_lo, s0
	s_cbranch_vccnz .LBB150_25
; %bb.22:
	v_cmp_gt_i64_e64 s0, 0x10000, s[16:17]
	s_waitcnt vmcnt(0)
	v_mov_b32_e32 v2, 0
	v_lshlrev_b32_e32 v1, 2, v0
	s_and_b32 s0, s0, exec_lo
	s_cselect_b32 s7, s17, 0
	s_cselect_b32 s6, s16, 0x10000
	s_mov_b32 s16, 0
	s_mov_b32 s0, exec_lo
	v_cmpx_gt_i64_e64 s[6:7], v[1:2]
	s_cbranch_execz .LBB150_25
; %bb.23:
	s_load_dword s0, s[4:5], 0xe54
	v_lshlrev_b32_e32 v3, 5, v0
	v_mov_b32_e32 v1, v2
	v_add_co_u32 v2, s1, s14, v3
	v_add_co_ci_u32_e64 v3, null, s15, 0, s1
	s_waitcnt lgkmcnt(0)
	s_and_b32 s5, s0, 0xffff
	s_lshl_b32 s14, s5, 5
.LBB150_24:                             ; =>This Inner Loop Header: Depth=1
	v_add_co_u32 v8, vcc_lo, s8, v2
	v_add_co_ci_u32_e64 v9, null, s9, v3, vcc_lo
	v_add_co_u32 v0, vcc_lo, v0, s5
	v_add_co_ci_u32_e64 v1, null, 0, v1, vcc_lo
	s_clause 0x1
	global_load_dwordx4 v[4:7], v[8:9], off
	global_load_dwordx4 v[8:11], v[8:9], off offset:16
	v_add_co_u32 v12, vcc_lo, s12, v2
	v_lshlrev_b64 v[14:15], 2, v[0:1]
	v_add_co_ci_u32_e64 v13, null, s13, v3, vcc_lo
	v_add_co_u32 v2, vcc_lo, v2, s14
	v_add_co_ci_u32_e64 v3, null, 0, v3, vcc_lo
	v_cmp_le_i64_e64 s0, s[6:7], v[14:15]
	s_or_b32 s16, s0, s16
	s_waitcnt vmcnt(1)
	v_cmp_lt_i64_e64 s1, s[10:11], v[4:5]
	v_cmp_lt_i64_e64 s2, s[10:11], v[6:7]
	s_waitcnt vmcnt(0)
	v_cmp_lt_i64_e64 s3, s[10:11], v[8:9]
	v_cmp_lt_i64_e64 s4, s[10:11], v[10:11]
	v_cndmask_b32_e64 v5, s11, v5, s1
	v_cndmask_b32_e64 v7, s11, v7, s2
	;; [unrolled: 1-line block ×8, first 2 shown]
	global_store_dwordx4 v[12:13], v[4:7], off
	global_store_dwordx4 v[12:13], v[8:11], off offset:16
	s_andn2_b32 exec_lo, exec_lo, s16
	s_cbranch_execnz .LBB150_24
.LBB150_25:
	s_endpgm
	.section	.rodata,"a",@progbits
	.p2align	6, 0x0
	.amdhsa_kernel _ZN2at6native12_GLOBAL__N_125multi_tensor_apply_kernelINS1_28TensorListScalarListMetadataIlLi2EEENS1_25BinaryOpScalarListFunctorIlLi2ELi1ELi1EEEJNS0_7maximumIlEEEEEvT_T0_DpT1_
		.amdhsa_group_segment_fixed_size 0
		.amdhsa_private_segment_fixed_size 0
		.amdhsa_kernarg_size 3912
		.amdhsa_user_sgpr_count 6
		.amdhsa_user_sgpr_private_segment_buffer 1
		.amdhsa_user_sgpr_dispatch_ptr 0
		.amdhsa_user_sgpr_queue_ptr 0
		.amdhsa_user_sgpr_kernarg_segment_ptr 1
		.amdhsa_user_sgpr_dispatch_id 0
		.amdhsa_user_sgpr_flat_scratch_init 0
		.amdhsa_user_sgpr_private_segment_size 0
		.amdhsa_wavefront_size32 1
		.amdhsa_uses_dynamic_stack 0
		.amdhsa_system_sgpr_private_segment_wavefront_offset 0
		.amdhsa_system_sgpr_workgroup_id_x 1
		.amdhsa_system_sgpr_workgroup_id_y 0
		.amdhsa_system_sgpr_workgroup_id_z 0
		.amdhsa_system_sgpr_workgroup_info 0
		.amdhsa_system_vgpr_workitem_id 0
		.amdhsa_next_free_vgpr 33
		.amdhsa_next_free_sgpr 25
		.amdhsa_reserve_vcc 1
		.amdhsa_reserve_flat_scratch 0
		.amdhsa_float_round_mode_32 0
		.amdhsa_float_round_mode_16_64 0
		.amdhsa_float_denorm_mode_32 3
		.amdhsa_float_denorm_mode_16_64 3
		.amdhsa_dx10_clamp 1
		.amdhsa_ieee_mode 1
		.amdhsa_fp16_overflow 0
		.amdhsa_workgroup_processor_mode 1
		.amdhsa_memory_ordered 1
		.amdhsa_forward_progress 1
		.amdhsa_shared_vgpr_count 0
		.amdhsa_exception_fp_ieee_invalid_op 0
		.amdhsa_exception_fp_denorm_src 0
		.amdhsa_exception_fp_ieee_div_zero 0
		.amdhsa_exception_fp_ieee_overflow 0
		.amdhsa_exception_fp_ieee_underflow 0
		.amdhsa_exception_fp_ieee_inexact 0
		.amdhsa_exception_int_div_zero 0
	.end_amdhsa_kernel
	.section	.text._ZN2at6native12_GLOBAL__N_125multi_tensor_apply_kernelINS1_28TensorListScalarListMetadataIlLi2EEENS1_25BinaryOpScalarListFunctorIlLi2ELi1ELi1EEEJNS0_7maximumIlEEEEEvT_T0_DpT1_,"axG",@progbits,_ZN2at6native12_GLOBAL__N_125multi_tensor_apply_kernelINS1_28TensorListScalarListMetadataIlLi2EEENS1_25BinaryOpScalarListFunctorIlLi2ELi1ELi1EEEJNS0_7maximumIlEEEEEvT_T0_DpT1_,comdat
.Lfunc_end150:
	.size	_ZN2at6native12_GLOBAL__N_125multi_tensor_apply_kernelINS1_28TensorListScalarListMetadataIlLi2EEENS1_25BinaryOpScalarListFunctorIlLi2ELi1ELi1EEEJNS0_7maximumIlEEEEEvT_T0_DpT1_, .Lfunc_end150-_ZN2at6native12_GLOBAL__N_125multi_tensor_apply_kernelINS1_28TensorListScalarListMetadataIlLi2EEENS1_25BinaryOpScalarListFunctorIlLi2ELi1ELi1EEEJNS0_7maximumIlEEEEEvT_T0_DpT1_
                                        ; -- End function
	.set _ZN2at6native12_GLOBAL__N_125multi_tensor_apply_kernelINS1_28TensorListScalarListMetadataIlLi2EEENS1_25BinaryOpScalarListFunctorIlLi2ELi1ELi1EEEJNS0_7maximumIlEEEEEvT_T0_DpT1_.num_vgpr, 33
	.set _ZN2at6native12_GLOBAL__N_125multi_tensor_apply_kernelINS1_28TensorListScalarListMetadataIlLi2EEENS1_25BinaryOpScalarListFunctorIlLi2ELi1ELi1EEEJNS0_7maximumIlEEEEEvT_T0_DpT1_.num_agpr, 0
	.set _ZN2at6native12_GLOBAL__N_125multi_tensor_apply_kernelINS1_28TensorListScalarListMetadataIlLi2EEENS1_25BinaryOpScalarListFunctorIlLi2ELi1ELi1EEEJNS0_7maximumIlEEEEEvT_T0_DpT1_.numbered_sgpr, 25
	.set _ZN2at6native12_GLOBAL__N_125multi_tensor_apply_kernelINS1_28TensorListScalarListMetadataIlLi2EEENS1_25BinaryOpScalarListFunctorIlLi2ELi1ELi1EEEJNS0_7maximumIlEEEEEvT_T0_DpT1_.num_named_barrier, 0
	.set _ZN2at6native12_GLOBAL__N_125multi_tensor_apply_kernelINS1_28TensorListScalarListMetadataIlLi2EEENS1_25BinaryOpScalarListFunctorIlLi2ELi1ELi1EEEJNS0_7maximumIlEEEEEvT_T0_DpT1_.private_seg_size, 0
	.set _ZN2at6native12_GLOBAL__N_125multi_tensor_apply_kernelINS1_28TensorListScalarListMetadataIlLi2EEENS1_25BinaryOpScalarListFunctorIlLi2ELi1ELi1EEEJNS0_7maximumIlEEEEEvT_T0_DpT1_.uses_vcc, 1
	.set _ZN2at6native12_GLOBAL__N_125multi_tensor_apply_kernelINS1_28TensorListScalarListMetadataIlLi2EEENS1_25BinaryOpScalarListFunctorIlLi2ELi1ELi1EEEJNS0_7maximumIlEEEEEvT_T0_DpT1_.uses_flat_scratch, 0
	.set _ZN2at6native12_GLOBAL__N_125multi_tensor_apply_kernelINS1_28TensorListScalarListMetadataIlLi2EEENS1_25BinaryOpScalarListFunctorIlLi2ELi1ELi1EEEJNS0_7maximumIlEEEEEvT_T0_DpT1_.has_dyn_sized_stack, 0
	.set _ZN2at6native12_GLOBAL__N_125multi_tensor_apply_kernelINS1_28TensorListScalarListMetadataIlLi2EEENS1_25BinaryOpScalarListFunctorIlLi2ELi1ELi1EEEJNS0_7maximumIlEEEEEvT_T0_DpT1_.has_recursion, 0
	.set _ZN2at6native12_GLOBAL__N_125multi_tensor_apply_kernelINS1_28TensorListScalarListMetadataIlLi2EEENS1_25BinaryOpScalarListFunctorIlLi2ELi1ELi1EEEJNS0_7maximumIlEEEEEvT_T0_DpT1_.has_indirect_call, 0
	.section	.AMDGPU.csdata,"",@progbits
; Kernel info:
; codeLenInByte = 1540
; TotalNumSgprs: 27
; NumVgprs: 33
; ScratchSize: 0
; MemoryBound: 0
; FloatMode: 240
; IeeeMode: 1
; LDSByteSize: 0 bytes/workgroup (compile time only)
; SGPRBlocks: 0
; VGPRBlocks: 4
; NumSGPRsForWavesPerEU: 27
; NumVGPRsForWavesPerEU: 33
; Occupancy: 16
; WaveLimiterHint : 1
; COMPUTE_PGM_RSRC2:SCRATCH_EN: 0
; COMPUTE_PGM_RSRC2:USER_SGPR: 6
; COMPUTE_PGM_RSRC2:TRAP_HANDLER: 0
; COMPUTE_PGM_RSRC2:TGID_X_EN: 1
; COMPUTE_PGM_RSRC2:TGID_Y_EN: 0
; COMPUTE_PGM_RSRC2:TGID_Z_EN: 0
; COMPUTE_PGM_RSRC2:TIDIG_COMP_CNT: 0
	.section	.text._ZN2at6native12_GLOBAL__N_125multi_tensor_apply_kernelINS1_28TensorListScalarListMetadataIsLi2EEENS1_25BinaryOpScalarListFunctorIsLi2ELi1ELi1EEEJNS0_7maximumIsEEEEEvT_T0_DpT1_,"axG",@progbits,_ZN2at6native12_GLOBAL__N_125multi_tensor_apply_kernelINS1_28TensorListScalarListMetadataIsLi2EEENS1_25BinaryOpScalarListFunctorIsLi2ELi1ELi1EEEJNS0_7maximumIsEEEEEvT_T0_DpT1_,comdat
	.globl	_ZN2at6native12_GLOBAL__N_125multi_tensor_apply_kernelINS1_28TensorListScalarListMetadataIsLi2EEENS1_25BinaryOpScalarListFunctorIsLi2ELi1ELi1EEEJNS0_7maximumIsEEEEEvT_T0_DpT1_ ; -- Begin function _ZN2at6native12_GLOBAL__N_125multi_tensor_apply_kernelINS1_28TensorListScalarListMetadataIsLi2EEENS1_25BinaryOpScalarListFunctorIsLi2ELi1ELi1EEEJNS0_7maximumIsEEEEEvT_T0_DpT1_
	.p2align	8
	.type	_ZN2at6native12_GLOBAL__N_125multi_tensor_apply_kernelINS1_28TensorListScalarListMetadataIsLi2EEENS1_25BinaryOpScalarListFunctorIsLi2ELi1ELi1EEEJNS0_7maximumIsEEEEEvT_T0_DpT1_,@function
_ZN2at6native12_GLOBAL__N_125multi_tensor_apply_kernelINS1_28TensorListScalarListMetadataIsLi2EEENS1_25BinaryOpScalarListFunctorIsLi2ELi1ELi1EEEJNS0_7maximumIsEEEEEvT_T0_DpT1_: ; @_ZN2at6native12_GLOBAL__N_125multi_tensor_apply_kernelINS1_28TensorListScalarListMetadataIsLi2EEENS1_25BinaryOpScalarListFunctorIsLi2ELi1ELi1EEEJNS0_7maximumIsEEEEEvT_T0_DpT1_
; %bb.0:
	v_mov_b32_e32 v1, s6
	s_add_u32 s0, s4, s6
	s_mul_hi_u32 s1, s6, 3
	s_mul_i32 s6, s6, 3
	s_addc_u32 s2, s5, 0
	global_load_ubyte v1, v1, s[4:5] offset:1664
	s_add_u32 s0, s0, s6
	s_addc_u32 s1, s2, s1
	s_mov_b32 s15, 0
	s_load_dword s0, s[0:1], 0x7c0
	s_mov_b32 s17, s15
	s_waitcnt vmcnt(0)
	v_readfirstlane_b32 s1, v1
	v_mul_lo_u32 v2, v1, -6
	v_mul_hi_i32 v3, v1, -6
	s_lshl_b32 s8, s1, 3
	s_waitcnt lgkmcnt(0)
	s_ashr_i32 s1, s0, 31
	s_add_u32 s6, s4, s8
	s_addc_u32 s7, s5, 0
	v_add_co_u32 v1, vcc_lo, s6, v2
	v_add_co_ci_u32_e64 v2, null, s7, v3, vcc_lo
	s_load_dwordx2 s[2:3], s[4:5], s8 offset:0x400
	s_lshl_b64 s[10:11], s[0:1], 17
	s_lshl_b64 s[0:1], s[0:1], 16
	global_load_ushort v3, v[1:2], off offset:1536
	s_clause 0x1
	s_load_dwordx2 s[6:7], s[4:5], s8 offset:0x0
	s_load_dwordx2 s[8:9], s[4:5], s8 offset:0x200
	s_waitcnt lgkmcnt(0)
	s_add_u32 s12, s6, s10
	s_and_b32 s16, s8, 7
	s_and_b32 s14, s12, 7
	s_sub_u32 s12, s2, s0
	s_subb_u32 s13, s3, s1
	s_and_b32 s0, s2, 3
	s_mov_b32 s1, s15
	s_or_b64 s[0:1], s[16:17], s[0:1]
	s_or_b64 s[0:1], s[0:1], s[14:15]
	s_cmp_eq_u64 s[0:1], 0
	s_mov_b32 s0, -1
	s_cbranch_scc1 .LBB151_21
; %bb.1:
	v_cmp_lt_i64_e64 s0, s[12:13], 1
	s_and_b32 vcc_lo, exec_lo, s0
	s_cbranch_vccnz .LBB151_20
; %bb.2:
	s_load_dword s0, s[4:5], 0xcd4
	v_cmp_gt_i64_e64 s1, 0x10000, s[12:13]
	v_lshlrev_b32_e32 v10, 1, v0
	v_cmp_gt_u64_e64 s2, 0x10000, s[12:13]
	v_mov_b32_e32 v11, 0
	s_mov_b64 s[18:19], 0
	s_and_b32 s1, s1, exec_lo
	v_add_co_u32 v1, s3, s6, v10
	s_cselect_b32 s15, s13, 0
	s_cselect_b32 s14, s12, 0x10000
	v_add_co_ci_u32_e64 v2, null, s7, 0, s3
	v_add_co_u32 v4, s3, s8, v10
	v_add_co_ci_u32_e64 v5, null, s9, 0, s3
	s_waitcnt lgkmcnt(0)
	s_and_b32 s0, s0, 0xffff
	s_and_b32 s1, s2, exec_lo
	s_cselect_b32 s17, s13, 0
	s_cselect_b32 s16, s12, 0x10000
	s_mul_i32 s2, s0, 3
	s_lshl_b32 s20, s0, 2
	v_mad_u64_u32 v[8:9], null, s0, 6, v[10:11]
	v_add_co_u32 v15, s3, s20, v10
	v_add_co_u32 v10, s2, s2, v0
	v_add_co_ci_u32_e64 v11, null, 0, 0, s2
	v_add_co_u32 v14, s2, v0, s0
	s_lshl_b32 s1, s0, 1
	v_add_co_u32 v6, vcc_lo, s6, v8
	v_lshlrev_b32_e32 v22, 1, v14
	v_add_co_ci_u32_e64 v16, null, 0, 0, s3
	v_add_co_ci_u32_e64 v7, null, s7, v9, vcc_lo
	v_add_co_u32 v8, vcc_lo, s8, v8
	v_add_co_u32 v18, s1, s1, v0
	v_add_co_ci_u32_e64 v9, null, s9, v9, vcc_lo
	v_add_co_u32 v12, vcc_lo, s6, v15
	v_add_co_ci_u32_e64 v19, null, 0, 0, s1
	v_add_co_u32 v20, s1, s6, v22
	v_add_co_ci_u32_e64 v13, null, s7, v16, vcc_lo
	v_add_co_u32 v15, vcc_lo, s8, v15
	v_add_co_ci_u32_e64 v21, null, s7, 0, s1
	v_add_co_u32 v22, s1, s8, v22
	v_add_co_ci_u32_e64 v16, null, s9, v16, vcc_lo
	v_add_co_ci_u32_e64 v17, null, 0, 0, s2
	v_add_co_ci_u32_e64 v23, null, s9, 0, s1
	s_lshl_b32 s21, s0, 3
	s_branch .LBB151_4
.LBB151_3:                              ;   in Loop: Header=BB151_4 Depth=1
	s_or_b32 exec_lo, exec_lo, s0
	v_add_co_u32 v1, vcc_lo, v1, s21
	v_add_co_ci_u32_e64 v2, null, 0, v2, vcc_lo
	v_add_co_u32 v4, vcc_lo, v4, s21
	v_add_co_ci_u32_e64 v5, null, 0, v5, vcc_lo
	;; [unrolled: 2-line block ×4, first 2 shown]
	v_add_co_u32 v12, vcc_lo, v12, s21
	s_add_u32 s18, s18, s20
	v_add_co_ci_u32_e64 v13, null, 0, v13, vcc_lo
	v_add_co_u32 v15, vcc_lo, v15, s21
	s_addc_u32 s19, s19, 0
	v_add_co_ci_u32_e64 v16, null, 0, v16, vcc_lo
	v_add_co_u32 v20, vcc_lo, v20, s21
	v_cmp_lt_i64_e64 s0, s[18:19], s[14:15]
	v_add_co_ci_u32_e64 v21, null, 0, v21, vcc_lo
	v_add_co_u32 v22, vcc_lo, v22, s21
	v_add_co_ci_u32_e64 v23, null, 0, v23, vcc_lo
	s_and_b32 vcc_lo, exec_lo, s0
	s_cbranch_vccz .LBB151_20
.LBB151_4:                              ; =>This Inner Loop Header: Depth=1
	s_waitcnt vmcnt(0)
	v_add_co_u32 v24, s0, v0, s18
	v_add_co_ci_u32_e64 v25, null, 0, s19, s0
	v_cmp_gt_u64_e32 vcc_lo, s[16:17], v[24:25]
	v_mov_b32_e32 v25, 0
	s_and_saveexec_b32 s1, vcc_lo
	s_cbranch_execz .LBB151_6
; %bb.5:                                ;   in Loop: Header=BB151_4 Depth=1
	v_add_co_u32 v24, s0, v1, s10
	v_add_co_ci_u32_e64 v25, null, s11, v2, s0
	global_load_ushort v25, v[24:25], off
.LBB151_6:                              ;   in Loop: Header=BB151_4 Depth=1
	s_or_b32 exec_lo, exec_lo, s1
	v_add_co_u32 v26, s0, v14, s18
	v_add_co_ci_u32_e64 v27, null, s19, v17, s0
	v_mov_b32_e32 v24, 0
	v_cmp_gt_u64_e64 s0, s[16:17], v[26:27]
	v_mov_b32_e32 v26, 0
	s_and_saveexec_b32 s2, s0
	s_cbranch_execz .LBB151_8
; %bb.7:                                ;   in Loop: Header=BB151_4 Depth=1
	v_add_co_u32 v26, s1, v20, s10
	v_add_co_ci_u32_e64 v27, null, s11, v21, s1
	global_load_ushort v26, v[26:27], off
.LBB151_8:                              ;   in Loop: Header=BB151_4 Depth=1
	s_or_b32 exec_lo, exec_lo, s2
	v_add_co_u32 v27, s1, v18, s18
	v_add_co_ci_u32_e64 v28, null, s19, v19, s1
	v_cmp_gt_u64_e64 s1, s[16:17], v[27:28]
	s_and_saveexec_b32 s3, s1
	s_cbranch_execz .LBB151_10
; %bb.9:                                ;   in Loop: Header=BB151_4 Depth=1
	v_add_co_u32 v27, s2, v12, s10
	v_add_co_ci_u32_e64 v28, null, s11, v13, s2
	global_load_ushort v24, v[27:28], off
.LBB151_10:                             ;   in Loop: Header=BB151_4 Depth=1
	s_or_b32 exec_lo, exec_lo, s3
	v_add_co_u32 v27, s2, v10, s18
	v_add_co_ci_u32_e64 v28, null, s19, v11, s2
	v_cmp_gt_u64_e64 s2, s[16:17], v[27:28]
	v_mov_b32_e32 v27, 0
	s_and_saveexec_b32 s22, s2
	s_cbranch_execnz .LBB151_15
; %bb.11:                               ;   in Loop: Header=BB151_4 Depth=1
	s_or_b32 exec_lo, exec_lo, s22
	s_and_saveexec_b32 s3, vcc_lo
	s_cbranch_execnz .LBB151_16
.LBB151_12:                             ;   in Loop: Header=BB151_4 Depth=1
	s_or_b32 exec_lo, exec_lo, s3
	s_and_saveexec_b32 s3, s0
	s_cbranch_execnz .LBB151_17
.LBB151_13:                             ;   in Loop: Header=BB151_4 Depth=1
	s_or_b32 exec_lo, exec_lo, s3
	s_and_saveexec_b32 s0, s1
	s_cbranch_execnz .LBB151_18
.LBB151_14:                             ;   in Loop: Header=BB151_4 Depth=1
	s_or_b32 exec_lo, exec_lo, s0
	s_and_saveexec_b32 s0, s2
	s_cbranch_execz .LBB151_3
	s_branch .LBB151_19
.LBB151_15:                             ;   in Loop: Header=BB151_4 Depth=1
	v_add_co_u32 v27, s3, v6, s10
	v_add_co_ci_u32_e64 v28, null, s11, v7, s3
	global_load_ushort v27, v[27:28], off
	s_or_b32 exec_lo, exec_lo, s22
	s_and_saveexec_b32 s3, vcc_lo
	s_cbranch_execz .LBB151_12
.LBB151_16:                             ;   in Loop: Header=BB151_4 Depth=1
	v_add_co_u32 v28, vcc_lo, v4, s10
	s_waitcnt vmcnt(0)
	v_max_i16 v25, v25, v3
	v_add_co_ci_u32_e64 v29, null, s11, v5, vcc_lo
	global_store_short v[28:29], v25, off
	s_or_b32 exec_lo, exec_lo, s3
	s_and_saveexec_b32 s3, s0
	s_cbranch_execz .LBB151_13
.LBB151_17:                             ;   in Loop: Header=BB151_4 Depth=1
	s_waitcnt vmcnt(0)
	v_add_co_u32 v25, vcc_lo, v22, s10
	v_max_i16 v28, v26, v3
	v_add_co_ci_u32_e64 v26, null, s11, v23, vcc_lo
	global_store_short v[25:26], v28, off
	s_or_b32 exec_lo, exec_lo, s3
	s_and_saveexec_b32 s0, s1
	s_cbranch_execz .LBB151_14
.LBB151_18:                             ;   in Loop: Header=BB151_4 Depth=1
	s_waitcnt vmcnt(0)
	v_max_i16 v26, v24, v3
	v_add_co_u32 v24, vcc_lo, v15, s10
	v_add_co_ci_u32_e64 v25, null, s11, v16, vcc_lo
	global_store_short v[24:25], v26, off
	s_or_b32 exec_lo, exec_lo, s0
	s_and_saveexec_b32 s0, s2
	s_cbranch_execz .LBB151_3
.LBB151_19:                             ;   in Loop: Header=BB151_4 Depth=1
	s_waitcnt vmcnt(0)
	v_add_co_u32 v24, vcc_lo, v8, s10
	v_max_i16 v26, v27, v3
	v_add_co_ci_u32_e64 v25, null, s11, v9, vcc_lo
	global_store_short v[24:25], v26, off
	s_branch .LBB151_3
.LBB151_20:
	s_mov_b32 s0, 0
.LBB151_21:
	s_andn2_b32 vcc_lo, exec_lo, s0
	s_cbranch_vccnz .LBB151_25
; %bb.22:
	v_cmp_gt_i64_e64 s0, 0x10000, s[12:13]
	v_mov_b32_e32 v2, 0
	v_lshlrev_b32_e32 v1, 2, v0
	s_mov_b32 s1, 0
	s_and_b32 s0, s0, exec_lo
	s_cselect_b32 s3, s13, 0
	s_cselect_b32 s2, s12, 0x10000
	s_mov_b32 s0, exec_lo
	v_cmpx_gt_i64_e64 s[2:3], v[1:2]
	s_cbranch_execz .LBB151_25
; %bb.23:
	s_load_dword s0, s[4:5], 0xcd4
	s_waitcnt vmcnt(0)
	v_and_b32_e32 v4, 0xffff, v3
	v_lshlrev_b32_e32 v5, 3, v0
	v_mov_b32_e32 v1, v2
	v_lshl_or_b32 v2, v3, 16, v4
	v_add_co_u32 v3, s4, s10, v5
	v_add_co_ci_u32_e64 v4, null, s11, 0, s4
	s_waitcnt lgkmcnt(0)
	s_and_b32 s4, s0, 0xffff
	s_lshl_b32 s5, s4, 3
	s_inst_prefetch 0x1
	.p2align	6
.LBB151_24:                             ; =>This Inner Loop Header: Depth=1
	v_add_co_u32 v5, vcc_lo, s6, v3
	v_add_co_ci_u32_e64 v6, null, s7, v4, vcc_lo
	v_add_co_u32 v0, vcc_lo, v0, s4
	v_add_co_ci_u32_e64 v1, null, 0, v1, vcc_lo
	global_load_dwordx2 v[5:6], v[5:6], off
	v_add_co_u32 v7, vcc_lo, s8, v3
	v_lshlrev_b64 v[9:10], 2, v[0:1]
	v_add_co_ci_u32_e64 v8, null, s9, v4, vcc_lo
	v_add_co_u32 v3, vcc_lo, v3, s5
	v_add_co_ci_u32_e64 v4, null, 0, v4, vcc_lo
	v_cmp_le_i64_e64 s0, s[2:3], v[9:10]
	s_or_b32 s1, s0, s1
	s_waitcnt vmcnt(0)
	v_bfi_b32 v5, 0xffff, v5, v5
	v_pk_max_i16 v6, v6, v2
	v_pk_max_i16 v5, v5, v2
	global_store_dwordx2 v[7:8], v[5:6], off
	s_andn2_b32 exec_lo, exec_lo, s1
	s_cbranch_execnz .LBB151_24
.LBB151_25:
	s_inst_prefetch 0x2
	s_endpgm
	.section	.rodata,"a",@progbits
	.p2align	6, 0x0
	.amdhsa_kernel _ZN2at6native12_GLOBAL__N_125multi_tensor_apply_kernelINS1_28TensorListScalarListMetadataIsLi2EEENS1_25BinaryOpScalarListFunctorIsLi2ELi1ELi1EEEJNS0_7maximumIsEEEEEvT_T0_DpT1_
		.amdhsa_group_segment_fixed_size 0
		.amdhsa_private_segment_fixed_size 0
		.amdhsa_kernarg_size 3528
		.amdhsa_user_sgpr_count 6
		.amdhsa_user_sgpr_private_segment_buffer 1
		.amdhsa_user_sgpr_dispatch_ptr 0
		.amdhsa_user_sgpr_queue_ptr 0
		.amdhsa_user_sgpr_kernarg_segment_ptr 1
		.amdhsa_user_sgpr_dispatch_id 0
		.amdhsa_user_sgpr_flat_scratch_init 0
		.amdhsa_user_sgpr_private_segment_size 0
		.amdhsa_wavefront_size32 1
		.amdhsa_uses_dynamic_stack 0
		.amdhsa_system_sgpr_private_segment_wavefront_offset 0
		.amdhsa_system_sgpr_workgroup_id_x 1
		.amdhsa_system_sgpr_workgroup_id_y 0
		.amdhsa_system_sgpr_workgroup_id_z 0
		.amdhsa_system_sgpr_workgroup_info 0
		.amdhsa_system_vgpr_workitem_id 0
		.amdhsa_next_free_vgpr 30
		.amdhsa_next_free_sgpr 23
		.amdhsa_reserve_vcc 1
		.amdhsa_reserve_flat_scratch 0
		.amdhsa_float_round_mode_32 0
		.amdhsa_float_round_mode_16_64 0
		.amdhsa_float_denorm_mode_32 3
		.amdhsa_float_denorm_mode_16_64 3
		.amdhsa_dx10_clamp 1
		.amdhsa_ieee_mode 1
		.amdhsa_fp16_overflow 0
		.amdhsa_workgroup_processor_mode 1
		.amdhsa_memory_ordered 1
		.amdhsa_forward_progress 1
		.amdhsa_shared_vgpr_count 0
		.amdhsa_exception_fp_ieee_invalid_op 0
		.amdhsa_exception_fp_denorm_src 0
		.amdhsa_exception_fp_ieee_div_zero 0
		.amdhsa_exception_fp_ieee_overflow 0
		.amdhsa_exception_fp_ieee_underflow 0
		.amdhsa_exception_fp_ieee_inexact 0
		.amdhsa_exception_int_div_zero 0
	.end_amdhsa_kernel
	.section	.text._ZN2at6native12_GLOBAL__N_125multi_tensor_apply_kernelINS1_28TensorListScalarListMetadataIsLi2EEENS1_25BinaryOpScalarListFunctorIsLi2ELi1ELi1EEEJNS0_7maximumIsEEEEEvT_T0_DpT1_,"axG",@progbits,_ZN2at6native12_GLOBAL__N_125multi_tensor_apply_kernelINS1_28TensorListScalarListMetadataIsLi2EEENS1_25BinaryOpScalarListFunctorIsLi2ELi1ELi1EEEJNS0_7maximumIsEEEEEvT_T0_DpT1_,comdat
.Lfunc_end151:
	.size	_ZN2at6native12_GLOBAL__N_125multi_tensor_apply_kernelINS1_28TensorListScalarListMetadataIsLi2EEENS1_25BinaryOpScalarListFunctorIsLi2ELi1ELi1EEEJNS0_7maximumIsEEEEEvT_T0_DpT1_, .Lfunc_end151-_ZN2at6native12_GLOBAL__N_125multi_tensor_apply_kernelINS1_28TensorListScalarListMetadataIsLi2EEENS1_25BinaryOpScalarListFunctorIsLi2ELi1ELi1EEEJNS0_7maximumIsEEEEEvT_T0_DpT1_
                                        ; -- End function
	.set _ZN2at6native12_GLOBAL__N_125multi_tensor_apply_kernelINS1_28TensorListScalarListMetadataIsLi2EEENS1_25BinaryOpScalarListFunctorIsLi2ELi1ELi1EEEJNS0_7maximumIsEEEEEvT_T0_DpT1_.num_vgpr, 30
	.set _ZN2at6native12_GLOBAL__N_125multi_tensor_apply_kernelINS1_28TensorListScalarListMetadataIsLi2EEENS1_25BinaryOpScalarListFunctorIsLi2ELi1ELi1EEEJNS0_7maximumIsEEEEEvT_T0_DpT1_.num_agpr, 0
	.set _ZN2at6native12_GLOBAL__N_125multi_tensor_apply_kernelINS1_28TensorListScalarListMetadataIsLi2EEENS1_25BinaryOpScalarListFunctorIsLi2ELi1ELi1EEEJNS0_7maximumIsEEEEEvT_T0_DpT1_.numbered_sgpr, 23
	.set _ZN2at6native12_GLOBAL__N_125multi_tensor_apply_kernelINS1_28TensorListScalarListMetadataIsLi2EEENS1_25BinaryOpScalarListFunctorIsLi2ELi1ELi1EEEJNS0_7maximumIsEEEEEvT_T0_DpT1_.num_named_barrier, 0
	.set _ZN2at6native12_GLOBAL__N_125multi_tensor_apply_kernelINS1_28TensorListScalarListMetadataIsLi2EEENS1_25BinaryOpScalarListFunctorIsLi2ELi1ELi1EEEJNS0_7maximumIsEEEEEvT_T0_DpT1_.private_seg_size, 0
	.set _ZN2at6native12_GLOBAL__N_125multi_tensor_apply_kernelINS1_28TensorListScalarListMetadataIsLi2EEENS1_25BinaryOpScalarListFunctorIsLi2ELi1ELi1EEEJNS0_7maximumIsEEEEEvT_T0_DpT1_.uses_vcc, 1
	.set _ZN2at6native12_GLOBAL__N_125multi_tensor_apply_kernelINS1_28TensorListScalarListMetadataIsLi2EEENS1_25BinaryOpScalarListFunctorIsLi2ELi1ELi1EEEJNS0_7maximumIsEEEEEvT_T0_DpT1_.uses_flat_scratch, 0
	.set _ZN2at6native12_GLOBAL__N_125multi_tensor_apply_kernelINS1_28TensorListScalarListMetadataIsLi2EEENS1_25BinaryOpScalarListFunctorIsLi2ELi1ELi1EEEJNS0_7maximumIsEEEEEvT_T0_DpT1_.has_dyn_sized_stack, 0
	.set _ZN2at6native12_GLOBAL__N_125multi_tensor_apply_kernelINS1_28TensorListScalarListMetadataIsLi2EEENS1_25BinaryOpScalarListFunctorIsLi2ELi1ELi1EEEJNS0_7maximumIsEEEEEvT_T0_DpT1_.has_recursion, 0
	.set _ZN2at6native12_GLOBAL__N_125multi_tensor_apply_kernelINS1_28TensorListScalarListMetadataIsLi2EEENS1_25BinaryOpScalarListFunctorIsLi2ELi1ELi1EEEJNS0_7maximumIsEEEEEvT_T0_DpT1_.has_indirect_call, 0
	.section	.AMDGPU.csdata,"",@progbits
; Kernel info:
; codeLenInByte = 1492
; TotalNumSgprs: 25
; NumVgprs: 30
; ScratchSize: 0
; MemoryBound: 0
; FloatMode: 240
; IeeeMode: 1
; LDSByteSize: 0 bytes/workgroup (compile time only)
; SGPRBlocks: 0
; VGPRBlocks: 3
; NumSGPRsForWavesPerEU: 25
; NumVGPRsForWavesPerEU: 30
; Occupancy: 16
; WaveLimiterHint : 0
; COMPUTE_PGM_RSRC2:SCRATCH_EN: 0
; COMPUTE_PGM_RSRC2:USER_SGPR: 6
; COMPUTE_PGM_RSRC2:TRAP_HANDLER: 0
; COMPUTE_PGM_RSRC2:TGID_X_EN: 1
; COMPUTE_PGM_RSRC2:TGID_Y_EN: 0
; COMPUTE_PGM_RSRC2:TGID_Z_EN: 0
; COMPUTE_PGM_RSRC2:TIDIG_COMP_CNT: 0
	.section	.text._ZN2at6native12_GLOBAL__N_125multi_tensor_apply_kernelINS1_28TensorListScalarListMetadataIdLi2EEENS1_25BinaryOpScalarListFunctorIdLi2ELi1ELi1EEEJNS0_7maximumIdEEEEEvT_T0_DpT1_,"axG",@progbits,_ZN2at6native12_GLOBAL__N_125multi_tensor_apply_kernelINS1_28TensorListScalarListMetadataIdLi2EEENS1_25BinaryOpScalarListFunctorIdLi2ELi1ELi1EEEJNS0_7maximumIdEEEEEvT_T0_DpT1_,comdat
	.globl	_ZN2at6native12_GLOBAL__N_125multi_tensor_apply_kernelINS1_28TensorListScalarListMetadataIdLi2EEENS1_25BinaryOpScalarListFunctorIdLi2ELi1ELi1EEEJNS0_7maximumIdEEEEEvT_T0_DpT1_ ; -- Begin function _ZN2at6native12_GLOBAL__N_125multi_tensor_apply_kernelINS1_28TensorListScalarListMetadataIdLi2EEENS1_25BinaryOpScalarListFunctorIdLi2ELi1ELi1EEEJNS0_7maximumIdEEEEEvT_T0_DpT1_
	.p2align	8
	.type	_ZN2at6native12_GLOBAL__N_125multi_tensor_apply_kernelINS1_28TensorListScalarListMetadataIdLi2EEENS1_25BinaryOpScalarListFunctorIdLi2ELi1ELi1EEEJNS0_7maximumIdEEEEEvT_T0_DpT1_,@function
_ZN2at6native12_GLOBAL__N_125multi_tensor_apply_kernelINS1_28TensorListScalarListMetadataIdLi2EEENS1_25BinaryOpScalarListFunctorIdLi2ELi1ELi1EEEJNS0_7maximumIdEEEEEvT_T0_DpT1_: ; @_ZN2at6native12_GLOBAL__N_125multi_tensor_apply_kernelINS1_28TensorListScalarListMetadataIdLi2EEENS1_25BinaryOpScalarListFunctorIdLi2ELi1ELi1EEEJNS0_7maximumIdEEEEEvT_T0_DpT1_
; %bb.0:
	v_mov_b32_e32 v1, 0x800
	s_add_u32 s0, s4, s6
	s_addc_u32 s1, s5, 0
	s_mov_b32 s7, 0
	s_mov_b32 s19, s7
	global_load_ubyte v1, v1, s[0:1]
	s_lshl_b64 s[0:1], s[6:7], 2
	s_add_u32 s0, s4, s0
	s_addc_u32 s1, s5, s1
	s_load_dword s0, s[0:1], 0x940
	s_waitcnt vmcnt(0)
	v_readfirstlane_b32 s1, v1
	s_lshl_b32 s1, s1, 3
	s_clause 0x3
	s_load_dwordx2 s[10:11], s[4:5], s1 offset:0x0
	s_load_dwordx2 s[12:13], s[4:5], s1 offset:0x600
	;; [unrolled: 1-line block ×4, first 2 shown]
	s_waitcnt lgkmcnt(0)
	s_ashr_i32 s1, s0, 31
	s_lshl_b64 s[8:9], s[0:1], 19
	s_lshl_b64 s[0:1], s[0:1], 16
	s_add_u32 s6, s10, s8
	s_and_b32 s18, s14, 31
	s_and_b32 s6, s6, 31
	s_sub_u32 s16, s2, s0
	s_subb_u32 s17, s3, s1
	s_and_b32 s0, s2, 3
	s_mov_b32 s1, s7
	s_or_b64 s[0:1], s[18:19], s[0:1]
	s_or_b64 s[0:1], s[0:1], s[6:7]
	s_cmp_eq_u64 s[0:1], 0
	s_mov_b32 s0, -1
	s_cbranch_scc1 .LBB152_21
; %bb.1:
	v_cmp_lt_i64_e64 s0, s[16:17], 1
	s_and_b32 vcc_lo, exec_lo, s0
	s_cbranch_vccnz .LBB152_20
; %bb.2:
	s_load_dword s0, s[4:5], 0xe54
	v_cmp_gt_i64_e64 s1, 0x10000, s[16:17]
	v_lshlrev_b32_e32 v1, 3, v0
	v_mov_b32_e32 v2, 0
	v_cmp_gt_u64_e64 s2, 0x10000, s[16:17]
	s_mov_b64 s[20:21], 0
	s_and_b32 s1, s1, exec_lo
	s_cselect_b32 s7, s17, 0
	s_cselect_b32 s6, s16, 0x10000
	v_add_co_u32 v11, s1, s14, v1
	v_add_co_u32 v9, s3, s10, v1
	v_add_co_ci_u32_e64 v12, null, s15, 0, s1
	v_add_co_ci_u32_e64 v10, null, s11, 0, s3
	s_waitcnt lgkmcnt(0)
	s_and_b32 s0, s0, 0xffff
	s_and_b32 s1, s2, exec_lo
	v_mad_u64_u32 v[2:3], null, s0, 24, v[1:2]
	s_cselect_b32 s19, s17, 0
	s_cselect_b32 s18, s16, 0x10000
	s_mul_i32 s2, s0, 3
	s_lshl_b32 s3, s0, 4
	v_add_co_u32 v17, s2, s2, v0
	v_add_co_u32 v13, vcc_lo, s10, v2
	v_add_co_u32 v1, s3, s3, v1
	v_add_co_ci_u32_e64 v14, null, s11, v3, vcc_lo
	v_add_co_u32 v15, vcc_lo, s14, v2
	v_add_co_ci_u32_e64 v2, null, 0, 0, s3
	v_add_co_ci_u32_e64 v18, null, 0, 0, s2
	v_add_co_u32 v21, s2, v0, s0
	v_add_co_ci_u32_e64 v16, null, s15, v3, vcc_lo
	v_add_co_u32 v19, vcc_lo, s10, v1
	v_add_co_ci_u32_e64 v20, null, s11, v2, vcc_lo
	v_add_co_u32 v22, vcc_lo, s14, v1
	v_lshlrev_b32_e32 v1, 3, v21
	s_lshl_b32 s1, s0, 1
	v_add_co_ci_u32_e64 v23, null, s15, v2, vcc_lo
	v_add_co_u32 v25, s1, s1, v0
	v_add_co_ci_u32_e64 v26, null, 0, 0, s1
	v_add_co_u32 v27, s1, s10, v1
	v_add_co_ci_u32_e64 v28, null, s11, 0, s1
	;; [unrolled: 2-line block ×3, first 2 shown]
	v_add_co_ci_u32_e64 v30, null, s15, 0, s1
	s_lshl_b32 s22, s0, 2
	s_lshl_b32 s23, s0, 5
	s_branch .LBB152_4
.LBB152_3:                              ;   in Loop: Header=BB152_4 Depth=1
	s_or_b32 exec_lo, exec_lo, s1
	v_add_co_u32 v9, vcc_lo, v9, s23
	v_add_co_ci_u32_e64 v10, null, 0, v10, vcc_lo
	v_add_co_u32 v11, vcc_lo, v11, s23
	v_add_co_ci_u32_e64 v12, null, 0, v12, vcc_lo
	;; [unrolled: 2-line block ×4, first 2 shown]
	v_add_co_u32 v19, vcc_lo, v19, s23
	s_add_u32 s20, s20, s22
	v_add_co_ci_u32_e64 v20, null, 0, v20, vcc_lo
	v_add_co_u32 v22, vcc_lo, v22, s23
	s_addc_u32 s21, s21, 0
	v_add_co_ci_u32_e64 v23, null, 0, v23, vcc_lo
	v_add_co_u32 v27, vcc_lo, v27, s23
	v_cmp_lt_i64_e64 s0, s[20:21], s[6:7]
	v_add_co_ci_u32_e64 v28, null, 0, v28, vcc_lo
	v_add_co_u32 v29, vcc_lo, v29, s23
	v_add_co_ci_u32_e64 v30, null, 0, v30, vcc_lo
	s_and_b32 vcc_lo, exec_lo, s0
	s_cbranch_vccz .LBB152_20
.LBB152_4:                              ; =>This Inner Loop Header: Depth=1
	s_waitcnt vmcnt(0)
	v_add_co_u32 v3, s0, v0, s20
	v_add_co_ci_u32_e64 v4, null, 0, s21, s0
	v_mov_b32_e32 v1, 0
	v_mov_b32_e32 v5, 0
	;; [unrolled: 1-line block ×3, first 2 shown]
	v_cmp_gt_u64_e32 vcc_lo, s[18:19], v[3:4]
	v_mov_b32_e32 v6, 0
	s_and_saveexec_b32 s1, vcc_lo
	s_cbranch_execz .LBB152_6
; %bb.5:                                ;   in Loop: Header=BB152_4 Depth=1
	v_add_co_u32 v3, s0, v9, s8
	v_add_co_ci_u32_e64 v4, null, s9, v10, s0
	global_load_dwordx2 v[5:6], v[3:4], off
.LBB152_6:                              ;   in Loop: Header=BB152_4 Depth=1
	s_or_b32 exec_lo, exec_lo, s1
	v_add_co_u32 v3, s0, v21, s20
	v_add_co_ci_u32_e64 v4, null, s21, v24, s0
	v_cmp_gt_u64_e64 s0, s[18:19], v[3:4]
	s_and_saveexec_b32 s2, s0
	s_cbranch_execz .LBB152_8
; %bb.7:                                ;   in Loop: Header=BB152_4 Depth=1
	v_add_co_u32 v1, s1, v27, s8
	v_add_co_ci_u32_e64 v2, null, s9, v28, s1
	global_load_dwordx2 v[1:2], v[1:2], off
.LBB152_8:                              ;   in Loop: Header=BB152_4 Depth=1
	s_or_b32 exec_lo, exec_lo, s2
	v_add_co_u32 v7, s1, v25, s20
	v_add_co_ci_u32_e64 v8, null, s21, v26, s1
	v_mov_b32_e32 v3, 0
	v_mov_b32_e32 v4, 0
	v_cmp_gt_u64_e64 s1, s[18:19], v[7:8]
	v_mov_b32_e32 v7, 0
	v_mov_b32_e32 v8, 0
	s_and_saveexec_b32 s3, s1
	s_cbranch_execz .LBB152_10
; %bb.9:                                ;   in Loop: Header=BB152_4 Depth=1
	v_add_co_u32 v7, s2, v19, s8
	v_add_co_ci_u32_e64 v8, null, s9, v20, s2
	global_load_dwordx2 v[7:8], v[7:8], off
.LBB152_10:                             ;   in Loop: Header=BB152_4 Depth=1
	s_or_b32 exec_lo, exec_lo, s3
	v_add_co_u32 v31, s2, v17, s20
	v_add_co_ci_u32_e64 v32, null, s21, v18, s2
	v_cmp_gt_u64_e64 s2, s[18:19], v[31:32]
	s_and_saveexec_b32 s24, s2
	s_cbranch_execnz .LBB152_15
; %bb.11:                               ;   in Loop: Header=BB152_4 Depth=1
	s_or_b32 exec_lo, exec_lo, s24
	s_and_saveexec_b32 s24, vcc_lo
	s_cbranch_execnz .LBB152_16
.LBB152_12:                             ;   in Loop: Header=BB152_4 Depth=1
	s_or_b32 exec_lo, exec_lo, s24
	s_and_saveexec_b32 s3, s0
	s_cbranch_execnz .LBB152_17
.LBB152_13:                             ;   in Loop: Header=BB152_4 Depth=1
	s_or_b32 exec_lo, exec_lo, s3
	s_and_saveexec_b32 s3, s1
	s_cbranch_execnz .LBB152_18
.LBB152_14:                             ;   in Loop: Header=BB152_4 Depth=1
	s_or_b32 exec_lo, exec_lo, s3
	s_and_saveexec_b32 s1, s2
	s_cbranch_execz .LBB152_3
	s_branch .LBB152_19
.LBB152_15:                             ;   in Loop: Header=BB152_4 Depth=1
	v_add_co_u32 v3, s3, v13, s8
	v_add_co_ci_u32_e64 v4, null, s9, v14, s3
	global_load_dwordx2 v[3:4], v[3:4], off
	s_or_b32 exec_lo, exec_lo, s24
	s_and_saveexec_b32 s24, vcc_lo
	s_cbranch_execz .LBB152_12
.LBB152_16:                             ;   in Loop: Header=BB152_4 Depth=1
	s_waitcnt vmcnt(0)
	v_cmp_u_f64_e32 vcc_lo, v[5:6], v[5:6]
	v_cmp_lt_f64_e64 s3, s[12:13], v[5:6]
	s_or_b32 vcc_lo, vcc_lo, s3
	v_cndmask_b32_e32 v6, s13, v6, vcc_lo
	v_cndmask_b32_e32 v5, s12, v5, vcc_lo
	v_add_co_u32 v31, vcc_lo, v11, s8
	v_add_co_ci_u32_e64 v32, null, s9, v12, vcc_lo
	global_store_dwordx2 v[31:32], v[5:6], off
	s_or_b32 exec_lo, exec_lo, s24
	s_and_saveexec_b32 s3, s0
	s_cbranch_execz .LBB152_13
.LBB152_17:                             ;   in Loop: Header=BB152_4 Depth=1
	s_waitcnt vmcnt(0)
	v_cmp_u_f64_e32 vcc_lo, v[1:2], v[1:2]
	v_cmp_lt_f64_e64 s0, s[12:13], v[1:2]
	s_or_b32 vcc_lo, vcc_lo, s0
	v_cndmask_b32_e32 v2, s13, v2, vcc_lo
	v_cndmask_b32_e32 v1, s12, v1, vcc_lo
	v_add_co_u32 v5, vcc_lo, v29, s8
	v_add_co_ci_u32_e64 v6, null, s9, v30, vcc_lo
	global_store_dwordx2 v[5:6], v[1:2], off
	s_or_b32 exec_lo, exec_lo, s3
	s_and_saveexec_b32 s3, s1
	s_cbranch_execz .LBB152_14
.LBB152_18:                             ;   in Loop: Header=BB152_4 Depth=1
	s_waitcnt vmcnt(0)
	v_cmp_u_f64_e32 vcc_lo, v[7:8], v[7:8]
	v_cmp_lt_f64_e64 s0, s[12:13], v[7:8]
	s_or_b32 vcc_lo, vcc_lo, s0
	v_cndmask_b32_e32 v2, s13, v8, vcc_lo
	v_cndmask_b32_e32 v1, s12, v7, vcc_lo
	v_add_co_u32 v5, vcc_lo, v22, s8
	v_add_co_ci_u32_e64 v6, null, s9, v23, vcc_lo
	global_store_dwordx2 v[5:6], v[1:2], off
	s_or_b32 exec_lo, exec_lo, s3
	s_and_saveexec_b32 s1, s2
	s_cbranch_execz .LBB152_3
.LBB152_19:                             ;   in Loop: Header=BB152_4 Depth=1
	s_waitcnt vmcnt(0)
	v_cmp_u_f64_e32 vcc_lo, v[3:4], v[3:4]
	v_cmp_lt_f64_e64 s0, s[12:13], v[3:4]
	s_or_b32 vcc_lo, vcc_lo, s0
	v_cndmask_b32_e32 v2, s13, v4, vcc_lo
	v_cndmask_b32_e32 v1, s12, v3, vcc_lo
	v_add_co_u32 v3, vcc_lo, v15, s8
	v_add_co_ci_u32_e64 v4, null, s9, v16, vcc_lo
	global_store_dwordx2 v[3:4], v[1:2], off
	s_branch .LBB152_3
.LBB152_20:
	s_mov_b32 s0, 0
.LBB152_21:
	s_andn2_b32 vcc_lo, exec_lo, s0
	s_cbranch_vccnz .LBB152_25
; %bb.22:
	v_cmp_gt_i64_e64 s0, 0x10000, s[16:17]
	s_waitcnt vmcnt(0)
	v_mov_b32_e32 v2, 0
	v_lshlrev_b32_e32 v1, 2, v0
	s_mov_b32 s18, 0
	s_and_b32 s0, s0, exec_lo
	s_cselect_b32 s17, s17, 0
	s_cselect_b32 s16, s16, 0x10000
	s_mov_b32 s0, exec_lo
	v_cmpx_gt_i64_e64 s[16:17], v[1:2]
	s_cbranch_execz .LBB152_25
; %bb.23:
	s_load_dword s0, s[4:5], 0xe54
	v_lshlrev_b32_e32 v3, 5, v0
	v_mov_b32_e32 v1, v2
	v_add_co_u32 v2, s1, s8, v3
	v_add_co_ci_u32_e64 v3, null, s9, 0, s1
	s_waitcnt lgkmcnt(0)
	s_and_b32 s9, s0, 0xffff
	s_lshl_b32 s19, s9, 5
.LBB152_24:                             ; =>This Inner Loop Header: Depth=1
	v_add_co_u32 v8, vcc_lo, s10, v2
	v_add_co_ci_u32_e64 v9, null, s11, v3, vcc_lo
	v_add_co_u32 v0, s0, v0, s9
	v_add_co_ci_u32_e64 v1, null, 0, v1, s0
	s_clause 0x1
	global_load_dwordx4 v[4:7], v[8:9], off
	global_load_dwordx4 v[8:11], v[8:9], off offset:16
	v_add_co_u32 v12, vcc_lo, s14, v2
	v_lshlrev_b64 v[14:15], 2, v[0:1]
	v_add_co_ci_u32_e64 v13, null, s15, v3, vcc_lo
	v_add_co_u32 v2, vcc_lo, v2, s19
	v_add_co_ci_u32_e64 v3, null, 0, v3, vcc_lo
	v_cmp_le_i64_e64 s8, s[16:17], v[14:15]
	s_waitcnt vmcnt(1)
	v_cmp_u_f64_e64 s0, v[4:5], v[4:5]
	v_cmp_lt_f64_e64 s1, s[12:13], v[4:5]
	v_cmp_u_f64_e64 s2, v[6:7], v[6:7]
	v_cmp_lt_f64_e64 s3, s[12:13], v[6:7]
	s_waitcnt vmcnt(0)
	v_cmp_u_f64_e64 s4, v[8:9], v[8:9]
	v_cmp_lt_f64_e64 s5, s[12:13], v[8:9]
	v_cmp_u_f64_e64 s6, v[10:11], v[10:11]
	v_cmp_lt_f64_e64 s7, s[12:13], v[10:11]
	s_or_b32 s0, s0, s1
	s_or_b32 s1, s2, s3
	v_cndmask_b32_e64 v5, s13, v5, s0
	s_or_b32 s2, s4, s5
	v_cndmask_b32_e64 v7, s13, v7, s1
	;; [unrolled: 2-line block ×3, first 2 shown]
	v_cndmask_b32_e64 v6, s12, v6, s1
	v_cndmask_b32_e64 v9, s13, v9, s2
	;; [unrolled: 1-line block ×5, first 2 shown]
	s_or_b32 s18, s8, s18
	global_store_dwordx4 v[12:13], v[4:7], off
	global_store_dwordx4 v[12:13], v[8:11], off offset:16
	s_andn2_b32 exec_lo, exec_lo, s18
	s_cbranch_execnz .LBB152_24
.LBB152_25:
	s_endpgm
	.section	.rodata,"a",@progbits
	.p2align	6, 0x0
	.amdhsa_kernel _ZN2at6native12_GLOBAL__N_125multi_tensor_apply_kernelINS1_28TensorListScalarListMetadataIdLi2EEENS1_25BinaryOpScalarListFunctorIdLi2ELi1ELi1EEEJNS0_7maximumIdEEEEEvT_T0_DpT1_
		.amdhsa_group_segment_fixed_size 0
		.amdhsa_private_segment_fixed_size 0
		.amdhsa_kernarg_size 3912
		.amdhsa_user_sgpr_count 6
		.amdhsa_user_sgpr_private_segment_buffer 1
		.amdhsa_user_sgpr_dispatch_ptr 0
		.amdhsa_user_sgpr_queue_ptr 0
		.amdhsa_user_sgpr_kernarg_segment_ptr 1
		.amdhsa_user_sgpr_dispatch_id 0
		.amdhsa_user_sgpr_flat_scratch_init 0
		.amdhsa_user_sgpr_private_segment_size 0
		.amdhsa_wavefront_size32 1
		.amdhsa_uses_dynamic_stack 0
		.amdhsa_system_sgpr_private_segment_wavefront_offset 0
		.amdhsa_system_sgpr_workgroup_id_x 1
		.amdhsa_system_sgpr_workgroup_id_y 0
		.amdhsa_system_sgpr_workgroup_id_z 0
		.amdhsa_system_sgpr_workgroup_info 0
		.amdhsa_system_vgpr_workitem_id 0
		.amdhsa_next_free_vgpr 33
		.amdhsa_next_free_sgpr 25
		.amdhsa_reserve_vcc 1
		.amdhsa_reserve_flat_scratch 0
		.amdhsa_float_round_mode_32 0
		.amdhsa_float_round_mode_16_64 0
		.amdhsa_float_denorm_mode_32 3
		.amdhsa_float_denorm_mode_16_64 3
		.amdhsa_dx10_clamp 1
		.amdhsa_ieee_mode 1
		.amdhsa_fp16_overflow 0
		.amdhsa_workgroup_processor_mode 1
		.amdhsa_memory_ordered 1
		.amdhsa_forward_progress 1
		.amdhsa_shared_vgpr_count 0
		.amdhsa_exception_fp_ieee_invalid_op 0
		.amdhsa_exception_fp_denorm_src 0
		.amdhsa_exception_fp_ieee_div_zero 0
		.amdhsa_exception_fp_ieee_overflow 0
		.amdhsa_exception_fp_ieee_underflow 0
		.amdhsa_exception_fp_ieee_inexact 0
		.amdhsa_exception_int_div_zero 0
	.end_amdhsa_kernel
	.section	.text._ZN2at6native12_GLOBAL__N_125multi_tensor_apply_kernelINS1_28TensorListScalarListMetadataIdLi2EEENS1_25BinaryOpScalarListFunctorIdLi2ELi1ELi1EEEJNS0_7maximumIdEEEEEvT_T0_DpT1_,"axG",@progbits,_ZN2at6native12_GLOBAL__N_125multi_tensor_apply_kernelINS1_28TensorListScalarListMetadataIdLi2EEENS1_25BinaryOpScalarListFunctorIdLi2ELi1ELi1EEEJNS0_7maximumIdEEEEEvT_T0_DpT1_,comdat
.Lfunc_end152:
	.size	_ZN2at6native12_GLOBAL__N_125multi_tensor_apply_kernelINS1_28TensorListScalarListMetadataIdLi2EEENS1_25BinaryOpScalarListFunctorIdLi2ELi1ELi1EEEJNS0_7maximumIdEEEEEvT_T0_DpT1_, .Lfunc_end152-_ZN2at6native12_GLOBAL__N_125multi_tensor_apply_kernelINS1_28TensorListScalarListMetadataIdLi2EEENS1_25BinaryOpScalarListFunctorIdLi2ELi1ELi1EEEJNS0_7maximumIdEEEEEvT_T0_DpT1_
                                        ; -- End function
	.set _ZN2at6native12_GLOBAL__N_125multi_tensor_apply_kernelINS1_28TensorListScalarListMetadataIdLi2EEENS1_25BinaryOpScalarListFunctorIdLi2ELi1ELi1EEEJNS0_7maximumIdEEEEEvT_T0_DpT1_.num_vgpr, 33
	.set _ZN2at6native12_GLOBAL__N_125multi_tensor_apply_kernelINS1_28TensorListScalarListMetadataIdLi2EEENS1_25BinaryOpScalarListFunctorIdLi2ELi1ELi1EEEJNS0_7maximumIdEEEEEvT_T0_DpT1_.num_agpr, 0
	.set _ZN2at6native12_GLOBAL__N_125multi_tensor_apply_kernelINS1_28TensorListScalarListMetadataIdLi2EEENS1_25BinaryOpScalarListFunctorIdLi2ELi1ELi1EEEJNS0_7maximumIdEEEEEvT_T0_DpT1_.numbered_sgpr, 25
	.set _ZN2at6native12_GLOBAL__N_125multi_tensor_apply_kernelINS1_28TensorListScalarListMetadataIdLi2EEENS1_25BinaryOpScalarListFunctorIdLi2ELi1ELi1EEEJNS0_7maximumIdEEEEEvT_T0_DpT1_.num_named_barrier, 0
	.set _ZN2at6native12_GLOBAL__N_125multi_tensor_apply_kernelINS1_28TensorListScalarListMetadataIdLi2EEENS1_25BinaryOpScalarListFunctorIdLi2ELi1ELi1EEEJNS0_7maximumIdEEEEEvT_T0_DpT1_.private_seg_size, 0
	.set _ZN2at6native12_GLOBAL__N_125multi_tensor_apply_kernelINS1_28TensorListScalarListMetadataIdLi2EEENS1_25BinaryOpScalarListFunctorIdLi2ELi1ELi1EEEJNS0_7maximumIdEEEEEvT_T0_DpT1_.uses_vcc, 1
	.set _ZN2at6native12_GLOBAL__N_125multi_tensor_apply_kernelINS1_28TensorListScalarListMetadataIdLi2EEENS1_25BinaryOpScalarListFunctorIdLi2ELi1ELi1EEEJNS0_7maximumIdEEEEEvT_T0_DpT1_.uses_flat_scratch, 0
	.set _ZN2at6native12_GLOBAL__N_125multi_tensor_apply_kernelINS1_28TensorListScalarListMetadataIdLi2EEENS1_25BinaryOpScalarListFunctorIdLi2ELi1ELi1EEEJNS0_7maximumIdEEEEEvT_T0_DpT1_.has_dyn_sized_stack, 0
	.set _ZN2at6native12_GLOBAL__N_125multi_tensor_apply_kernelINS1_28TensorListScalarListMetadataIdLi2EEENS1_25BinaryOpScalarListFunctorIdLi2ELi1ELi1EEEJNS0_7maximumIdEEEEEvT_T0_DpT1_.has_recursion, 0
	.set _ZN2at6native12_GLOBAL__N_125multi_tensor_apply_kernelINS1_28TensorListScalarListMetadataIdLi2EEENS1_25BinaryOpScalarListFunctorIdLi2ELi1ELi1EEEJNS0_7maximumIdEEEEEvT_T0_DpT1_.has_indirect_call, 0
	.section	.AMDGPU.csdata,"",@progbits
; Kernel info:
; codeLenInByte = 1636
; TotalNumSgprs: 27
; NumVgprs: 33
; ScratchSize: 0
; MemoryBound: 0
; FloatMode: 240
; IeeeMode: 1
; LDSByteSize: 0 bytes/workgroup (compile time only)
; SGPRBlocks: 0
; VGPRBlocks: 4
; NumSGPRsForWavesPerEU: 27
; NumVGPRsForWavesPerEU: 33
; Occupancy: 16
; WaveLimiterHint : 1
; COMPUTE_PGM_RSRC2:SCRATCH_EN: 0
; COMPUTE_PGM_RSRC2:USER_SGPR: 6
; COMPUTE_PGM_RSRC2:TRAP_HANDLER: 0
; COMPUTE_PGM_RSRC2:TGID_X_EN: 1
; COMPUTE_PGM_RSRC2:TGID_Y_EN: 0
; COMPUTE_PGM_RSRC2:TGID_Z_EN: 0
; COMPUTE_PGM_RSRC2:TIDIG_COMP_CNT: 0
	.section	.text._ZN2at6native12_GLOBAL__N_125multi_tensor_apply_kernelINS1_28TensorListScalarListMetadataIfLi2EEENS1_25BinaryOpScalarListFunctorIfLi2ELi1ELi1EEEJNS0_7maximumIfEEEEEvT_T0_DpT1_,"axG",@progbits,_ZN2at6native12_GLOBAL__N_125multi_tensor_apply_kernelINS1_28TensorListScalarListMetadataIfLi2EEENS1_25BinaryOpScalarListFunctorIfLi2ELi1ELi1EEEJNS0_7maximumIfEEEEEvT_T0_DpT1_,comdat
	.globl	_ZN2at6native12_GLOBAL__N_125multi_tensor_apply_kernelINS1_28TensorListScalarListMetadataIfLi2EEENS1_25BinaryOpScalarListFunctorIfLi2ELi1ELi1EEEJNS0_7maximumIfEEEEEvT_T0_DpT1_ ; -- Begin function _ZN2at6native12_GLOBAL__N_125multi_tensor_apply_kernelINS1_28TensorListScalarListMetadataIfLi2EEENS1_25BinaryOpScalarListFunctorIfLi2ELi1ELi1EEEJNS0_7maximumIfEEEEEvT_T0_DpT1_
	.p2align	8
	.type	_ZN2at6native12_GLOBAL__N_125multi_tensor_apply_kernelINS1_28TensorListScalarListMetadataIfLi2EEENS1_25BinaryOpScalarListFunctorIfLi2ELi1ELi1EEEJNS0_7maximumIfEEEEEvT_T0_DpT1_,@function
_ZN2at6native12_GLOBAL__N_125multi_tensor_apply_kernelINS1_28TensorListScalarListMetadataIfLi2EEENS1_25BinaryOpScalarListFunctorIfLi2ELi1ELi1EEEJNS0_7maximumIfEEEEEvT_T0_DpT1_: ; @_ZN2at6native12_GLOBAL__N_125multi_tensor_apply_kernelINS1_28TensorListScalarListMetadataIfLi2EEENS1_25BinaryOpScalarListFunctorIfLi2ELi1ELi1EEEJNS0_7maximumIfEEEEEvT_T0_DpT1_
; %bb.0:
	v_mov_b32_e32 v1, s6
	s_add_u32 s0, s4, s6
	s_mul_hi_u32 s1, s6, 3
	s_mul_i32 s6, s6, 3
	s_addc_u32 s2, s5, 0
	global_load_ubyte v1, v1, s[4:5] offset:1792
	s_add_u32 s0, s0, s6
	s_addc_u32 s1, s2, s1
	s_mov_b32 s15, 0
	s_load_dword s0, s[0:1], 0x840
	s_mov_b32 s17, s15
	s_waitcnt vmcnt(0)
	v_readfirstlane_b32 s1, v1
	v_lshlrev_b32_e32 v1, 2, v1
	s_lshl_b32 s6, s1, 3
	v_sub_co_u32 v1, s1, 0, v1
	v_sub_co_ci_u32_e64 v2, null, 0, 0, s1
	s_waitcnt lgkmcnt(0)
	s_ashr_i32 s1, s0, 31
	s_clause 0x2
	s_load_dwordx2 s[2:3], s[4:5], s6 offset:0x400
	s_load_dwordx2 s[10:11], s[4:5], s6 offset:0x0
	;; [unrolled: 1-line block ×3, first 2 shown]
	s_add_u32 s6, s4, s6
	s_addc_u32 s7, s5, 0
	v_add_co_u32 v1, vcc_lo, s6, v1
	v_add_co_ci_u32_e64 v2, null, s7, v2, vcc_lo
	v_readfirstlane_b32 s6, v1
	v_readfirstlane_b32 s7, v2
	s_load_dword s20, s[6:7], 0x600
	s_lshl_b64 s[6:7], s[0:1], 18
	s_lshl_b64 s[0:1], s[0:1], 16
	s_waitcnt lgkmcnt(0)
	s_add_u32 s8, s10, s6
	s_and_b32 s16, s12, 15
	s_and_b32 s14, s8, 15
	s_sub_u32 s8, s2, s0
	s_subb_u32 s9, s3, s1
	s_and_b32 s0, s2, 3
	s_mov_b32 s1, s15
	s_or_b64 s[0:1], s[16:17], s[0:1]
	s_or_b64 s[0:1], s[0:1], s[14:15]
	s_cmp_eq_u64 s[0:1], 0
	s_mov_b32 s0, -1
	s_cbranch_scc1 .LBB153_21
; %bb.1:
	v_cmp_lt_i64_e64 s0, s[8:9], 1
	s_and_b32 vcc_lo, exec_lo, s0
	s_cbranch_vccnz .LBB153_20
; %bb.2:
	s_load_dword s0, s[4:5], 0xd54
	v_cmp_gt_i64_e64 s1, 0x10000, s[8:9]
	v_lshlrev_b32_e32 v9, 2, v0
	v_cmp_gt_u64_e64 s2, 0x10000, s[8:9]
	v_mov_b32_e32 v10, 0
	s_mov_b64 s[18:19], 0
	s_and_b32 s1, s1, exec_lo
	v_add_co_u32 v3, s1, s12, v9
	v_add_co_u32 v1, s3, s10, v9
	s_cselect_b32 s15, s9, 0
	s_cselect_b32 s14, s8, 0x10000
	v_add_co_ci_u32_e64 v4, null, s13, 0, s1
	v_add_co_ci_u32_e64 v2, null, s11, 0, s3
	s_waitcnt lgkmcnt(0)
	s_and_b32 s0, s0, 0xffff
	s_and_b32 s1, s2, exec_lo
	s_cselect_b32 s17, s9, 0
	s_cselect_b32 s16, s8, 0x10000
	s_mul_i32 s2, s0, 3
	s_lshl_b32 s3, s0, 3
	v_mad_u64_u32 v[7:8], null, s0, 12, v[9:10]
	v_add_co_u32 v14, s3, s3, v9
	v_add_co_u32 v9, s2, s2, v0
	v_add_co_ci_u32_e64 v10, null, 0, 0, s2
	v_add_co_u32 v13, s2, v0, s0
	s_lshl_b32 s1, s0, 1
	v_add_co_u32 v5, vcc_lo, s10, v7
	v_lshlrev_b32_e32 v21, 2, v13
	v_add_co_ci_u32_e64 v15, null, 0, 0, s3
	v_add_co_ci_u32_e64 v6, null, s11, v8, vcc_lo
	v_add_co_u32 v7, vcc_lo, s12, v7
	v_add_co_u32 v17, s1, s1, v0
	v_add_co_ci_u32_e64 v8, null, s13, v8, vcc_lo
	v_add_co_u32 v11, vcc_lo, s10, v14
	v_add_co_ci_u32_e64 v18, null, 0, 0, s1
	v_add_co_u32 v19, s1, s10, v21
	v_add_co_ci_u32_e64 v12, null, s11, v15, vcc_lo
	v_add_co_u32 v14, vcc_lo, s12, v14
	v_add_co_ci_u32_e64 v20, null, s11, 0, s1
	v_add_co_u32 v21, s1, s12, v21
	v_add_co_ci_u32_e64 v15, null, s13, v15, vcc_lo
	v_add_co_ci_u32_e64 v16, null, 0, 0, s2
	v_add_co_ci_u32_e64 v22, null, s13, 0, s1
	s_lshl_b32 s21, s0, 2
	s_lshl_b32 s22, s0, 4
	s_branch .LBB153_4
.LBB153_3:                              ;   in Loop: Header=BB153_4 Depth=1
	s_or_b32 exec_lo, exec_lo, s1
	v_add_co_u32 v1, vcc_lo, v1, s22
	v_add_co_ci_u32_e64 v2, null, 0, v2, vcc_lo
	v_add_co_u32 v3, vcc_lo, v3, s22
	v_add_co_ci_u32_e64 v4, null, 0, v4, vcc_lo
	;; [unrolled: 2-line block ×4, first 2 shown]
	v_add_co_u32 v11, vcc_lo, v11, s22
	s_add_u32 s18, s18, s21
	v_add_co_ci_u32_e64 v12, null, 0, v12, vcc_lo
	v_add_co_u32 v14, vcc_lo, v14, s22
	s_addc_u32 s19, s19, 0
	v_add_co_ci_u32_e64 v15, null, 0, v15, vcc_lo
	v_add_co_u32 v19, vcc_lo, v19, s22
	v_cmp_lt_i64_e64 s0, s[18:19], s[14:15]
	v_add_co_ci_u32_e64 v20, null, 0, v20, vcc_lo
	v_add_co_u32 v21, vcc_lo, v21, s22
	v_add_co_ci_u32_e64 v22, null, 0, v22, vcc_lo
	s_and_b32 vcc_lo, exec_lo, s0
	s_cbranch_vccz .LBB153_20
.LBB153_4:                              ; =>This Inner Loop Header: Depth=1
	s_waitcnt vmcnt(0)
	v_add_co_u32 v23, s0, v0, s18
	v_add_co_ci_u32_e64 v24, null, 0, s19, s0
	v_cmp_gt_u64_e32 vcc_lo, s[16:17], v[23:24]
	v_mov_b32_e32 v24, 0
	s_and_saveexec_b32 s1, vcc_lo
	s_cbranch_execz .LBB153_6
; %bb.5:                                ;   in Loop: Header=BB153_4 Depth=1
	v_add_co_u32 v23, s0, v1, s6
	v_add_co_ci_u32_e64 v24, null, s7, v2, s0
	global_load_dword v24, v[23:24], off
.LBB153_6:                              ;   in Loop: Header=BB153_4 Depth=1
	s_or_b32 exec_lo, exec_lo, s1
	v_add_co_u32 v25, s0, v13, s18
	v_add_co_ci_u32_e64 v26, null, s19, v16, s0
	v_mov_b32_e32 v23, 0
	v_cmp_gt_u64_e64 s0, s[16:17], v[25:26]
	v_mov_b32_e32 v25, 0
	s_and_saveexec_b32 s2, s0
	s_cbranch_execz .LBB153_8
; %bb.7:                                ;   in Loop: Header=BB153_4 Depth=1
	v_add_co_u32 v25, s1, v19, s6
	v_add_co_ci_u32_e64 v26, null, s7, v20, s1
	global_load_dword v25, v[25:26], off
.LBB153_8:                              ;   in Loop: Header=BB153_4 Depth=1
	s_or_b32 exec_lo, exec_lo, s2
	v_add_co_u32 v26, s1, v17, s18
	v_add_co_ci_u32_e64 v27, null, s19, v18, s1
	v_cmp_gt_u64_e64 s1, s[16:17], v[26:27]
	s_and_saveexec_b32 s3, s1
	s_cbranch_execz .LBB153_10
; %bb.9:                                ;   in Loop: Header=BB153_4 Depth=1
	v_add_co_u32 v26, s2, v11, s6
	v_add_co_ci_u32_e64 v27, null, s7, v12, s2
	global_load_dword v23, v[26:27], off
.LBB153_10:                             ;   in Loop: Header=BB153_4 Depth=1
	s_or_b32 exec_lo, exec_lo, s3
	v_add_co_u32 v26, s2, v9, s18
	v_add_co_ci_u32_e64 v27, null, s19, v10, s2
	v_cmp_gt_u64_e64 s2, s[16:17], v[26:27]
	v_mov_b32_e32 v26, 0
	s_and_saveexec_b32 s23, s2
	s_cbranch_execnz .LBB153_15
; %bb.11:                               ;   in Loop: Header=BB153_4 Depth=1
	s_or_b32 exec_lo, exec_lo, s23
	s_and_saveexec_b32 s23, vcc_lo
	s_cbranch_execnz .LBB153_16
.LBB153_12:                             ;   in Loop: Header=BB153_4 Depth=1
	s_or_b32 exec_lo, exec_lo, s23
	s_and_saveexec_b32 s3, s0
	s_cbranch_execnz .LBB153_17
.LBB153_13:                             ;   in Loop: Header=BB153_4 Depth=1
	s_or_b32 exec_lo, exec_lo, s3
	s_and_saveexec_b32 s3, s1
	s_cbranch_execnz .LBB153_18
.LBB153_14:                             ;   in Loop: Header=BB153_4 Depth=1
	s_or_b32 exec_lo, exec_lo, s3
	s_and_saveexec_b32 s1, s2
	s_cbranch_execz .LBB153_3
	s_branch .LBB153_19
.LBB153_15:                             ;   in Loop: Header=BB153_4 Depth=1
	v_add_co_u32 v26, s3, v5, s6
	v_add_co_ci_u32_e64 v27, null, s7, v6, s3
	global_load_dword v26, v[26:27], off
	s_or_b32 exec_lo, exec_lo, s23
	s_and_saveexec_b32 s23, vcc_lo
	s_cbranch_execz .LBB153_12
.LBB153_16:                             ;   in Loop: Header=BB153_4 Depth=1
	s_waitcnt vmcnt(0)
	v_cmp_u_f32_e32 vcc_lo, v24, v24
	v_cmp_lt_f32_e64 s3, s20, v24
	s_or_b32 vcc_lo, vcc_lo, s3
	v_cndmask_b32_e32 v24, s20, v24, vcc_lo
	v_add_co_u32 v27, vcc_lo, v3, s6
	v_add_co_ci_u32_e64 v28, null, s7, v4, vcc_lo
	global_store_dword v[27:28], v24, off
	s_or_b32 exec_lo, exec_lo, s23
	s_and_saveexec_b32 s3, s0
	s_cbranch_execz .LBB153_13
.LBB153_17:                             ;   in Loop: Header=BB153_4 Depth=1
	s_waitcnt vmcnt(0)
	v_cmp_u_f32_e32 vcc_lo, v25, v25
	v_cmp_lt_f32_e64 s0, s20, v25
	s_or_b32 vcc_lo, vcc_lo, s0
	v_cndmask_b32_e32 v27, s20, v25, vcc_lo
	v_add_co_u32 v24, vcc_lo, v21, s6
	v_add_co_ci_u32_e64 v25, null, s7, v22, vcc_lo
	global_store_dword v[24:25], v27, off
	s_or_b32 exec_lo, exec_lo, s3
	s_and_saveexec_b32 s3, s1
	s_cbranch_execz .LBB153_14
.LBB153_18:                             ;   in Loop: Header=BB153_4 Depth=1
	s_waitcnt vmcnt(0)
	v_cmp_u_f32_e32 vcc_lo, v23, v23
	v_cmp_lt_f32_e64 s0, s20, v23
	s_or_b32 vcc_lo, vcc_lo, s0
	v_cndmask_b32_e32 v25, s20, v23, vcc_lo
	v_add_co_u32 v23, vcc_lo, v14, s6
	v_add_co_ci_u32_e64 v24, null, s7, v15, vcc_lo
	global_store_dword v[23:24], v25, off
	s_or_b32 exec_lo, exec_lo, s3
	s_and_saveexec_b32 s1, s2
	s_cbranch_execz .LBB153_3
.LBB153_19:                             ;   in Loop: Header=BB153_4 Depth=1
	s_waitcnt vmcnt(0)
	v_cmp_u_f32_e32 vcc_lo, v26, v26
	v_cmp_lt_f32_e64 s0, s20, v26
	s_or_b32 vcc_lo, vcc_lo, s0
	v_cndmask_b32_e32 v25, s20, v26, vcc_lo
	v_add_co_u32 v23, vcc_lo, v7, s6
	v_add_co_ci_u32_e64 v24, null, s7, v8, vcc_lo
	global_store_dword v[23:24], v25, off
	s_branch .LBB153_3
.LBB153_20:
	s_mov_b32 s0, 0
.LBB153_21:
	s_andn2_b32 vcc_lo, exec_lo, s0
	s_cbranch_vccnz .LBB153_25
; %bb.22:
	v_cmp_gt_i64_e64 s0, 0x10000, s[8:9]
	v_mov_b32_e32 v2, 0
	v_lshlrev_b32_e32 v1, 2, v0
	s_and_b32 s0, s0, exec_lo
	s_cselect_b32 s15, s9, 0
	s_cselect_b32 s14, s8, 0x10000
	s_mov_b32 s9, 0
	s_mov_b32 s0, exec_lo
	v_cmpx_gt_i64_e64 s[14:15], v[1:2]
	s_cbranch_execz .LBB153_25
; %bb.23:
	s_load_dword s0, s[4:5], 0xd54
	v_lshlrev_b32_e32 v3, 4, v0
	v_mov_b32_e32 v1, v2
	v_add_co_u32 v2, s1, s6, v3
	v_add_co_ci_u32_e64 v3, null, s7, 0, s1
	s_waitcnt lgkmcnt(0)
	s_and_b32 s16, s0, 0xffff
	s_lshl_b32 s17, s16, 4
.LBB153_24:                             ; =>This Inner Loop Header: Depth=1
	v_add_co_u32 v4, vcc_lo, s10, v2
	v_add_co_ci_u32_e64 v5, null, s11, v3, vcc_lo
	v_add_co_u32 v0, vcc_lo, v0, s16
	v_add_co_ci_u32_e64 v1, null, 0, v1, vcc_lo
	global_load_dwordx4 v[4:7], v[4:5], off
	v_add_co_u32 v8, vcc_lo, s12, v2
	v_lshlrev_b64 v[10:11], 2, v[0:1]
	v_add_co_ci_u32_e64 v9, null, s13, v3, vcc_lo
	v_add_co_u32 v2, vcc_lo, v2, s17
	v_add_co_ci_u32_e64 v3, null, 0, v3, vcc_lo
	v_cmp_le_i64_e64 s0, s[14:15], v[10:11]
	s_waitcnt vmcnt(0)
	v_cmp_u_f32_e64 s1, v4, v4
	v_cmp_lt_f32_e64 s2, s20, v4
	v_cmp_u_f32_e64 s3, v5, v5
	v_cmp_lt_f32_e64 s4, s20, v5
	;; [unrolled: 2-line block ×3, first 2 shown]
	s_or_b32 s1, s1, s2
	v_cmp_u_f32_e64 s7, v7, v7
	v_cmp_lt_f32_e64 s8, s20, v7
	v_cndmask_b32_e64 v4, s20, v4, s1
	s_or_b32 s1, s3, s4
	v_cndmask_b32_e64 v5, s20, v5, s1
	s_or_b32 s1, s5, s6
	v_cndmask_b32_e64 v6, s20, v6, s1
	s_or_b32 s1, s7, s8
	s_or_b32 s9, s0, s9
	v_cndmask_b32_e64 v7, s20, v7, s1
	global_store_dwordx4 v[8:9], v[4:7], off
	s_andn2_b32 exec_lo, exec_lo, s9
	s_cbranch_execnz .LBB153_24
.LBB153_25:
	s_endpgm
	.section	.rodata,"a",@progbits
	.p2align	6, 0x0
	.amdhsa_kernel _ZN2at6native12_GLOBAL__N_125multi_tensor_apply_kernelINS1_28TensorListScalarListMetadataIfLi2EEENS1_25BinaryOpScalarListFunctorIfLi2ELi1ELi1EEEJNS0_7maximumIfEEEEEvT_T0_DpT1_
		.amdhsa_group_segment_fixed_size 0
		.amdhsa_private_segment_fixed_size 0
		.amdhsa_kernarg_size 3656
		.amdhsa_user_sgpr_count 6
		.amdhsa_user_sgpr_private_segment_buffer 1
		.amdhsa_user_sgpr_dispatch_ptr 0
		.amdhsa_user_sgpr_queue_ptr 0
		.amdhsa_user_sgpr_kernarg_segment_ptr 1
		.amdhsa_user_sgpr_dispatch_id 0
		.amdhsa_user_sgpr_flat_scratch_init 0
		.amdhsa_user_sgpr_private_segment_size 0
		.amdhsa_wavefront_size32 1
		.amdhsa_uses_dynamic_stack 0
		.amdhsa_system_sgpr_private_segment_wavefront_offset 0
		.amdhsa_system_sgpr_workgroup_id_x 1
		.amdhsa_system_sgpr_workgroup_id_y 0
		.amdhsa_system_sgpr_workgroup_id_z 0
		.amdhsa_system_sgpr_workgroup_info 0
		.amdhsa_system_vgpr_workitem_id 0
		.amdhsa_next_free_vgpr 29
		.amdhsa_next_free_sgpr 24
		.amdhsa_reserve_vcc 1
		.amdhsa_reserve_flat_scratch 0
		.amdhsa_float_round_mode_32 0
		.amdhsa_float_round_mode_16_64 0
		.amdhsa_float_denorm_mode_32 3
		.amdhsa_float_denorm_mode_16_64 3
		.amdhsa_dx10_clamp 1
		.amdhsa_ieee_mode 1
		.amdhsa_fp16_overflow 0
		.amdhsa_workgroup_processor_mode 1
		.amdhsa_memory_ordered 1
		.amdhsa_forward_progress 1
		.amdhsa_shared_vgpr_count 0
		.amdhsa_exception_fp_ieee_invalid_op 0
		.amdhsa_exception_fp_denorm_src 0
		.amdhsa_exception_fp_ieee_div_zero 0
		.amdhsa_exception_fp_ieee_overflow 0
		.amdhsa_exception_fp_ieee_underflow 0
		.amdhsa_exception_fp_ieee_inexact 0
		.amdhsa_exception_int_div_zero 0
	.end_amdhsa_kernel
	.section	.text._ZN2at6native12_GLOBAL__N_125multi_tensor_apply_kernelINS1_28TensorListScalarListMetadataIfLi2EEENS1_25BinaryOpScalarListFunctorIfLi2ELi1ELi1EEEJNS0_7maximumIfEEEEEvT_T0_DpT1_,"axG",@progbits,_ZN2at6native12_GLOBAL__N_125multi_tensor_apply_kernelINS1_28TensorListScalarListMetadataIfLi2EEENS1_25BinaryOpScalarListFunctorIfLi2ELi1ELi1EEEJNS0_7maximumIfEEEEEvT_T0_DpT1_,comdat
.Lfunc_end153:
	.size	_ZN2at6native12_GLOBAL__N_125multi_tensor_apply_kernelINS1_28TensorListScalarListMetadataIfLi2EEENS1_25BinaryOpScalarListFunctorIfLi2ELi1ELi1EEEJNS0_7maximumIfEEEEEvT_T0_DpT1_, .Lfunc_end153-_ZN2at6native12_GLOBAL__N_125multi_tensor_apply_kernelINS1_28TensorListScalarListMetadataIfLi2EEENS1_25BinaryOpScalarListFunctorIfLi2ELi1ELi1EEEJNS0_7maximumIfEEEEEvT_T0_DpT1_
                                        ; -- End function
	.set _ZN2at6native12_GLOBAL__N_125multi_tensor_apply_kernelINS1_28TensorListScalarListMetadataIfLi2EEENS1_25BinaryOpScalarListFunctorIfLi2ELi1ELi1EEEJNS0_7maximumIfEEEEEvT_T0_DpT1_.num_vgpr, 29
	.set _ZN2at6native12_GLOBAL__N_125multi_tensor_apply_kernelINS1_28TensorListScalarListMetadataIfLi2EEENS1_25BinaryOpScalarListFunctorIfLi2ELi1ELi1EEEJNS0_7maximumIfEEEEEvT_T0_DpT1_.num_agpr, 0
	.set _ZN2at6native12_GLOBAL__N_125multi_tensor_apply_kernelINS1_28TensorListScalarListMetadataIfLi2EEENS1_25BinaryOpScalarListFunctorIfLi2ELi1ELi1EEEJNS0_7maximumIfEEEEEvT_T0_DpT1_.numbered_sgpr, 24
	.set _ZN2at6native12_GLOBAL__N_125multi_tensor_apply_kernelINS1_28TensorListScalarListMetadataIfLi2EEENS1_25BinaryOpScalarListFunctorIfLi2ELi1ELi1EEEJNS0_7maximumIfEEEEEvT_T0_DpT1_.num_named_barrier, 0
	.set _ZN2at6native12_GLOBAL__N_125multi_tensor_apply_kernelINS1_28TensorListScalarListMetadataIfLi2EEENS1_25BinaryOpScalarListFunctorIfLi2ELi1ELi1EEEJNS0_7maximumIfEEEEEvT_T0_DpT1_.private_seg_size, 0
	.set _ZN2at6native12_GLOBAL__N_125multi_tensor_apply_kernelINS1_28TensorListScalarListMetadataIfLi2EEENS1_25BinaryOpScalarListFunctorIfLi2ELi1ELi1EEEJNS0_7maximumIfEEEEEvT_T0_DpT1_.uses_vcc, 1
	.set _ZN2at6native12_GLOBAL__N_125multi_tensor_apply_kernelINS1_28TensorListScalarListMetadataIfLi2EEENS1_25BinaryOpScalarListFunctorIfLi2ELi1ELi1EEEJNS0_7maximumIfEEEEEvT_T0_DpT1_.uses_flat_scratch, 0
	.set _ZN2at6native12_GLOBAL__N_125multi_tensor_apply_kernelINS1_28TensorListScalarListMetadataIfLi2EEENS1_25BinaryOpScalarListFunctorIfLi2ELi1ELi1EEEJNS0_7maximumIfEEEEEvT_T0_DpT1_.has_dyn_sized_stack, 0
	.set _ZN2at6native12_GLOBAL__N_125multi_tensor_apply_kernelINS1_28TensorListScalarListMetadataIfLi2EEENS1_25BinaryOpScalarListFunctorIfLi2ELi1ELi1EEEJNS0_7maximumIfEEEEEvT_T0_DpT1_.has_recursion, 0
	.set _ZN2at6native12_GLOBAL__N_125multi_tensor_apply_kernelINS1_28TensorListScalarListMetadataIfLi2EEENS1_25BinaryOpScalarListFunctorIfLi2ELi1ELi1EEEJNS0_7maximumIfEEEEEvT_T0_DpT1_.has_indirect_call, 0
	.section	.AMDGPU.csdata,"",@progbits
; Kernel info:
; codeLenInByte = 1600
; TotalNumSgprs: 26
; NumVgprs: 29
; ScratchSize: 0
; MemoryBound: 0
; FloatMode: 240
; IeeeMode: 1
; LDSByteSize: 0 bytes/workgroup (compile time only)
; SGPRBlocks: 0
; VGPRBlocks: 3
; NumSGPRsForWavesPerEU: 26
; NumVGPRsForWavesPerEU: 29
; Occupancy: 16
; WaveLimiterHint : 0
; COMPUTE_PGM_RSRC2:SCRATCH_EN: 0
; COMPUTE_PGM_RSRC2:USER_SGPR: 6
; COMPUTE_PGM_RSRC2:TRAP_HANDLER: 0
; COMPUTE_PGM_RSRC2:TGID_X_EN: 1
; COMPUTE_PGM_RSRC2:TGID_Y_EN: 0
; COMPUTE_PGM_RSRC2:TGID_Z_EN: 0
; COMPUTE_PGM_RSRC2:TIDIG_COMP_CNT: 0
	.section	.text._ZN2at6native12_GLOBAL__N_125multi_tensor_apply_kernelINS1_28TensorListScalarListMetadataIfLi2EEENS1_25BinaryOpScalarListFunctorIN3c104HalfELi2ELi1ELi1EEEJNS0_7maximumIfEEEEEvT_T0_DpT1_,"axG",@progbits,_ZN2at6native12_GLOBAL__N_125multi_tensor_apply_kernelINS1_28TensorListScalarListMetadataIfLi2EEENS1_25BinaryOpScalarListFunctorIN3c104HalfELi2ELi1ELi1EEEJNS0_7maximumIfEEEEEvT_T0_DpT1_,comdat
	.globl	_ZN2at6native12_GLOBAL__N_125multi_tensor_apply_kernelINS1_28TensorListScalarListMetadataIfLi2EEENS1_25BinaryOpScalarListFunctorIN3c104HalfELi2ELi1ELi1EEEJNS0_7maximumIfEEEEEvT_T0_DpT1_ ; -- Begin function _ZN2at6native12_GLOBAL__N_125multi_tensor_apply_kernelINS1_28TensorListScalarListMetadataIfLi2EEENS1_25BinaryOpScalarListFunctorIN3c104HalfELi2ELi1ELi1EEEJNS0_7maximumIfEEEEEvT_T0_DpT1_
	.p2align	8
	.type	_ZN2at6native12_GLOBAL__N_125multi_tensor_apply_kernelINS1_28TensorListScalarListMetadataIfLi2EEENS1_25BinaryOpScalarListFunctorIN3c104HalfELi2ELi1ELi1EEEJNS0_7maximumIfEEEEEvT_T0_DpT1_,@function
_ZN2at6native12_GLOBAL__N_125multi_tensor_apply_kernelINS1_28TensorListScalarListMetadataIfLi2EEENS1_25BinaryOpScalarListFunctorIN3c104HalfELi2ELi1ELi1EEEJNS0_7maximumIfEEEEEvT_T0_DpT1_: ; @_ZN2at6native12_GLOBAL__N_125multi_tensor_apply_kernelINS1_28TensorListScalarListMetadataIfLi2EEENS1_25BinaryOpScalarListFunctorIN3c104HalfELi2ELi1ELi1EEEJNS0_7maximumIfEEEEEvT_T0_DpT1_
; %bb.0:
	v_mov_b32_e32 v1, s6
	s_add_u32 s0, s4, s6
	s_mul_hi_u32 s1, s6, 3
	s_mul_i32 s6, s6, 3
	s_addc_u32 s2, s5, 0
	global_load_ubyte v1, v1, s[4:5] offset:1792
	s_add_u32 s0, s0, s6
	s_addc_u32 s1, s2, s1
	s_mov_b32 s15, 0
	s_load_dword s0, s[0:1], 0x840
	s_mov_b32 s17, s15
	s_waitcnt vmcnt(0)
	v_readfirstlane_b32 s1, v1
	v_lshlrev_b32_e32 v1, 2, v1
	s_lshl_b32 s10, s1, 3
	v_sub_co_u32 v1, s1, 0, v1
	v_sub_co_ci_u32_e64 v2, null, 0, 0, s1
	s_waitcnt lgkmcnt(0)
	s_ashr_i32 s1, s0, 31
	s_clause 0x2
	s_load_dwordx2 s[2:3], s[4:5], s10 offset:0x400
	s_load_dwordx2 s[6:7], s[4:5], s10 offset:0x0
	;; [unrolled: 1-line block ×3, first 2 shown]
	s_add_u32 s10, s4, s10
	s_addc_u32 s11, s5, 0
	v_add_co_u32 v1, vcc_lo, s10, v1
	v_add_co_ci_u32_e64 v2, null, s11, v2, vcc_lo
	v_readfirstlane_b32 s10, v1
	v_readfirstlane_b32 s11, v2
	s_load_dword s20, s[10:11], 0x600
	s_lshl_b64 s[10:11], s[0:1], 17
	s_lshl_b64 s[0:1], s[0:1], 16
	s_waitcnt lgkmcnt(0)
	s_add_u32 s12, s6, s10
	s_and_b32 s16, s8, 7
	s_and_b32 s14, s12, 7
	s_sub_u32 s12, s2, s0
	s_subb_u32 s13, s3, s1
	s_and_b32 s0, s2, 3
	s_mov_b32 s1, s15
	s_or_b64 s[0:1], s[16:17], s[0:1]
	s_or_b64 s[0:1], s[0:1], s[14:15]
	s_cmp_eq_u64 s[0:1], 0
	s_mov_b32 s0, -1
	s_cbranch_scc1 .LBB154_21
; %bb.1:
	v_cmp_lt_i64_e64 s0, s[12:13], 1
	s_and_b32 vcc_lo, exec_lo, s0
	s_cbranch_vccnz .LBB154_20
; %bb.2:
	s_load_dword s0, s[4:5], 0xd54
	v_cmp_gt_i64_e64 s1, 0x10000, s[12:13]
	v_lshlrev_b32_e32 v10, 1, v0
	v_cmp_gt_u64_e64 s2, 0x10000, s[12:13]
	v_mov_b32_e32 v11, 0
	v_cvt_f16_f32_e32 v1, s20
	s_mov_b64 s[18:19], 0
	s_and_b32 s1, s1, exec_lo
	v_add_co_u32 v2, s3, s6, v10
	s_cselect_b32 s15, s13, 0
	s_cselect_b32 s14, s12, 0x10000
	v_add_co_ci_u32_e64 v3, null, s7, 0, s3
	v_add_co_u32 v4, s3, s8, v10
	v_add_co_ci_u32_e64 v5, null, s9, 0, s3
	s_waitcnt lgkmcnt(0)
	s_and_b32 s0, s0, 0xffff
	s_and_b32 s1, s2, exec_lo
	s_cselect_b32 s17, s13, 0
	s_cselect_b32 s16, s12, 0x10000
	s_mul_i32 s2, s0, 3
	s_lshl_b32 s21, s0, 2
	v_mad_u64_u32 v[8:9], null, s0, 6, v[10:11]
	v_add_co_u32 v15, s3, s21, v10
	v_add_co_u32 v10, s2, s2, v0
	v_add_co_ci_u32_e64 v11, null, 0, 0, s2
	v_add_co_u32 v14, s2, v0, s0
	s_lshl_b32 s1, s0, 1
	v_add_co_u32 v6, vcc_lo, s6, v8
	v_lshlrev_b32_e32 v22, 1, v14
	v_add_co_ci_u32_e64 v16, null, 0, 0, s3
	v_add_co_ci_u32_e64 v7, null, s7, v9, vcc_lo
	v_add_co_u32 v8, vcc_lo, s8, v8
	v_add_co_u32 v18, s1, s1, v0
	v_add_co_ci_u32_e64 v9, null, s9, v9, vcc_lo
	v_add_co_u32 v12, vcc_lo, s6, v15
	v_add_co_ci_u32_e64 v19, null, 0, 0, s1
	v_add_co_u32 v20, s1, s6, v22
	v_add_co_ci_u32_e64 v13, null, s7, v16, vcc_lo
	v_add_co_u32 v15, vcc_lo, s8, v15
	v_add_co_ci_u32_e64 v21, null, s7, 0, s1
	v_add_co_u32 v22, s1, s8, v22
	v_add_co_ci_u32_e64 v16, null, s9, v16, vcc_lo
	v_add_co_ci_u32_e64 v17, null, 0, 0, s2
	v_add_co_ci_u32_e64 v23, null, s9, 0, s1
	s_lshl_b32 s22, s0, 3
	s_branch .LBB154_4
.LBB154_3:                              ;   in Loop: Header=BB154_4 Depth=1
	s_or_b32 exec_lo, exec_lo, s1
	v_add_co_u32 v2, vcc_lo, v2, s22
	v_add_co_ci_u32_e64 v3, null, 0, v3, vcc_lo
	v_add_co_u32 v4, vcc_lo, v4, s22
	v_add_co_ci_u32_e64 v5, null, 0, v5, vcc_lo
	;; [unrolled: 2-line block ×4, first 2 shown]
	v_add_co_u32 v12, vcc_lo, v12, s22
	s_add_u32 s18, s18, s21
	v_add_co_ci_u32_e64 v13, null, 0, v13, vcc_lo
	v_add_co_u32 v15, vcc_lo, v15, s22
	s_addc_u32 s19, s19, 0
	v_add_co_ci_u32_e64 v16, null, 0, v16, vcc_lo
	v_add_co_u32 v20, vcc_lo, v20, s22
	v_cmp_lt_i64_e64 s0, s[18:19], s[14:15]
	v_add_co_ci_u32_e64 v21, null, 0, v21, vcc_lo
	v_add_co_u32 v22, vcc_lo, v22, s22
	v_add_co_ci_u32_e64 v23, null, 0, v23, vcc_lo
	s_and_b32 vcc_lo, exec_lo, s0
	s_cbranch_vccz .LBB154_20
.LBB154_4:                              ; =>This Inner Loop Header: Depth=1
	s_waitcnt vmcnt(0)
	v_add_co_u32 v24, s0, v0, s18
	v_add_co_ci_u32_e64 v25, null, 0, s19, s0
	v_cmp_gt_u64_e32 vcc_lo, s[16:17], v[24:25]
	v_mov_b32_e32 v25, 0
	s_and_saveexec_b32 s1, vcc_lo
	s_cbranch_execz .LBB154_6
; %bb.5:                                ;   in Loop: Header=BB154_4 Depth=1
	v_add_co_u32 v24, s0, v2, s10
	v_add_co_ci_u32_e64 v25, null, s11, v3, s0
	global_load_ushort v25, v[24:25], off
.LBB154_6:                              ;   in Loop: Header=BB154_4 Depth=1
	s_or_b32 exec_lo, exec_lo, s1
	v_add_co_u32 v26, s0, v14, s18
	v_add_co_ci_u32_e64 v27, null, s19, v17, s0
	v_mov_b32_e32 v24, 0
	v_cmp_gt_u64_e64 s0, s[16:17], v[26:27]
	v_mov_b32_e32 v26, 0
	s_and_saveexec_b32 s2, s0
	s_cbranch_execz .LBB154_8
; %bb.7:                                ;   in Loop: Header=BB154_4 Depth=1
	v_add_co_u32 v26, s1, v20, s10
	v_add_co_ci_u32_e64 v27, null, s11, v21, s1
	global_load_ushort v26, v[26:27], off
.LBB154_8:                              ;   in Loop: Header=BB154_4 Depth=1
	s_or_b32 exec_lo, exec_lo, s2
	v_add_co_u32 v27, s1, v18, s18
	v_add_co_ci_u32_e64 v28, null, s19, v19, s1
	v_cmp_gt_u64_e64 s1, s[16:17], v[27:28]
	s_and_saveexec_b32 s3, s1
	s_cbranch_execz .LBB154_10
; %bb.9:                                ;   in Loop: Header=BB154_4 Depth=1
	v_add_co_u32 v27, s2, v12, s10
	v_add_co_ci_u32_e64 v28, null, s11, v13, s2
	global_load_ushort v24, v[27:28], off
.LBB154_10:                             ;   in Loop: Header=BB154_4 Depth=1
	s_or_b32 exec_lo, exec_lo, s3
	v_add_co_u32 v27, s2, v10, s18
	v_add_co_ci_u32_e64 v28, null, s19, v11, s2
	v_cmp_gt_u64_e64 s2, s[16:17], v[27:28]
	v_mov_b32_e32 v27, 0
	s_and_saveexec_b32 s23, s2
	s_cbranch_execnz .LBB154_15
; %bb.11:                               ;   in Loop: Header=BB154_4 Depth=1
	s_or_b32 exec_lo, exec_lo, s23
	s_and_saveexec_b32 s23, vcc_lo
	s_cbranch_execnz .LBB154_16
.LBB154_12:                             ;   in Loop: Header=BB154_4 Depth=1
	s_or_b32 exec_lo, exec_lo, s23
	s_and_saveexec_b32 s3, s0
	s_cbranch_execnz .LBB154_17
.LBB154_13:                             ;   in Loop: Header=BB154_4 Depth=1
	s_or_b32 exec_lo, exec_lo, s3
	s_and_saveexec_b32 s3, s1
	s_cbranch_execnz .LBB154_18
.LBB154_14:                             ;   in Loop: Header=BB154_4 Depth=1
	s_or_b32 exec_lo, exec_lo, s3
	s_and_saveexec_b32 s1, s2
	s_cbranch_execz .LBB154_3
	s_branch .LBB154_19
.LBB154_15:                             ;   in Loop: Header=BB154_4 Depth=1
	v_add_co_u32 v27, s3, v6, s10
	v_add_co_ci_u32_e64 v28, null, s11, v7, s3
	global_load_ushort v27, v[27:28], off
	s_or_b32 exec_lo, exec_lo, s23
	s_and_saveexec_b32 s23, vcc_lo
	s_cbranch_execz .LBB154_12
.LBB154_16:                             ;   in Loop: Header=BB154_4 Depth=1
	s_waitcnt vmcnt(0)
	v_cvt_f32_f16_e32 v28, v25
	v_cmp_u_f16_e32 vcc_lo, v25, v25
	v_cmp_lt_f32_e64 s3, s20, v28
	s_or_b32 vcc_lo, vcc_lo, s3
	v_cndmask_b32_e32 v25, v1, v25, vcc_lo
	v_add_co_u32 v28, vcc_lo, v4, s10
	v_add_co_ci_u32_e64 v29, null, s11, v5, vcc_lo
	global_store_short v[28:29], v25, off
	s_or_b32 exec_lo, exec_lo, s23
	s_and_saveexec_b32 s3, s0
	s_cbranch_execz .LBB154_13
.LBB154_17:                             ;   in Loop: Header=BB154_4 Depth=1
	s_waitcnt vmcnt(0)
	v_cvt_f32_f16_e32 v25, v26
	v_cmp_u_f16_e32 vcc_lo, v26, v26
	v_cmp_lt_f32_e64 s0, s20, v25
	s_or_b32 vcc_lo, vcc_lo, s0
	v_cndmask_b32_e32 v28, v1, v26, vcc_lo
	v_add_co_u32 v25, vcc_lo, v22, s10
	v_add_co_ci_u32_e64 v26, null, s11, v23, vcc_lo
	global_store_short v[25:26], v28, off
	s_or_b32 exec_lo, exec_lo, s3
	s_and_saveexec_b32 s3, s1
	s_cbranch_execz .LBB154_14
.LBB154_18:                             ;   in Loop: Header=BB154_4 Depth=1
	s_waitcnt vmcnt(0)
	v_cvt_f32_f16_e32 v25, v24
	v_cmp_u_f16_e32 vcc_lo, v24, v24
	v_cmp_lt_f32_e64 s0, s20, v25
	s_or_b32 vcc_lo, vcc_lo, s0
	v_cndmask_b32_e32 v26, v1, v24, vcc_lo
	v_add_co_u32 v24, vcc_lo, v15, s10
	v_add_co_ci_u32_e64 v25, null, s11, v16, vcc_lo
	global_store_short v[24:25], v26, off
	s_or_b32 exec_lo, exec_lo, s3
	s_and_saveexec_b32 s1, s2
	s_cbranch_execz .LBB154_3
.LBB154_19:                             ;   in Loop: Header=BB154_4 Depth=1
	s_waitcnt vmcnt(0)
	v_cvt_f32_f16_e32 v24, v27
	v_cmp_u_f16_e32 vcc_lo, v27, v27
	v_cmp_lt_f32_e64 s0, s20, v24
	s_or_b32 vcc_lo, vcc_lo, s0
	v_cndmask_b32_e32 v26, v1, v27, vcc_lo
	v_add_co_u32 v24, vcc_lo, v8, s10
	v_add_co_ci_u32_e64 v25, null, s11, v9, vcc_lo
	global_store_short v[24:25], v26, off
	s_branch .LBB154_3
.LBB154_20:
	s_mov_b32 s0, 0
.LBB154_21:
	s_andn2_b32 vcc_lo, exec_lo, s0
	s_cbranch_vccnz .LBB154_25
; %bb.22:
	v_cmp_gt_i64_e64 s0, 0x10000, s[12:13]
	v_mov_b32_e32 v2, 0
	v_lshlrev_b32_e32 v1, 2, v0
	s_mov_b32 s14, 0
	s_and_b32 s0, s0, exec_lo
	s_cselect_b32 s13, s13, 0
	s_cselect_b32 s12, s12, 0x10000
	s_mov_b32 s0, exec_lo
	v_cmpx_gt_i64_e64 s[12:13], v[1:2]
	s_cbranch_execz .LBB154_25
; %bb.23:
	s_load_dword s0, s[4:5], 0xd54
	v_cvt_f16_f32_e32 v3, s20
	v_lshlrev_b32_e32 v5, 3, v0
	v_mov_b32_e32 v1, v2
	v_and_b32_e32 v4, 0xffff, v3
	v_lshl_or_b32 v2, v3, 16, v4
	v_add_co_u32 v4, s1, s10, v5
	v_add_co_ci_u32_e64 v5, null, s11, 0, s1
	v_lshrrev_b32_e32 v6, 16, v2
	s_mov_b32 s11, s20
	s_waitcnt lgkmcnt(0)
	s_and_b32 s10, s0, 0xffff
	s_lshl_b32 s15, s10, 3
.LBB154_24:                             ; =>This Inner Loop Header: Depth=1
	v_add_co_u32 v7, vcc_lo, s6, v4
	v_add_co_ci_u32_e64 v8, null, s7, v5, vcc_lo
	v_add_co_u32 v0, vcc_lo, v0, s10
	v_add_co_ci_u32_e64 v1, null, 0, v1, vcc_lo
	global_load_dwordx2 v[7:8], v[7:8], off
	v_add_co_u32 v9, vcc_lo, s8, v4
	v_add_co_ci_u32_e64 v10, null, s9, v5, vcc_lo
	v_lshlrev_b64 v[11:12], 2, v[0:1]
	s_waitcnt vmcnt(0)
	v_cvt_f32_f16_e32 v13, v7
	v_lshrrev_b32_e32 v14, 16, v8
	v_lshrrev_b32_e32 v15, 16, v7
	v_cmp_u_f16_e32 vcc_lo, v7, v7
	v_cvt_f32_f16_e32 v16, v8
	v_cmp_lt_f32_e64 s1, s20, v13
	v_cvt_f32_f16_e32 v13, v14
	v_cvt_f32_f16_e32 v17, v15
	v_cmp_u_f16_e64 s0, v8, v8
	v_cmp_lt_f32_e64 s4, s11, v16
	s_or_b32 vcc_lo, vcc_lo, s1
	v_cmp_u_f16_e64 s2, v14, v14
	v_cmp_u_f16_e64 s3, v15, v15
	v_cmp_lt_f32_e64 s5, s20, v13
	v_cndmask_b32_e32 v7, v3, v7, vcc_lo
	v_cmp_lt_f32_e32 vcc_lo, s20, v17
	s_or_b32 s0, s0, s4
	v_cndmask_b32_e64 v8, v6, v8, s0
	s_or_b32 s0, s2, s5
	s_or_b32 vcc_lo, s3, vcc_lo
	v_cndmask_b32_e64 v13, v3, v14, s0
	v_cndmask_b32_e32 v14, v2, v15, vcc_lo
	v_cmp_le_i64_e64 s0, s[12:13], v[11:12]
	v_add_co_u32 v4, vcc_lo, v4, s15
	v_perm_b32 v8, v13, v8, 0x5040100
	v_perm_b32 v7, v14, v7, 0x5040100
	v_add_co_ci_u32_e64 v5, null, 0, v5, vcc_lo
	s_or_b32 s14, s0, s14
	global_store_dwordx2 v[9:10], v[7:8], off
	s_andn2_b32 exec_lo, exec_lo, s14
	s_cbranch_execnz .LBB154_24
.LBB154_25:
	s_endpgm
	.section	.rodata,"a",@progbits
	.p2align	6, 0x0
	.amdhsa_kernel _ZN2at6native12_GLOBAL__N_125multi_tensor_apply_kernelINS1_28TensorListScalarListMetadataIfLi2EEENS1_25BinaryOpScalarListFunctorIN3c104HalfELi2ELi1ELi1EEEJNS0_7maximumIfEEEEEvT_T0_DpT1_
		.amdhsa_group_segment_fixed_size 0
		.amdhsa_private_segment_fixed_size 0
		.amdhsa_kernarg_size 3656
		.amdhsa_user_sgpr_count 6
		.amdhsa_user_sgpr_private_segment_buffer 1
		.amdhsa_user_sgpr_dispatch_ptr 0
		.amdhsa_user_sgpr_queue_ptr 0
		.amdhsa_user_sgpr_kernarg_segment_ptr 1
		.amdhsa_user_sgpr_dispatch_id 0
		.amdhsa_user_sgpr_flat_scratch_init 0
		.amdhsa_user_sgpr_private_segment_size 0
		.amdhsa_wavefront_size32 1
		.amdhsa_uses_dynamic_stack 0
		.amdhsa_system_sgpr_private_segment_wavefront_offset 0
		.amdhsa_system_sgpr_workgroup_id_x 1
		.amdhsa_system_sgpr_workgroup_id_y 0
		.amdhsa_system_sgpr_workgroup_id_z 0
		.amdhsa_system_sgpr_workgroup_info 0
		.amdhsa_system_vgpr_workitem_id 0
		.amdhsa_next_free_vgpr 30
		.amdhsa_next_free_sgpr 24
		.amdhsa_reserve_vcc 1
		.amdhsa_reserve_flat_scratch 0
		.amdhsa_float_round_mode_32 0
		.amdhsa_float_round_mode_16_64 0
		.amdhsa_float_denorm_mode_32 3
		.amdhsa_float_denorm_mode_16_64 3
		.amdhsa_dx10_clamp 1
		.amdhsa_ieee_mode 1
		.amdhsa_fp16_overflow 0
		.amdhsa_workgroup_processor_mode 1
		.amdhsa_memory_ordered 1
		.amdhsa_forward_progress 1
		.amdhsa_shared_vgpr_count 0
		.amdhsa_exception_fp_ieee_invalid_op 0
		.amdhsa_exception_fp_denorm_src 0
		.amdhsa_exception_fp_ieee_div_zero 0
		.amdhsa_exception_fp_ieee_overflow 0
		.amdhsa_exception_fp_ieee_underflow 0
		.amdhsa_exception_fp_ieee_inexact 0
		.amdhsa_exception_int_div_zero 0
	.end_amdhsa_kernel
	.section	.text._ZN2at6native12_GLOBAL__N_125multi_tensor_apply_kernelINS1_28TensorListScalarListMetadataIfLi2EEENS1_25BinaryOpScalarListFunctorIN3c104HalfELi2ELi1ELi1EEEJNS0_7maximumIfEEEEEvT_T0_DpT1_,"axG",@progbits,_ZN2at6native12_GLOBAL__N_125multi_tensor_apply_kernelINS1_28TensorListScalarListMetadataIfLi2EEENS1_25BinaryOpScalarListFunctorIN3c104HalfELi2ELi1ELi1EEEJNS0_7maximumIfEEEEEvT_T0_DpT1_,comdat
.Lfunc_end154:
	.size	_ZN2at6native12_GLOBAL__N_125multi_tensor_apply_kernelINS1_28TensorListScalarListMetadataIfLi2EEENS1_25BinaryOpScalarListFunctorIN3c104HalfELi2ELi1ELi1EEEJNS0_7maximumIfEEEEEvT_T0_DpT1_, .Lfunc_end154-_ZN2at6native12_GLOBAL__N_125multi_tensor_apply_kernelINS1_28TensorListScalarListMetadataIfLi2EEENS1_25BinaryOpScalarListFunctorIN3c104HalfELi2ELi1ELi1EEEJNS0_7maximumIfEEEEEvT_T0_DpT1_
                                        ; -- End function
	.set _ZN2at6native12_GLOBAL__N_125multi_tensor_apply_kernelINS1_28TensorListScalarListMetadataIfLi2EEENS1_25BinaryOpScalarListFunctorIN3c104HalfELi2ELi1ELi1EEEJNS0_7maximumIfEEEEEvT_T0_DpT1_.num_vgpr, 30
	.set _ZN2at6native12_GLOBAL__N_125multi_tensor_apply_kernelINS1_28TensorListScalarListMetadataIfLi2EEENS1_25BinaryOpScalarListFunctorIN3c104HalfELi2ELi1ELi1EEEJNS0_7maximumIfEEEEEvT_T0_DpT1_.num_agpr, 0
	.set _ZN2at6native12_GLOBAL__N_125multi_tensor_apply_kernelINS1_28TensorListScalarListMetadataIfLi2EEENS1_25BinaryOpScalarListFunctorIN3c104HalfELi2ELi1ELi1EEEJNS0_7maximumIfEEEEEvT_T0_DpT1_.numbered_sgpr, 24
	.set _ZN2at6native12_GLOBAL__N_125multi_tensor_apply_kernelINS1_28TensorListScalarListMetadataIfLi2EEENS1_25BinaryOpScalarListFunctorIN3c104HalfELi2ELi1ELi1EEEJNS0_7maximumIfEEEEEvT_T0_DpT1_.num_named_barrier, 0
	.set _ZN2at6native12_GLOBAL__N_125multi_tensor_apply_kernelINS1_28TensorListScalarListMetadataIfLi2EEENS1_25BinaryOpScalarListFunctorIN3c104HalfELi2ELi1ELi1EEEJNS0_7maximumIfEEEEEvT_T0_DpT1_.private_seg_size, 0
	.set _ZN2at6native12_GLOBAL__N_125multi_tensor_apply_kernelINS1_28TensorListScalarListMetadataIfLi2EEENS1_25BinaryOpScalarListFunctorIN3c104HalfELi2ELi1ELi1EEEJNS0_7maximumIfEEEEEvT_T0_DpT1_.uses_vcc, 1
	.set _ZN2at6native12_GLOBAL__N_125multi_tensor_apply_kernelINS1_28TensorListScalarListMetadataIfLi2EEENS1_25BinaryOpScalarListFunctorIN3c104HalfELi2ELi1ELi1EEEJNS0_7maximumIfEEEEEvT_T0_DpT1_.uses_flat_scratch, 0
	.set _ZN2at6native12_GLOBAL__N_125multi_tensor_apply_kernelINS1_28TensorListScalarListMetadataIfLi2EEENS1_25BinaryOpScalarListFunctorIN3c104HalfELi2ELi1ELi1EEEJNS0_7maximumIfEEEEEvT_T0_DpT1_.has_dyn_sized_stack, 0
	.set _ZN2at6native12_GLOBAL__N_125multi_tensor_apply_kernelINS1_28TensorListScalarListMetadataIfLi2EEENS1_25BinaryOpScalarListFunctorIN3c104HalfELi2ELi1ELi1EEEJNS0_7maximumIfEEEEEvT_T0_DpT1_.has_recursion, 0
	.set _ZN2at6native12_GLOBAL__N_125multi_tensor_apply_kernelINS1_28TensorListScalarListMetadataIfLi2EEENS1_25BinaryOpScalarListFunctorIN3c104HalfELi2ELi1ELi1EEEJNS0_7maximumIfEEEEEvT_T0_DpT1_.has_indirect_call, 0
	.section	.AMDGPU.csdata,"",@progbits
; Kernel info:
; codeLenInByte = 1676
; TotalNumSgprs: 26
; NumVgprs: 30
; ScratchSize: 0
; MemoryBound: 0
; FloatMode: 240
; IeeeMode: 1
; LDSByteSize: 0 bytes/workgroup (compile time only)
; SGPRBlocks: 0
; VGPRBlocks: 3
; NumSGPRsForWavesPerEU: 26
; NumVGPRsForWavesPerEU: 30
; Occupancy: 16
; WaveLimiterHint : 0
; COMPUTE_PGM_RSRC2:SCRATCH_EN: 0
; COMPUTE_PGM_RSRC2:USER_SGPR: 6
; COMPUTE_PGM_RSRC2:TRAP_HANDLER: 0
; COMPUTE_PGM_RSRC2:TGID_X_EN: 1
; COMPUTE_PGM_RSRC2:TGID_Y_EN: 0
; COMPUTE_PGM_RSRC2:TGID_Z_EN: 0
; COMPUTE_PGM_RSRC2:TIDIG_COMP_CNT: 0
	.section	.text._ZN2at6native12_GLOBAL__N_125multi_tensor_apply_kernelINS1_28TensorListScalarListMetadataIfLi2EEENS1_25BinaryOpScalarListFunctorIN3c108BFloat16ELi2ELi1ELi1EEEJNS0_7maximumIfEEEEEvT_T0_DpT1_,"axG",@progbits,_ZN2at6native12_GLOBAL__N_125multi_tensor_apply_kernelINS1_28TensorListScalarListMetadataIfLi2EEENS1_25BinaryOpScalarListFunctorIN3c108BFloat16ELi2ELi1ELi1EEEJNS0_7maximumIfEEEEEvT_T0_DpT1_,comdat
	.globl	_ZN2at6native12_GLOBAL__N_125multi_tensor_apply_kernelINS1_28TensorListScalarListMetadataIfLi2EEENS1_25BinaryOpScalarListFunctorIN3c108BFloat16ELi2ELi1ELi1EEEJNS0_7maximumIfEEEEEvT_T0_DpT1_ ; -- Begin function _ZN2at6native12_GLOBAL__N_125multi_tensor_apply_kernelINS1_28TensorListScalarListMetadataIfLi2EEENS1_25BinaryOpScalarListFunctorIN3c108BFloat16ELi2ELi1ELi1EEEJNS0_7maximumIfEEEEEvT_T0_DpT1_
	.p2align	8
	.type	_ZN2at6native12_GLOBAL__N_125multi_tensor_apply_kernelINS1_28TensorListScalarListMetadataIfLi2EEENS1_25BinaryOpScalarListFunctorIN3c108BFloat16ELi2ELi1ELi1EEEJNS0_7maximumIfEEEEEvT_T0_DpT1_,@function
_ZN2at6native12_GLOBAL__N_125multi_tensor_apply_kernelINS1_28TensorListScalarListMetadataIfLi2EEENS1_25BinaryOpScalarListFunctorIN3c108BFloat16ELi2ELi1ELi1EEEJNS0_7maximumIfEEEEEvT_T0_DpT1_: ; @_ZN2at6native12_GLOBAL__N_125multi_tensor_apply_kernelINS1_28TensorListScalarListMetadataIfLi2EEENS1_25BinaryOpScalarListFunctorIN3c108BFloat16ELi2ELi1ELi1EEEJNS0_7maximumIfEEEEEvT_T0_DpT1_
; %bb.0:
	v_mov_b32_e32 v1, s6
	s_add_u32 s0, s4, s6
	s_mul_hi_u32 s1, s6, 3
	s_mul_i32 s6, s6, 3
	s_addc_u32 s2, s5, 0
	global_load_ubyte v1, v1, s[4:5] offset:1792
	s_add_u32 s0, s0, s6
	s_addc_u32 s1, s2, s1
	s_mov_b32 s15, 0
	s_load_dword s0, s[0:1], 0x840
	s_mov_b32 s17, s15
	s_waitcnt vmcnt(0)
	v_readfirstlane_b32 s1, v1
	v_lshlrev_b32_e32 v1, 2, v1
	s_lshl_b32 s10, s1, 3
	v_sub_co_u32 v1, s1, 0, v1
	v_sub_co_ci_u32_e64 v2, null, 0, 0, s1
	s_waitcnt lgkmcnt(0)
	s_ashr_i32 s1, s0, 31
	s_clause 0x2
	s_load_dwordx2 s[2:3], s[4:5], s10 offset:0x400
	s_load_dwordx2 s[6:7], s[4:5], s10 offset:0x0
	;; [unrolled: 1-line block ×3, first 2 shown]
	s_add_u32 s10, s4, s10
	s_addc_u32 s11, s5, 0
	v_add_co_u32 v1, vcc_lo, s10, v1
	v_add_co_ci_u32_e64 v2, null, s11, v2, vcc_lo
	v_readfirstlane_b32 s10, v1
	v_readfirstlane_b32 s11, v2
	s_load_dword s20, s[10:11], 0x600
	s_lshl_b64 s[10:11], s[0:1], 17
	s_lshl_b64 s[0:1], s[0:1], 16
	s_waitcnt lgkmcnt(0)
	s_add_u32 s12, s6, s10
	s_and_b32 s16, s8, 7
	s_and_b32 s14, s12, 7
	s_sub_u32 s12, s2, s0
	s_subb_u32 s13, s3, s1
	s_and_b32 s0, s2, 3
	s_mov_b32 s1, s15
	s_or_b64 s[0:1], s[16:17], s[0:1]
	s_or_b64 s[0:1], s[0:1], s[14:15]
	s_cmp_eq_u64 s[0:1], 0
	s_mov_b32 s0, -1
	s_cbranch_scc1 .LBB155_21
; %bb.1:
	v_cmp_lt_i64_e64 s0, s[12:13], 1
	s_and_b32 vcc_lo, exec_lo, s0
	s_cbranch_vccnz .LBB155_20
; %bb.2:
	s_load_dword s0, s[4:5], 0xd54
	v_cmp_gt_i64_e64 s1, 0x10000, s[12:13]
	v_lshlrev_b32_e32 v9, 1, v0
	v_cmp_gt_u64_e64 s2, 0x10000, s[12:13]
	v_mov_b32_e32 v10, 0
	v_mov_b32_e32 v23, 0x7fc0
	s_mov_b64 s[18:19], 0
	s_and_b32 s1, s1, exec_lo
	v_add_co_u32 v1, s3, s6, v9
	s_cselect_b32 s15, s13, 0
	s_cselect_b32 s14, s12, 0x10000
	v_add_co_ci_u32_e64 v2, null, s7, 0, s3
	v_add_co_u32 v3, s3, s8, v9
	v_add_co_ci_u32_e64 v4, null, s9, 0, s3
	s_waitcnt lgkmcnt(0)
	s_and_b32 s0, s0, 0xffff
	s_and_b32 s1, s2, exec_lo
	s_cselect_b32 s17, s13, 0
	s_cselect_b32 s16, s12, 0x10000
	s_mul_i32 s2, s0, 3
	s_lshl_b32 s21, s0, 2
	v_mad_u64_u32 v[7:8], null, s0, 6, v[9:10]
	v_add_co_u32 v14, s3, s21, v9
	v_add_co_u32 v9, s2, s2, v0
	v_add_co_ci_u32_e64 v10, null, 0, 0, s2
	v_add_co_u32 v13, s2, v0, s0
	s_lshl_b32 s1, s0, 1
	v_add_co_u32 v5, vcc_lo, s6, v7
	v_lshlrev_b32_e32 v21, 1, v13
	v_add_co_ci_u32_e64 v15, null, 0, 0, s3
	v_add_co_ci_u32_e64 v6, null, s7, v8, vcc_lo
	v_add_co_u32 v7, vcc_lo, s8, v7
	v_add_co_u32 v17, s1, s1, v0
	v_add_co_ci_u32_e64 v8, null, s9, v8, vcc_lo
	v_add_co_u32 v11, vcc_lo, s6, v14
	v_add_co_ci_u32_e64 v18, null, 0, 0, s1
	v_add_co_u32 v19, s1, s6, v21
	v_add_co_ci_u32_e64 v12, null, s7, v15, vcc_lo
	v_add_co_u32 v14, vcc_lo, s8, v14
	v_add_co_ci_u32_e64 v20, null, s7, 0, s1
	v_add_co_u32 v21, s1, s8, v21
	v_add_co_ci_u32_e64 v15, null, s9, v15, vcc_lo
	v_add_co_ci_u32_e64 v16, null, 0, 0, s2
	v_add_co_ci_u32_e64 v22, null, s9, 0, s1
	s_lshl_b32 s22, s0, 3
	s_branch .LBB155_4
.LBB155_3:                              ;   in Loop: Header=BB155_4 Depth=1
	s_or_b32 exec_lo, exec_lo, s1
	v_add_co_u32 v1, vcc_lo, v1, s22
	v_add_co_ci_u32_e64 v2, null, 0, v2, vcc_lo
	v_add_co_u32 v3, vcc_lo, v3, s22
	v_add_co_ci_u32_e64 v4, null, 0, v4, vcc_lo
	;; [unrolled: 2-line block ×4, first 2 shown]
	v_add_co_u32 v11, vcc_lo, v11, s22
	s_add_u32 s18, s18, s21
	v_add_co_ci_u32_e64 v12, null, 0, v12, vcc_lo
	v_add_co_u32 v14, vcc_lo, v14, s22
	s_addc_u32 s19, s19, 0
	v_add_co_ci_u32_e64 v15, null, 0, v15, vcc_lo
	v_add_co_u32 v19, vcc_lo, v19, s22
	v_cmp_lt_i64_e64 s0, s[18:19], s[14:15]
	v_add_co_ci_u32_e64 v20, null, 0, v20, vcc_lo
	v_add_co_u32 v21, vcc_lo, v21, s22
	v_add_co_ci_u32_e64 v22, null, 0, v22, vcc_lo
	s_and_b32 vcc_lo, exec_lo, s0
	s_cbranch_vccz .LBB155_20
.LBB155_4:                              ; =>This Inner Loop Header: Depth=1
	v_add_co_u32 v24, s0, v0, s18
	v_add_co_ci_u32_e64 v25, null, 0, s19, s0
	v_cmp_gt_u64_e32 vcc_lo, s[16:17], v[24:25]
	v_mov_b32_e32 v25, 0
	s_and_saveexec_b32 s1, vcc_lo
	s_cbranch_execz .LBB155_6
; %bb.5:                                ;   in Loop: Header=BB155_4 Depth=1
	v_add_co_u32 v24, s0, v1, s10
	v_add_co_ci_u32_e64 v25, null, s11, v2, s0
	global_load_ushort v24, v[24:25], off
	s_waitcnt vmcnt(0)
	v_lshlrev_b32_e32 v25, 16, v24
.LBB155_6:                              ;   in Loop: Header=BB155_4 Depth=1
	s_or_b32 exec_lo, exec_lo, s1
	v_add_co_u32 v26, s0, v13, s18
	v_add_co_ci_u32_e64 v27, null, s19, v16, s0
	v_mov_b32_e32 v24, 0
	v_cmp_gt_u64_e64 s1, s[16:17], v[26:27]
	v_mov_b32_e32 v27, 0
	s_and_saveexec_b32 s2, s1
	s_cbranch_execz .LBB155_8
; %bb.7:                                ;   in Loop: Header=BB155_4 Depth=1
	v_add_co_u32 v26, s0, v19, s10
	v_add_co_ci_u32_e64 v27, null, s11, v20, s0
	global_load_ushort v26, v[26:27], off
	s_waitcnt vmcnt(0)
	v_lshlrev_b32_e32 v27, 16, v26
.LBB155_8:                              ;   in Loop: Header=BB155_4 Depth=1
	s_or_b32 exec_lo, exec_lo, s2
	v_add_co_u32 v28, s0, v17, s18
	v_add_co_ci_u32_e64 v29, null, s19, v18, s0
	v_cmp_gt_u64_e64 s2, s[16:17], v[28:29]
	s_and_saveexec_b32 s3, s2
	s_cbranch_execz .LBB155_10
; %bb.9:                                ;   in Loop: Header=BB155_4 Depth=1
	v_add_co_u32 v28, s0, v11, s10
	v_add_co_ci_u32_e64 v29, null, s11, v12, s0
	global_load_ushort v24, v[28:29], off
	s_waitcnt vmcnt(0)
	v_lshlrev_b32_e32 v24, 16, v24
.LBB155_10:                             ;   in Loop: Header=BB155_4 Depth=1
	s_or_b32 exec_lo, exec_lo, s3
	v_add_co_u32 v28, s0, v9, s18
	v_add_co_ci_u32_e64 v29, null, s19, v10, s0
	v_mov_b32_e32 v26, 0
	v_cmp_gt_u64_e64 s0, s[16:17], v[28:29]
	s_and_saveexec_b32 s23, s0
	s_cbranch_execnz .LBB155_15
; %bb.11:                               ;   in Loop: Header=BB155_4 Depth=1
	s_or_b32 exec_lo, exec_lo, s23
	s_and_saveexec_b32 s23, vcc_lo
	s_cbranch_execnz .LBB155_16
.LBB155_12:                             ;   in Loop: Header=BB155_4 Depth=1
	s_or_b32 exec_lo, exec_lo, s23
	s_and_saveexec_b32 s3, s1
	s_cbranch_execnz .LBB155_17
.LBB155_13:                             ;   in Loop: Header=BB155_4 Depth=1
	s_or_b32 exec_lo, exec_lo, s3
	s_and_saveexec_b32 s3, s2
	s_cbranch_execnz .LBB155_18
.LBB155_14:                             ;   in Loop: Header=BB155_4 Depth=1
	s_or_b32 exec_lo, exec_lo, s3
	s_and_saveexec_b32 s1, s0
	s_cbranch_execz .LBB155_3
	s_branch .LBB155_19
.LBB155_15:                             ;   in Loop: Header=BB155_4 Depth=1
	v_add_co_u32 v28, s3, v5, s10
	v_add_co_ci_u32_e64 v29, null, s11, v6, s3
	global_load_ushort v26, v[28:29], off
	s_waitcnt vmcnt(0)
	v_lshlrev_b32_e32 v26, 16, v26
	s_or_b32 exec_lo, exec_lo, s23
	s_and_saveexec_b32 s23, vcc_lo
	s_cbranch_execz .LBB155_12
.LBB155_16:                             ;   in Loop: Header=BB155_4 Depth=1
	v_cmp_u_f32_e32 vcc_lo, v25, v25
	v_cmp_lt_f32_e64 s3, s20, v25
	s_or_b32 vcc_lo, vcc_lo, s3
	v_cndmask_b32_e32 v25, s20, v25, vcc_lo
	v_bfe_u32 v28, v25, 16, 1
	v_cmp_o_f32_e32 vcc_lo, v25, v25
	v_add3_u32 v25, v25, v28, 0x7fff
	v_add_co_u32 v28, s3, v3, s10
	v_add_co_ci_u32_e64 v29, null, s11, v4, s3
	v_cndmask_b32_sdwa v25, v23, v25, vcc_lo dst_sel:DWORD dst_unused:UNUSED_PAD src0_sel:DWORD src1_sel:WORD_1
	global_store_short v[28:29], v25, off
	s_or_b32 exec_lo, exec_lo, s23
	s_and_saveexec_b32 s3, s1
	s_cbranch_execz .LBB155_13
.LBB155_17:                             ;   in Loop: Header=BB155_4 Depth=1
	v_cmp_u_f32_e32 vcc_lo, v27, v27
	v_cmp_lt_f32_e64 s1, s20, v27
	s_or_b32 vcc_lo, vcc_lo, s1
	v_cndmask_b32_e32 v25, s20, v27, vcc_lo
	v_bfe_u32 v27, v25, 16, 1
	v_cmp_o_f32_e32 vcc_lo, v25, v25
	v_add3_u32 v25, v25, v27, 0x7fff
	v_cndmask_b32_sdwa v25, v23, v25, vcc_lo dst_sel:DWORD dst_unused:UNUSED_PAD src0_sel:DWORD src1_sel:WORD_1
	v_add_co_u32 v27, vcc_lo, v21, s10
	v_add_co_ci_u32_e64 v28, null, s11, v22, vcc_lo
	global_store_short v[27:28], v25, off
	s_or_b32 exec_lo, exec_lo, s3
	s_and_saveexec_b32 s3, s2
	s_cbranch_execz .LBB155_14
.LBB155_18:                             ;   in Loop: Header=BB155_4 Depth=1
	v_cmp_u_f32_e32 vcc_lo, v24, v24
	v_cmp_lt_f32_e64 s1, s20, v24
	s_or_b32 vcc_lo, vcc_lo, s1
	v_cndmask_b32_e32 v24, s20, v24, vcc_lo
	v_bfe_u32 v25, v24, 16, 1
	v_cmp_o_f32_e32 vcc_lo, v24, v24
	v_add3_u32 v24, v24, v25, 0x7fff
	v_cndmask_b32_sdwa v27, v23, v24, vcc_lo dst_sel:DWORD dst_unused:UNUSED_PAD src0_sel:DWORD src1_sel:WORD_1
	v_add_co_u32 v24, vcc_lo, v14, s10
	v_add_co_ci_u32_e64 v25, null, s11, v15, vcc_lo
	global_store_short v[24:25], v27, off
	s_or_b32 exec_lo, exec_lo, s3
	s_and_saveexec_b32 s1, s0
	s_cbranch_execz .LBB155_3
.LBB155_19:                             ;   in Loop: Header=BB155_4 Depth=1
	v_cmp_u_f32_e32 vcc_lo, v26, v26
	v_cmp_lt_f32_e64 s0, s20, v26
	s_or_b32 vcc_lo, vcc_lo, s0
	v_cndmask_b32_e32 v24, s20, v26, vcc_lo
	v_bfe_u32 v25, v24, 16, 1
	v_cmp_o_f32_e32 vcc_lo, v24, v24
	v_add3_u32 v24, v24, v25, 0x7fff
	v_cndmask_b32_sdwa v26, v23, v24, vcc_lo dst_sel:DWORD dst_unused:UNUSED_PAD src0_sel:DWORD src1_sel:WORD_1
	v_add_co_u32 v24, vcc_lo, v7, s10
	v_add_co_ci_u32_e64 v25, null, s11, v8, vcc_lo
	global_store_short v[24:25], v26, off
	s_branch .LBB155_3
.LBB155_20:
	s_mov_b32 s0, 0
.LBB155_21:
	s_andn2_b32 vcc_lo, exec_lo, s0
	s_cbranch_vccnz .LBB155_25
; %bb.22:
	v_cmp_gt_i64_e64 s0, 0x10000, s[12:13]
	v_mov_b32_e32 v2, 0
	v_lshlrev_b32_e32 v1, 2, v0
	s_mov_b32 s14, 0
	s_and_b32 s0, s0, exec_lo
	s_cselect_b32 s13, s13, 0
	s_cselect_b32 s12, s12, 0x10000
	s_mov_b32 s0, exec_lo
	v_cmpx_gt_i64_e64 s[12:13], v[1:2]
	s_cbranch_execz .LBB155_25
; %bb.23:
	s_load_dword s0, s[4:5], 0xd54
	v_lshlrev_b32_e32 v3, 3, v0
	v_mov_b32_e32 v1, v2
	v_add_co_u32 v2, s1, s10, v3
	v_add_co_ci_u32_e64 v3, null, s11, 0, s1
	s_waitcnt lgkmcnt(0)
	s_and_b32 s5, s0, 0xffff
	s_lshl_b32 s10, s5, 3
.LBB155_24:                             ; =>This Inner Loop Header: Depth=1
	v_add_co_u32 v4, vcc_lo, s6, v2
	v_add_co_ci_u32_e64 v5, null, s7, v3, vcc_lo
	v_add_co_u32 v0, vcc_lo, v0, s5
	v_add_co_ci_u32_e64 v1, null, 0, v1, vcc_lo
	global_load_dwordx2 v[4:5], v[4:5], off
	v_add_co_u32 v6, vcc_lo, s8, v2
	v_add_co_ci_u32_e64 v7, null, s9, v3, vcc_lo
	v_lshlrev_b64 v[8:9], 2, v[0:1]
	s_waitcnt vmcnt(0)
	v_lshlrev_b32_e32 v10, 16, v4
	v_and_b32_e32 v11, 0xffff0000, v4
	v_alignbit_b32 v4, v5, v4, 16
	v_and_b32_e32 v5, 0xffff0000, v5
	v_cmp_u_f32_e32 vcc_lo, v10, v10
	v_cmp_lt_f32_e64 s0, s20, v10
	v_cmp_u_f32_e64 s1, v11, v11
	v_cmp_lt_f32_e64 s2, s20, v11
	v_and_b32_e32 v4, 0xffff0000, v4
	v_cmp_u_f32_e64 s3, v5, v5
	v_cmp_lt_f32_e64 s4, s20, v5
	s_or_b32 vcc_lo, vcc_lo, s0
	v_cndmask_b32_e32 v10, s20, v10, vcc_lo
	s_or_b32 vcc_lo, s1, s2
	v_cmp_lt_f32_e64 s0, s20, v4
	v_cndmask_b32_e32 v11, s20, v11, vcc_lo
	v_cmp_u_f32_e32 vcc_lo, v4, v4
	s_or_b32 s1, s3, s4
	v_bfe_u32 v12, v10, 16, 1
	v_cndmask_b32_e64 v5, s20, v5, s1
	v_bfe_u32 v13, v11, 16, 1
	s_or_b32 vcc_lo, vcc_lo, s0
	v_cmp_o_f32_e64 s0, v11, v11
	v_cndmask_b32_e32 v4, s20, v4, vcc_lo
	v_bfe_u32 v14, v5, 16, 1
	v_add3_u32 v12, v10, v12, 0x7fff
	v_add3_u32 v13, v11, v13, 0x7fff
	v_cmp_o_f32_e32 vcc_lo, v5, v5
	v_bfe_u32 v15, v4, 16, 1
	v_add3_u32 v14, v5, v14, 0x7fff
	v_lshrrev_b32_e32 v12, 16, v12
	v_and_b32_e32 v13, 0xffff0000, v13
	v_cmp_o_f32_e64 s1, v10, v10
	v_add3_u32 v15, v4, v15, 0x7fff
	v_and_b32_e32 v14, 0xffff0000, v14
	v_cndmask_b32_e64 v10, 0x7fc00000, v13, s0
	v_cndmask_b32_e64 v11, 0x7fc0, v12, s1
	v_lshrrev_b32_e32 v5, 16, v15
	v_cndmask_b32_e32 v12, 0x7fc00000, v14, vcc_lo
	v_cmp_o_f32_e32 vcc_lo, v4, v4
	v_cmp_le_i64_e64 s0, s[12:13], v[8:9]
	v_or_b32_e32 v10, v11, v10
	v_cndmask_b32_e32 v4, 0x7fc0, v5, vcc_lo
	v_add_co_u32 v2, vcc_lo, v2, s10
	v_add_co_ci_u32_e64 v3, null, 0, v3, vcc_lo
	v_or3_b32 v5, 0, v4, v12
	v_or3_b32 v4, v10, 0, 0
	s_or_b32 s14, s0, s14
	global_store_dwordx2 v[6:7], v[4:5], off
	s_andn2_b32 exec_lo, exec_lo, s14
	s_cbranch_execnz .LBB155_24
.LBB155_25:
	s_endpgm
	.section	.rodata,"a",@progbits
	.p2align	6, 0x0
	.amdhsa_kernel _ZN2at6native12_GLOBAL__N_125multi_tensor_apply_kernelINS1_28TensorListScalarListMetadataIfLi2EEENS1_25BinaryOpScalarListFunctorIN3c108BFloat16ELi2ELi1ELi1EEEJNS0_7maximumIfEEEEEvT_T0_DpT1_
		.amdhsa_group_segment_fixed_size 0
		.amdhsa_private_segment_fixed_size 0
		.amdhsa_kernarg_size 3656
		.amdhsa_user_sgpr_count 6
		.amdhsa_user_sgpr_private_segment_buffer 1
		.amdhsa_user_sgpr_dispatch_ptr 0
		.amdhsa_user_sgpr_queue_ptr 0
		.amdhsa_user_sgpr_kernarg_segment_ptr 1
		.amdhsa_user_sgpr_dispatch_id 0
		.amdhsa_user_sgpr_flat_scratch_init 0
		.amdhsa_user_sgpr_private_segment_size 0
		.amdhsa_wavefront_size32 1
		.amdhsa_uses_dynamic_stack 0
		.amdhsa_system_sgpr_private_segment_wavefront_offset 0
		.amdhsa_system_sgpr_workgroup_id_x 1
		.amdhsa_system_sgpr_workgroup_id_y 0
		.amdhsa_system_sgpr_workgroup_id_z 0
		.amdhsa_system_sgpr_workgroup_info 0
		.amdhsa_system_vgpr_workitem_id 0
		.amdhsa_next_free_vgpr 30
		.amdhsa_next_free_sgpr 24
		.amdhsa_reserve_vcc 1
		.amdhsa_reserve_flat_scratch 0
		.amdhsa_float_round_mode_32 0
		.amdhsa_float_round_mode_16_64 0
		.amdhsa_float_denorm_mode_32 3
		.amdhsa_float_denorm_mode_16_64 3
		.amdhsa_dx10_clamp 1
		.amdhsa_ieee_mode 1
		.amdhsa_fp16_overflow 0
		.amdhsa_workgroup_processor_mode 1
		.amdhsa_memory_ordered 1
		.amdhsa_forward_progress 1
		.amdhsa_shared_vgpr_count 0
		.amdhsa_exception_fp_ieee_invalid_op 0
		.amdhsa_exception_fp_denorm_src 0
		.amdhsa_exception_fp_ieee_div_zero 0
		.amdhsa_exception_fp_ieee_overflow 0
		.amdhsa_exception_fp_ieee_underflow 0
		.amdhsa_exception_fp_ieee_inexact 0
		.amdhsa_exception_int_div_zero 0
	.end_amdhsa_kernel
	.section	.text._ZN2at6native12_GLOBAL__N_125multi_tensor_apply_kernelINS1_28TensorListScalarListMetadataIfLi2EEENS1_25BinaryOpScalarListFunctorIN3c108BFloat16ELi2ELi1ELi1EEEJNS0_7maximumIfEEEEEvT_T0_DpT1_,"axG",@progbits,_ZN2at6native12_GLOBAL__N_125multi_tensor_apply_kernelINS1_28TensorListScalarListMetadataIfLi2EEENS1_25BinaryOpScalarListFunctorIN3c108BFloat16ELi2ELi1ELi1EEEJNS0_7maximumIfEEEEEvT_T0_DpT1_,comdat
.Lfunc_end155:
	.size	_ZN2at6native12_GLOBAL__N_125multi_tensor_apply_kernelINS1_28TensorListScalarListMetadataIfLi2EEENS1_25BinaryOpScalarListFunctorIN3c108BFloat16ELi2ELi1ELi1EEEJNS0_7maximumIfEEEEEvT_T0_DpT1_, .Lfunc_end155-_ZN2at6native12_GLOBAL__N_125multi_tensor_apply_kernelINS1_28TensorListScalarListMetadataIfLi2EEENS1_25BinaryOpScalarListFunctorIN3c108BFloat16ELi2ELi1ELi1EEEJNS0_7maximumIfEEEEEvT_T0_DpT1_
                                        ; -- End function
	.set _ZN2at6native12_GLOBAL__N_125multi_tensor_apply_kernelINS1_28TensorListScalarListMetadataIfLi2EEENS1_25BinaryOpScalarListFunctorIN3c108BFloat16ELi2ELi1ELi1EEEJNS0_7maximumIfEEEEEvT_T0_DpT1_.num_vgpr, 30
	.set _ZN2at6native12_GLOBAL__N_125multi_tensor_apply_kernelINS1_28TensorListScalarListMetadataIfLi2EEENS1_25BinaryOpScalarListFunctorIN3c108BFloat16ELi2ELi1ELi1EEEJNS0_7maximumIfEEEEEvT_T0_DpT1_.num_agpr, 0
	.set _ZN2at6native12_GLOBAL__N_125multi_tensor_apply_kernelINS1_28TensorListScalarListMetadataIfLi2EEENS1_25BinaryOpScalarListFunctorIN3c108BFloat16ELi2ELi1ELi1EEEJNS0_7maximumIfEEEEEvT_T0_DpT1_.numbered_sgpr, 24
	.set _ZN2at6native12_GLOBAL__N_125multi_tensor_apply_kernelINS1_28TensorListScalarListMetadataIfLi2EEENS1_25BinaryOpScalarListFunctorIN3c108BFloat16ELi2ELi1ELi1EEEJNS0_7maximumIfEEEEEvT_T0_DpT1_.num_named_barrier, 0
	.set _ZN2at6native12_GLOBAL__N_125multi_tensor_apply_kernelINS1_28TensorListScalarListMetadataIfLi2EEENS1_25BinaryOpScalarListFunctorIN3c108BFloat16ELi2ELi1ELi1EEEJNS0_7maximumIfEEEEEvT_T0_DpT1_.private_seg_size, 0
	.set _ZN2at6native12_GLOBAL__N_125multi_tensor_apply_kernelINS1_28TensorListScalarListMetadataIfLi2EEENS1_25BinaryOpScalarListFunctorIN3c108BFloat16ELi2ELi1ELi1EEEJNS0_7maximumIfEEEEEvT_T0_DpT1_.uses_vcc, 1
	.set _ZN2at6native12_GLOBAL__N_125multi_tensor_apply_kernelINS1_28TensorListScalarListMetadataIfLi2EEENS1_25BinaryOpScalarListFunctorIN3c108BFloat16ELi2ELi1ELi1EEEJNS0_7maximumIfEEEEEvT_T0_DpT1_.uses_flat_scratch, 0
	.set _ZN2at6native12_GLOBAL__N_125multi_tensor_apply_kernelINS1_28TensorListScalarListMetadataIfLi2EEENS1_25BinaryOpScalarListFunctorIN3c108BFloat16ELi2ELi1ELi1EEEJNS0_7maximumIfEEEEEvT_T0_DpT1_.has_dyn_sized_stack, 0
	.set _ZN2at6native12_GLOBAL__N_125multi_tensor_apply_kernelINS1_28TensorListScalarListMetadataIfLi2EEENS1_25BinaryOpScalarListFunctorIN3c108BFloat16ELi2ELi1ELi1EEEJNS0_7maximumIfEEEEEvT_T0_DpT1_.has_recursion, 0
	.set _ZN2at6native12_GLOBAL__N_125multi_tensor_apply_kernelINS1_28TensorListScalarListMetadataIfLi2EEENS1_25BinaryOpScalarListFunctorIN3c108BFloat16ELi2ELi1ELi1EEEJNS0_7maximumIfEEEEEvT_T0_DpT1_.has_indirect_call, 0
	.section	.AMDGPU.csdata,"",@progbits
; Kernel info:
; codeLenInByte = 1948
; TotalNumSgprs: 26
; NumVgprs: 30
; ScratchSize: 0
; MemoryBound: 0
; FloatMode: 240
; IeeeMode: 1
; LDSByteSize: 0 bytes/workgroup (compile time only)
; SGPRBlocks: 0
; VGPRBlocks: 3
; NumSGPRsForWavesPerEU: 26
; NumVGPRsForWavesPerEU: 30
; Occupancy: 16
; WaveLimiterHint : 0
; COMPUTE_PGM_RSRC2:SCRATCH_EN: 0
; COMPUTE_PGM_RSRC2:USER_SGPR: 6
; COMPUTE_PGM_RSRC2:TRAP_HANDLER: 0
; COMPUTE_PGM_RSRC2:TGID_X_EN: 1
; COMPUTE_PGM_RSRC2:TGID_Y_EN: 0
; COMPUTE_PGM_RSRC2:TGID_Z_EN: 0
; COMPUTE_PGM_RSRC2:TIDIG_COMP_CNT: 0
	.text
	.p2alignl 6, 3214868480
	.fill 48, 4, 3214868480
	.section	.AMDGPU.gpr_maximums,"",@progbits
	.set amdgpu.max_num_vgpr, 68
	.set amdgpu.max_num_agpr, 0
	.set amdgpu.max_num_sgpr, 32
	.text
	.type	__hip_cuid_d2890e08b704da3f,@object ; @__hip_cuid_d2890e08b704da3f
	.section	.bss,"aw",@nobits
	.globl	__hip_cuid_d2890e08b704da3f
__hip_cuid_d2890e08b704da3f:
	.byte	0                               ; 0x0
	.size	__hip_cuid_d2890e08b704da3f, 1

	.ident	"AMD clang version 22.0.0git (https://github.com/RadeonOpenCompute/llvm-project roc-7.2.4 26084 f58b06dce1f9c15707c5f808fd002e18c2accf7e)"
	.section	".note.GNU-stack","",@progbits
	.addrsig
	.addrsig_sym __hip_cuid_d2890e08b704da3f
	.amdgpu_metadata
---
amdhsa.kernels:
  - .args:
      - .offset:         0
        .size:           3232
        .value_kind:     by_value
      - .offset:         3232
        .size:           1
        .value_kind:     by_value
      - .offset:         3233
        .size:           1
        .value_kind:     by_value
      - .offset:         3240
        .size:           4
        .value_kind:     hidden_block_count_x
      - .offset:         3244
        .size:           4
        .value_kind:     hidden_block_count_y
      - .offset:         3248
        .size:           4
        .value_kind:     hidden_block_count_z
      - .offset:         3252
        .size:           2
        .value_kind:     hidden_group_size_x
      - .offset:         3254
        .size:           2
        .value_kind:     hidden_group_size_y
      - .offset:         3256
        .size:           2
        .value_kind:     hidden_group_size_z
      - .offset:         3258
        .size:           2
        .value_kind:     hidden_remainder_x
      - .offset:         3260
        .size:           2
        .value_kind:     hidden_remainder_y
      - .offset:         3262
        .size:           2
        .value_kind:     hidden_remainder_z
      - .offset:         3280
        .size:           8
        .value_kind:     hidden_global_offset_x
      - .offset:         3288
        .size:           8
        .value_kind:     hidden_global_offset_y
      - .offset:         3296
        .size:           8
        .value_kind:     hidden_global_offset_z
      - .offset:         3304
        .size:           2
        .value_kind:     hidden_grid_dims
    .group_segment_fixed_size: 0
    .kernarg_segment_align: 8
    .kernarg_segment_size: 3496
    .language:       OpenCL C
    .language_version:
      - 2
      - 0
    .max_flat_workgroup_size: 512
    .name:           _ZN2at6native12_GLOBAL__N_125multi_tensor_apply_kernelINS1_28TensorListScalarListMetadataIhLi1EEENS1_25BinaryOpScalarListFunctorIhLi1ELi1ELi0EEEJSt4plusIhEEEEvT_T0_DpT1_
    .private_segment_fixed_size: 0
    .sgpr_count:     22
    .sgpr_spill_count: 0
    .symbol:         _ZN2at6native12_GLOBAL__N_125multi_tensor_apply_kernelINS1_28TensorListScalarListMetadataIhLi1EEENS1_25BinaryOpScalarListFunctorIhLi1ELi1ELi0EEEJSt4plusIhEEEEvT_T0_DpT1_.kd
    .uniform_work_group_size: 1
    .uses_dynamic_stack: false
    .vgpr_count:     22
    .vgpr_spill_count: 0
    .wavefront_size: 32
    .workgroup_processor_mode: 1
  - .args:
      - .offset:         0
        .size:           3232
        .value_kind:     by_value
      - .offset:         3232
        .size:           1
        .value_kind:     by_value
      - .offset:         3233
        .size:           1
        .value_kind:     by_value
      - .offset:         3240
        .size:           4
        .value_kind:     hidden_block_count_x
      - .offset:         3244
        .size:           4
        .value_kind:     hidden_block_count_y
      - .offset:         3248
        .size:           4
        .value_kind:     hidden_block_count_z
      - .offset:         3252
        .size:           2
        .value_kind:     hidden_group_size_x
      - .offset:         3254
        .size:           2
        .value_kind:     hidden_group_size_y
      - .offset:         3256
        .size:           2
        .value_kind:     hidden_group_size_z
      - .offset:         3258
        .size:           2
        .value_kind:     hidden_remainder_x
      - .offset:         3260
        .size:           2
        .value_kind:     hidden_remainder_y
      - .offset:         3262
        .size:           2
        .value_kind:     hidden_remainder_z
      - .offset:         3280
        .size:           8
        .value_kind:     hidden_global_offset_x
      - .offset:         3288
        .size:           8
        .value_kind:     hidden_global_offset_y
      - .offset:         3296
        .size:           8
        .value_kind:     hidden_global_offset_z
      - .offset:         3304
        .size:           2
        .value_kind:     hidden_grid_dims
    .group_segment_fixed_size: 0
    .kernarg_segment_align: 8
    .kernarg_segment_size: 3496
    .language:       OpenCL C
    .language_version:
      - 2
      - 0
    .max_flat_workgroup_size: 512
    .name:           _ZN2at6native12_GLOBAL__N_125multi_tensor_apply_kernelINS1_28TensorListScalarListMetadataIaLi1EEENS1_25BinaryOpScalarListFunctorIaLi1ELi1ELi0EEEJSt4plusIaEEEEvT_T0_DpT1_
    .private_segment_fixed_size: 0
    .sgpr_count:     22
    .sgpr_spill_count: 0
    .symbol:         _ZN2at6native12_GLOBAL__N_125multi_tensor_apply_kernelINS1_28TensorListScalarListMetadataIaLi1EEENS1_25BinaryOpScalarListFunctorIaLi1ELi1ELi0EEEJSt4plusIaEEEEvT_T0_DpT1_.kd
    .uniform_work_group_size: 1
    .uses_dynamic_stack: false
    .vgpr_count:     22
    .vgpr_spill_count: 0
    .wavefront_size: 32
    .workgroup_processor_mode: 1
  - .args:
      - .offset:         0
        .size:           3520
        .value_kind:     by_value
      - .offset:         3520
        .size:           1
        .value_kind:     by_value
      - .offset:         3521
        .size:           1
        .value_kind:     by_value
      - .offset:         3528
        .size:           4
        .value_kind:     hidden_block_count_x
      - .offset:         3532
        .size:           4
        .value_kind:     hidden_block_count_y
      - .offset:         3536
        .size:           4
        .value_kind:     hidden_block_count_z
      - .offset:         3540
        .size:           2
        .value_kind:     hidden_group_size_x
      - .offset:         3542
        .size:           2
        .value_kind:     hidden_group_size_y
      - .offset:         3544
        .size:           2
        .value_kind:     hidden_group_size_z
      - .offset:         3546
        .size:           2
        .value_kind:     hidden_remainder_x
      - .offset:         3548
        .size:           2
        .value_kind:     hidden_remainder_y
      - .offset:         3550
        .size:           2
        .value_kind:     hidden_remainder_z
      - .offset:         3568
        .size:           8
        .value_kind:     hidden_global_offset_x
      - .offset:         3576
        .size:           8
        .value_kind:     hidden_global_offset_y
      - .offset:         3584
        .size:           8
        .value_kind:     hidden_global_offset_z
      - .offset:         3592
        .size:           2
        .value_kind:     hidden_grid_dims
    .group_segment_fixed_size: 0
    .kernarg_segment_align: 8
    .kernarg_segment_size: 3784
    .language:       OpenCL C
    .language_version:
      - 2
      - 0
    .max_flat_workgroup_size: 512
    .name:           _ZN2at6native12_GLOBAL__N_125multi_tensor_apply_kernelINS1_28TensorListScalarListMetadataIiLi1EEENS1_25BinaryOpScalarListFunctorIiLi1ELi1ELi0EEEJSt4plusIiEEEEvT_T0_DpT1_
    .private_segment_fixed_size: 0
    .sgpr_count:     26
    .sgpr_spill_count: 0
    .symbol:         _ZN2at6native12_GLOBAL__N_125multi_tensor_apply_kernelINS1_28TensorListScalarListMetadataIiLi1EEENS1_25BinaryOpScalarListFunctorIiLi1ELi1ELi0EEEJSt4plusIiEEEEvT_T0_DpT1_.kd
    .uniform_work_group_size: 1
    .uses_dynamic_stack: false
    .vgpr_count:     16
    .vgpr_spill_count: 0
    .wavefront_size: 32
    .workgroup_processor_mode: 1
  - .args:
      - .offset:         0
        .size:           3904
        .value_kind:     by_value
      - .offset:         3904
        .size:           1
        .value_kind:     by_value
      - .offset:         3905
        .size:           1
        .value_kind:     by_value
      - .offset:         3912
        .size:           4
        .value_kind:     hidden_block_count_x
      - .offset:         3916
        .size:           4
        .value_kind:     hidden_block_count_y
      - .offset:         3920
        .size:           4
        .value_kind:     hidden_block_count_z
      - .offset:         3924
        .size:           2
        .value_kind:     hidden_group_size_x
      - .offset:         3926
        .size:           2
        .value_kind:     hidden_group_size_y
      - .offset:         3928
        .size:           2
        .value_kind:     hidden_group_size_z
      - .offset:         3930
        .size:           2
        .value_kind:     hidden_remainder_x
      - .offset:         3932
        .size:           2
        .value_kind:     hidden_remainder_y
      - .offset:         3934
        .size:           2
        .value_kind:     hidden_remainder_z
      - .offset:         3952
        .size:           8
        .value_kind:     hidden_global_offset_x
      - .offset:         3960
        .size:           8
        .value_kind:     hidden_global_offset_y
      - .offset:         3968
        .size:           8
        .value_kind:     hidden_global_offset_z
      - .offset:         3976
        .size:           2
        .value_kind:     hidden_grid_dims
    .group_segment_fixed_size: 0
    .kernarg_segment_align: 8
    .kernarg_segment_size: 4168
    .language:       OpenCL C
    .language_version:
      - 2
      - 0
    .max_flat_workgroup_size: 512
    .name:           _ZN2at6native12_GLOBAL__N_125multi_tensor_apply_kernelINS1_28TensorListScalarListMetadataIlLi1EEENS1_25BinaryOpScalarListFunctorIlLi1ELi1ELi0EEEJSt4plusIlEEEEvT_T0_DpT1_
    .private_segment_fixed_size: 0
    .sgpr_count:     27
    .sgpr_spill_count: 0
    .symbol:         _ZN2at6native12_GLOBAL__N_125multi_tensor_apply_kernelINS1_28TensorListScalarListMetadataIlLi1EEENS1_25BinaryOpScalarListFunctorIlLi1ELi1ELi0EEEJSt4plusIlEEEEvT_T0_DpT1_.kd
    .uniform_work_group_size: 1
    .uses_dynamic_stack: false
    .vgpr_count:     21
    .vgpr_spill_count: 0
    .wavefront_size: 32
    .workgroup_processor_mode: 1
  - .args:
      - .offset:         0
        .size:           3328
        .value_kind:     by_value
      - .offset:         3328
        .size:           1
        .value_kind:     by_value
      - .offset:         3329
        .size:           1
        .value_kind:     by_value
      - .offset:         3336
        .size:           4
        .value_kind:     hidden_block_count_x
      - .offset:         3340
        .size:           4
        .value_kind:     hidden_block_count_y
      - .offset:         3344
        .size:           4
        .value_kind:     hidden_block_count_z
      - .offset:         3348
        .size:           2
        .value_kind:     hidden_group_size_x
      - .offset:         3350
        .size:           2
        .value_kind:     hidden_group_size_y
      - .offset:         3352
        .size:           2
        .value_kind:     hidden_group_size_z
      - .offset:         3354
        .size:           2
        .value_kind:     hidden_remainder_x
      - .offset:         3356
        .size:           2
        .value_kind:     hidden_remainder_y
      - .offset:         3358
        .size:           2
        .value_kind:     hidden_remainder_z
      - .offset:         3376
        .size:           8
        .value_kind:     hidden_global_offset_x
      - .offset:         3384
        .size:           8
        .value_kind:     hidden_global_offset_y
      - .offset:         3392
        .size:           8
        .value_kind:     hidden_global_offset_z
      - .offset:         3400
        .size:           2
        .value_kind:     hidden_grid_dims
    .group_segment_fixed_size: 0
    .kernarg_segment_align: 8
    .kernarg_segment_size: 3592
    .language:       OpenCL C
    .language_version:
      - 2
      - 0
    .max_flat_workgroup_size: 512
    .name:           _ZN2at6native12_GLOBAL__N_125multi_tensor_apply_kernelINS1_28TensorListScalarListMetadataIsLi1EEENS1_25BinaryOpScalarListFunctorIsLi1ELi1ELi0EEEJSt4plusIsEEEEvT_T0_DpT1_
    .private_segment_fixed_size: 0
    .sgpr_count:     24
    .sgpr_spill_count: 0
    .symbol:         _ZN2at6native12_GLOBAL__N_125multi_tensor_apply_kernelINS1_28TensorListScalarListMetadataIsLi1EEENS1_25BinaryOpScalarListFunctorIsLi1ELi1ELi0EEEJSt4plusIsEEEEvT_T0_DpT1_.kd
    .uniform_work_group_size: 1
    .uses_dynamic_stack: false
    .vgpr_count:     17
    .vgpr_spill_count: 0
    .wavefront_size: 32
    .workgroup_processor_mode: 1
  - .args:
      - .offset:         0
        .size:           3904
        .value_kind:     by_value
      - .offset:         3904
        .size:           1
        .value_kind:     by_value
      - .offset:         3905
        .size:           1
        .value_kind:     by_value
      - .offset:         3912
        .size:           4
        .value_kind:     hidden_block_count_x
      - .offset:         3916
        .size:           4
        .value_kind:     hidden_block_count_y
      - .offset:         3920
        .size:           4
        .value_kind:     hidden_block_count_z
      - .offset:         3924
        .size:           2
        .value_kind:     hidden_group_size_x
      - .offset:         3926
        .size:           2
        .value_kind:     hidden_group_size_y
      - .offset:         3928
        .size:           2
        .value_kind:     hidden_group_size_z
      - .offset:         3930
        .size:           2
        .value_kind:     hidden_remainder_x
      - .offset:         3932
        .size:           2
        .value_kind:     hidden_remainder_y
      - .offset:         3934
        .size:           2
        .value_kind:     hidden_remainder_z
      - .offset:         3952
        .size:           8
        .value_kind:     hidden_global_offset_x
      - .offset:         3960
        .size:           8
        .value_kind:     hidden_global_offset_y
      - .offset:         3968
        .size:           8
        .value_kind:     hidden_global_offset_z
      - .offset:         3976
        .size:           2
        .value_kind:     hidden_grid_dims
    .group_segment_fixed_size: 0
    .kernarg_segment_align: 8
    .kernarg_segment_size: 4168
    .language:       OpenCL C
    .language_version:
      - 2
      - 0
    .max_flat_workgroup_size: 512
    .name:           _ZN2at6native12_GLOBAL__N_125multi_tensor_apply_kernelINS1_28TensorListScalarListMetadataIdLi1EEENS1_25BinaryOpScalarListFunctorIdLi1ELi1ELi0EEEJSt4plusIdEEEEvT_T0_DpT1_
    .private_segment_fixed_size: 0
    .sgpr_count:     27
    .sgpr_spill_count: 0
    .symbol:         _ZN2at6native12_GLOBAL__N_125multi_tensor_apply_kernelINS1_28TensorListScalarListMetadataIdLi1EEENS1_25BinaryOpScalarListFunctorIdLi1ELi1ELi0EEEJSt4plusIdEEEEvT_T0_DpT1_.kd
    .uniform_work_group_size: 1
    .uses_dynamic_stack: false
    .vgpr_count:     21
    .vgpr_spill_count: 0
    .wavefront_size: 32
    .workgroup_processor_mode: 1
  - .args:
      - .offset:         0
        .size:           3520
        .value_kind:     by_value
      - .offset:         3520
        .size:           1
        .value_kind:     by_value
      - .offset:         3521
        .size:           1
        .value_kind:     by_value
      - .offset:         3528
        .size:           4
        .value_kind:     hidden_block_count_x
      - .offset:         3532
        .size:           4
        .value_kind:     hidden_block_count_y
      - .offset:         3536
        .size:           4
        .value_kind:     hidden_block_count_z
      - .offset:         3540
        .size:           2
        .value_kind:     hidden_group_size_x
      - .offset:         3542
        .size:           2
        .value_kind:     hidden_group_size_y
      - .offset:         3544
        .size:           2
        .value_kind:     hidden_group_size_z
      - .offset:         3546
        .size:           2
        .value_kind:     hidden_remainder_x
      - .offset:         3548
        .size:           2
        .value_kind:     hidden_remainder_y
      - .offset:         3550
        .size:           2
        .value_kind:     hidden_remainder_z
      - .offset:         3568
        .size:           8
        .value_kind:     hidden_global_offset_x
      - .offset:         3576
        .size:           8
        .value_kind:     hidden_global_offset_y
      - .offset:         3584
        .size:           8
        .value_kind:     hidden_global_offset_z
      - .offset:         3592
        .size:           2
        .value_kind:     hidden_grid_dims
    .group_segment_fixed_size: 0
    .kernarg_segment_align: 8
    .kernarg_segment_size: 3784
    .language:       OpenCL C
    .language_version:
      - 2
      - 0
    .max_flat_workgroup_size: 512
    .name:           _ZN2at6native12_GLOBAL__N_125multi_tensor_apply_kernelINS1_28TensorListScalarListMetadataIfLi1EEENS1_25BinaryOpScalarListFunctorIfLi1ELi1ELi0EEEJSt4plusIfEEEEvT_T0_DpT1_
    .private_segment_fixed_size: 0
    .sgpr_count:     26
    .sgpr_spill_count: 0
    .symbol:         _ZN2at6native12_GLOBAL__N_125multi_tensor_apply_kernelINS1_28TensorListScalarListMetadataIfLi1EEENS1_25BinaryOpScalarListFunctorIfLi1ELi1ELi0EEEJSt4plusIfEEEEvT_T0_DpT1_.kd
    .uniform_work_group_size: 1
    .uses_dynamic_stack: false
    .vgpr_count:     16
    .vgpr_spill_count: 0
    .wavefront_size: 32
    .workgroup_processor_mode: 1
  - .args:
      - .offset:         0
        .size:           3904
        .value_kind:     by_value
      - .offset:         3904
        .size:           1
        .value_kind:     by_value
      - .offset:         3905
        .size:           1
        .value_kind:     by_value
      - .offset:         3912
        .size:           4
        .value_kind:     hidden_block_count_x
      - .offset:         3916
        .size:           4
        .value_kind:     hidden_block_count_y
      - .offset:         3920
        .size:           4
        .value_kind:     hidden_block_count_z
      - .offset:         3924
        .size:           2
        .value_kind:     hidden_group_size_x
      - .offset:         3926
        .size:           2
        .value_kind:     hidden_group_size_y
      - .offset:         3928
        .size:           2
        .value_kind:     hidden_group_size_z
      - .offset:         3930
        .size:           2
        .value_kind:     hidden_remainder_x
      - .offset:         3932
        .size:           2
        .value_kind:     hidden_remainder_y
      - .offset:         3934
        .size:           2
        .value_kind:     hidden_remainder_z
      - .offset:         3952
        .size:           8
        .value_kind:     hidden_global_offset_x
      - .offset:         3960
        .size:           8
        .value_kind:     hidden_global_offset_y
      - .offset:         3968
        .size:           8
        .value_kind:     hidden_global_offset_z
      - .offset:         3976
        .size:           2
        .value_kind:     hidden_grid_dims
    .group_segment_fixed_size: 0
    .kernarg_segment_align: 16
    .kernarg_segment_size: 4168
    .language:       OpenCL C
    .language_version:
      - 2
      - 0
    .max_flat_workgroup_size: 512
    .name:           _ZN2at6native12_GLOBAL__N_125multi_tensor_apply_kernelINS1_28TensorListScalarListMetadataIN3c107complexIdEELi1EEENS1_25BinaryOpScalarListFunctorIS6_Li1ELi1ELi0EEEJSt4plusIS6_EEEEvT_T0_DpT1_
    .private_segment_fixed_size: 0
    .sgpr_count:     29
    .sgpr_spill_count: 0
    .symbol:         _ZN2at6native12_GLOBAL__N_125multi_tensor_apply_kernelINS1_28TensorListScalarListMetadataIN3c107complexIdEELi1EEENS1_25BinaryOpScalarListFunctorIS6_Li1ELi1ELi0EEEJSt4plusIS6_EEEEvT_T0_DpT1_.kd
    .uniform_work_group_size: 1
    .uses_dynamic_stack: false
    .vgpr_count:     31
    .vgpr_spill_count: 0
    .wavefront_size: 32
    .workgroup_processor_mode: 1
  - .args:
      - .offset:         0
        .size:           3904
        .value_kind:     by_value
      - .offset:         3904
        .size:           1
        .value_kind:     by_value
      - .offset:         3905
        .size:           1
        .value_kind:     by_value
      - .offset:         3912
        .size:           4
        .value_kind:     hidden_block_count_x
      - .offset:         3916
        .size:           4
        .value_kind:     hidden_block_count_y
      - .offset:         3920
        .size:           4
        .value_kind:     hidden_block_count_z
      - .offset:         3924
        .size:           2
        .value_kind:     hidden_group_size_x
      - .offset:         3926
        .size:           2
        .value_kind:     hidden_group_size_y
      - .offset:         3928
        .size:           2
        .value_kind:     hidden_group_size_z
      - .offset:         3930
        .size:           2
        .value_kind:     hidden_remainder_x
      - .offset:         3932
        .size:           2
        .value_kind:     hidden_remainder_y
      - .offset:         3934
        .size:           2
        .value_kind:     hidden_remainder_z
      - .offset:         3952
        .size:           8
        .value_kind:     hidden_global_offset_x
      - .offset:         3960
        .size:           8
        .value_kind:     hidden_global_offset_y
      - .offset:         3968
        .size:           8
        .value_kind:     hidden_global_offset_z
      - .offset:         3976
        .size:           2
        .value_kind:     hidden_grid_dims
    .group_segment_fixed_size: 0
    .kernarg_segment_align: 8
    .kernarg_segment_size: 4168
    .language:       OpenCL C
    .language_version:
      - 2
      - 0
    .max_flat_workgroup_size: 512
    .name:           _ZN2at6native12_GLOBAL__N_125multi_tensor_apply_kernelINS1_28TensorListScalarListMetadataIN3c107complexIfEELi1EEENS1_25BinaryOpScalarListFunctorIS6_Li1ELi1ELi0EEEJSt4plusIS6_EEEEvT_T0_DpT1_
    .private_segment_fixed_size: 16
    .sgpr_count:     33
    .sgpr_spill_count: 0
    .symbol:         _ZN2at6native12_GLOBAL__N_125multi_tensor_apply_kernelINS1_28TensorListScalarListMetadataIN3c107complexIfEELi1EEENS1_25BinaryOpScalarListFunctorIS6_Li1ELi1ELi0EEEJSt4plusIS6_EEEEvT_T0_DpT1_.kd
    .uniform_work_group_size: 1
    .uses_dynamic_stack: false
    .vgpr_count:     18
    .vgpr_spill_count: 0
    .wavefront_size: 32
    .workgroup_processor_mode: 1
  - .args:
      - .offset:         0
        .size:           3232
        .value_kind:     by_value
      - .offset:         3232
        .size:           1
        .value_kind:     by_value
      - .offset:         3233
        .size:           1
        .value_kind:     by_value
      - .offset:         3240
        .size:           4
        .value_kind:     hidden_block_count_x
      - .offset:         3244
        .size:           4
        .value_kind:     hidden_block_count_y
      - .offset:         3248
        .size:           4
        .value_kind:     hidden_block_count_z
      - .offset:         3252
        .size:           2
        .value_kind:     hidden_group_size_x
      - .offset:         3254
        .size:           2
        .value_kind:     hidden_group_size_y
      - .offset:         3256
        .size:           2
        .value_kind:     hidden_group_size_z
      - .offset:         3258
        .size:           2
        .value_kind:     hidden_remainder_x
      - .offset:         3260
        .size:           2
        .value_kind:     hidden_remainder_y
      - .offset:         3262
        .size:           2
        .value_kind:     hidden_remainder_z
      - .offset:         3280
        .size:           8
        .value_kind:     hidden_global_offset_x
      - .offset:         3288
        .size:           8
        .value_kind:     hidden_global_offset_y
      - .offset:         3296
        .size:           8
        .value_kind:     hidden_global_offset_z
      - .offset:         3304
        .size:           2
        .value_kind:     hidden_grid_dims
    .group_segment_fixed_size: 0
    .kernarg_segment_align: 8
    .kernarg_segment_size: 3496
    .language:       OpenCL C
    .language_version:
      - 2
      - 0
    .max_flat_workgroup_size: 512
    .name:           _ZN2at6native12_GLOBAL__N_125multi_tensor_apply_kernelINS1_28TensorListScalarListMetadataIbLi1EEENS1_25BinaryOpScalarListFunctorIbLi1ELi1ELi0EEEJSt4plusIbEEEEvT_T0_DpT1_
    .private_segment_fixed_size: 0
    .sgpr_count:     22
    .sgpr_spill_count: 0
    .symbol:         _ZN2at6native12_GLOBAL__N_125multi_tensor_apply_kernelINS1_28TensorListScalarListMetadataIbLi1EEENS1_25BinaryOpScalarListFunctorIbLi1ELi1ELi0EEEJSt4plusIbEEEEvT_T0_DpT1_.kd
    .uniform_work_group_size: 1
    .uses_dynamic_stack: false
    .vgpr_count:     22
    .vgpr_spill_count: 0
    .wavefront_size: 32
    .workgroup_processor_mode: 1
  - .args:
      - .offset:         0
        .size:           3520
        .value_kind:     by_value
      - .offset:         3520
        .size:           1
        .value_kind:     by_value
      - .offset:         3521
        .size:           1
        .value_kind:     by_value
      - .offset:         3528
        .size:           4
        .value_kind:     hidden_block_count_x
      - .offset:         3532
        .size:           4
        .value_kind:     hidden_block_count_y
      - .offset:         3536
        .size:           4
        .value_kind:     hidden_block_count_z
      - .offset:         3540
        .size:           2
        .value_kind:     hidden_group_size_x
      - .offset:         3542
        .size:           2
        .value_kind:     hidden_group_size_y
      - .offset:         3544
        .size:           2
        .value_kind:     hidden_group_size_z
      - .offset:         3546
        .size:           2
        .value_kind:     hidden_remainder_x
      - .offset:         3548
        .size:           2
        .value_kind:     hidden_remainder_y
      - .offset:         3550
        .size:           2
        .value_kind:     hidden_remainder_z
      - .offset:         3568
        .size:           8
        .value_kind:     hidden_global_offset_x
      - .offset:         3576
        .size:           8
        .value_kind:     hidden_global_offset_y
      - .offset:         3584
        .size:           8
        .value_kind:     hidden_global_offset_z
      - .offset:         3592
        .size:           2
        .value_kind:     hidden_grid_dims
    .group_segment_fixed_size: 0
    .kernarg_segment_align: 8
    .kernarg_segment_size: 3784
    .language:       OpenCL C
    .language_version:
      - 2
      - 0
    .max_flat_workgroup_size: 512
    .name:           _ZN2at6native12_GLOBAL__N_125multi_tensor_apply_kernelINS1_28TensorListScalarListMetadataIfLi1EEENS1_25BinaryOpScalarListFunctorIN3c104HalfELi1ELi1ELi0EEEJSt4plusIfEEEEvT_T0_DpT1_
    .private_segment_fixed_size: 0
    .sgpr_count:     25
    .sgpr_spill_count: 0
    .symbol:         _ZN2at6native12_GLOBAL__N_125multi_tensor_apply_kernelINS1_28TensorListScalarListMetadataIfLi1EEENS1_25BinaryOpScalarListFunctorIN3c104HalfELi1ELi1ELi0EEEJSt4plusIfEEEEvT_T0_DpT1_.kd
    .uniform_work_group_size: 1
    .uses_dynamic_stack: false
    .vgpr_count:     16
    .vgpr_spill_count: 0
    .wavefront_size: 32
    .workgroup_processor_mode: 1
  - .args:
      - .offset:         0
        .size:           3520
        .value_kind:     by_value
      - .offset:         3520
        .size:           1
        .value_kind:     by_value
      - .offset:         3521
        .size:           1
        .value_kind:     by_value
      - .offset:         3528
        .size:           4
        .value_kind:     hidden_block_count_x
      - .offset:         3532
        .size:           4
        .value_kind:     hidden_block_count_y
      - .offset:         3536
        .size:           4
        .value_kind:     hidden_block_count_z
      - .offset:         3540
        .size:           2
        .value_kind:     hidden_group_size_x
      - .offset:         3542
        .size:           2
        .value_kind:     hidden_group_size_y
      - .offset:         3544
        .size:           2
        .value_kind:     hidden_group_size_z
      - .offset:         3546
        .size:           2
        .value_kind:     hidden_remainder_x
      - .offset:         3548
        .size:           2
        .value_kind:     hidden_remainder_y
      - .offset:         3550
        .size:           2
        .value_kind:     hidden_remainder_z
      - .offset:         3568
        .size:           8
        .value_kind:     hidden_global_offset_x
      - .offset:         3576
        .size:           8
        .value_kind:     hidden_global_offset_y
      - .offset:         3584
        .size:           8
        .value_kind:     hidden_global_offset_z
      - .offset:         3592
        .size:           2
        .value_kind:     hidden_grid_dims
    .group_segment_fixed_size: 0
    .kernarg_segment_align: 8
    .kernarg_segment_size: 3784
    .language:       OpenCL C
    .language_version:
      - 2
      - 0
    .max_flat_workgroup_size: 512
    .name:           _ZN2at6native12_GLOBAL__N_125multi_tensor_apply_kernelINS1_28TensorListScalarListMetadataIfLi1EEENS1_25BinaryOpScalarListFunctorIN3c108BFloat16ELi1ELi1ELi0EEEJSt4plusIfEEEEvT_T0_DpT1_
    .private_segment_fixed_size: 0
    .sgpr_count:     25
    .sgpr_spill_count: 0
    .symbol:         _ZN2at6native12_GLOBAL__N_125multi_tensor_apply_kernelINS1_28TensorListScalarListMetadataIfLi1EEENS1_25BinaryOpScalarListFunctorIN3c108BFloat16ELi1ELi1ELi0EEEJSt4plusIfEEEEvT_T0_DpT1_.kd
    .uniform_work_group_size: 1
    .uses_dynamic_stack: false
    .vgpr_count:     17
    .vgpr_spill_count: 0
    .wavefront_size: 32
    .workgroup_processor_mode: 1
  - .args:
      - .offset:         0
        .size:           3200
        .value_kind:     by_value
      - .offset:         3200
        .size:           1
        .value_kind:     by_value
      - .offset:         3201
        .size:           1
        .value_kind:     by_value
      - .offset:         3208
        .size:           4
        .value_kind:     hidden_block_count_x
      - .offset:         3212
        .size:           4
        .value_kind:     hidden_block_count_y
      - .offset:         3216
        .size:           4
        .value_kind:     hidden_block_count_z
      - .offset:         3220
        .size:           2
        .value_kind:     hidden_group_size_x
      - .offset:         3222
        .size:           2
        .value_kind:     hidden_group_size_y
      - .offset:         3224
        .size:           2
        .value_kind:     hidden_group_size_z
      - .offset:         3226
        .size:           2
        .value_kind:     hidden_remainder_x
      - .offset:         3228
        .size:           2
        .value_kind:     hidden_remainder_y
      - .offset:         3230
        .size:           2
        .value_kind:     hidden_remainder_z
      - .offset:         3248
        .size:           8
        .value_kind:     hidden_global_offset_x
      - .offset:         3256
        .size:           8
        .value_kind:     hidden_global_offset_y
      - .offset:         3264
        .size:           8
        .value_kind:     hidden_global_offset_z
      - .offset:         3272
        .size:           2
        .value_kind:     hidden_grid_dims
    .group_segment_fixed_size: 0
    .kernarg_segment_align: 8
    .kernarg_segment_size: 3464
    .language:       OpenCL C
    .language_version:
      - 2
      - 0
    .max_flat_workgroup_size: 512
    .name:           _ZN2at6native12_GLOBAL__N_125multi_tensor_apply_kernelINS1_28TensorListScalarListMetadataIhLi2EEENS1_25BinaryOpScalarListFunctorIhLi2ELi1ELi1EEEJSt4plusIhEEEEvT_T0_DpT1_
    .private_segment_fixed_size: 0
    .sgpr_count:     24
    .sgpr_spill_count: 0
    .symbol:         _ZN2at6native12_GLOBAL__N_125multi_tensor_apply_kernelINS1_28TensorListScalarListMetadataIhLi2EEENS1_25BinaryOpScalarListFunctorIhLi2ELi1ELi1EEEJSt4plusIhEEEEvT_T0_DpT1_.kd
    .uniform_work_group_size: 1
    .uses_dynamic_stack: false
    .vgpr_count:     30
    .vgpr_spill_count: 0
    .wavefront_size: 32
    .workgroup_processor_mode: 1
  - .args:
      - .offset:         0
        .size:           3200
        .value_kind:     by_value
      - .offset:         3200
        .size:           1
        .value_kind:     by_value
      - .offset:         3201
        .size:           1
        .value_kind:     by_value
      - .offset:         3208
        .size:           4
        .value_kind:     hidden_block_count_x
      - .offset:         3212
        .size:           4
        .value_kind:     hidden_block_count_y
      - .offset:         3216
        .size:           4
        .value_kind:     hidden_block_count_z
      - .offset:         3220
        .size:           2
        .value_kind:     hidden_group_size_x
      - .offset:         3222
        .size:           2
        .value_kind:     hidden_group_size_y
      - .offset:         3224
        .size:           2
        .value_kind:     hidden_group_size_z
      - .offset:         3226
        .size:           2
        .value_kind:     hidden_remainder_x
      - .offset:         3228
        .size:           2
        .value_kind:     hidden_remainder_y
      - .offset:         3230
        .size:           2
        .value_kind:     hidden_remainder_z
      - .offset:         3248
        .size:           8
        .value_kind:     hidden_global_offset_x
      - .offset:         3256
        .size:           8
        .value_kind:     hidden_global_offset_y
      - .offset:         3264
        .size:           8
        .value_kind:     hidden_global_offset_z
      - .offset:         3272
        .size:           2
        .value_kind:     hidden_grid_dims
    .group_segment_fixed_size: 0
    .kernarg_segment_align: 8
    .kernarg_segment_size: 3464
    .language:       OpenCL C
    .language_version:
      - 2
      - 0
    .max_flat_workgroup_size: 512
    .name:           _ZN2at6native12_GLOBAL__N_125multi_tensor_apply_kernelINS1_28TensorListScalarListMetadataIaLi2EEENS1_25BinaryOpScalarListFunctorIaLi2ELi1ELi1EEEJSt4plusIaEEEEvT_T0_DpT1_
    .private_segment_fixed_size: 0
    .sgpr_count:     24
    .sgpr_spill_count: 0
    .symbol:         _ZN2at6native12_GLOBAL__N_125multi_tensor_apply_kernelINS1_28TensorListScalarListMetadataIaLi2EEENS1_25BinaryOpScalarListFunctorIaLi2ELi1ELi1EEEJSt4plusIaEEEEvT_T0_DpT1_.kd
    .uniform_work_group_size: 1
    .uses_dynamic_stack: false
    .vgpr_count:     30
    .vgpr_spill_count: 0
    .wavefront_size: 32
    .workgroup_processor_mode: 1
  - .args:
      - .offset:         0
        .size:           3392
        .value_kind:     by_value
      - .offset:         3392
        .size:           1
        .value_kind:     by_value
      - .offset:         3393
        .size:           1
        .value_kind:     by_value
      - .offset:         3400
        .size:           4
        .value_kind:     hidden_block_count_x
      - .offset:         3404
        .size:           4
        .value_kind:     hidden_block_count_y
      - .offset:         3408
        .size:           4
        .value_kind:     hidden_block_count_z
      - .offset:         3412
        .size:           2
        .value_kind:     hidden_group_size_x
      - .offset:         3414
        .size:           2
        .value_kind:     hidden_group_size_y
      - .offset:         3416
        .size:           2
        .value_kind:     hidden_group_size_z
      - .offset:         3418
        .size:           2
        .value_kind:     hidden_remainder_x
      - .offset:         3420
        .size:           2
        .value_kind:     hidden_remainder_y
      - .offset:         3422
        .size:           2
        .value_kind:     hidden_remainder_z
      - .offset:         3440
        .size:           8
        .value_kind:     hidden_global_offset_x
      - .offset:         3448
        .size:           8
        .value_kind:     hidden_global_offset_y
      - .offset:         3456
        .size:           8
        .value_kind:     hidden_global_offset_z
      - .offset:         3464
        .size:           2
        .value_kind:     hidden_grid_dims
    .group_segment_fixed_size: 0
    .kernarg_segment_align: 8
    .kernarg_segment_size: 3656
    .language:       OpenCL C
    .language_version:
      - 2
      - 0
    .max_flat_workgroup_size: 512
    .name:           _ZN2at6native12_GLOBAL__N_125multi_tensor_apply_kernelINS1_28TensorListScalarListMetadataIiLi2EEENS1_25BinaryOpScalarListFunctorIiLi2ELi1ELi1EEEJSt4plusIiEEEEvT_T0_DpT1_
    .private_segment_fixed_size: 0
    .sgpr_count:     26
    .sgpr_spill_count: 0
    .symbol:         _ZN2at6native12_GLOBAL__N_125multi_tensor_apply_kernelINS1_28TensorListScalarListMetadataIiLi2EEENS1_25BinaryOpScalarListFunctorIiLi2ELi1ELi1EEEJSt4plusIiEEEEvT_T0_DpT1_.kd
    .uniform_work_group_size: 1
    .uses_dynamic_stack: false
    .vgpr_count:     29
    .vgpr_spill_count: 0
    .wavefront_size: 32
    .workgroup_processor_mode: 1
  - .args:
      - .offset:         0
        .size:           3648
        .value_kind:     by_value
      - .offset:         3648
        .size:           1
        .value_kind:     by_value
      - .offset:         3649
        .size:           1
        .value_kind:     by_value
      - .offset:         3656
        .size:           4
        .value_kind:     hidden_block_count_x
      - .offset:         3660
        .size:           4
        .value_kind:     hidden_block_count_y
      - .offset:         3664
        .size:           4
        .value_kind:     hidden_block_count_z
      - .offset:         3668
        .size:           2
        .value_kind:     hidden_group_size_x
      - .offset:         3670
        .size:           2
        .value_kind:     hidden_group_size_y
      - .offset:         3672
        .size:           2
        .value_kind:     hidden_group_size_z
      - .offset:         3674
        .size:           2
        .value_kind:     hidden_remainder_x
      - .offset:         3676
        .size:           2
        .value_kind:     hidden_remainder_y
      - .offset:         3678
        .size:           2
        .value_kind:     hidden_remainder_z
      - .offset:         3696
        .size:           8
        .value_kind:     hidden_global_offset_x
      - .offset:         3704
        .size:           8
        .value_kind:     hidden_global_offset_y
      - .offset:         3712
        .size:           8
        .value_kind:     hidden_global_offset_z
      - .offset:         3720
        .size:           2
        .value_kind:     hidden_grid_dims
    .group_segment_fixed_size: 0
    .kernarg_segment_align: 8
    .kernarg_segment_size: 3912
    .language:       OpenCL C
    .language_version:
      - 2
      - 0
    .max_flat_workgroup_size: 512
    .name:           _ZN2at6native12_GLOBAL__N_125multi_tensor_apply_kernelINS1_28TensorListScalarListMetadataIlLi2EEENS1_25BinaryOpScalarListFunctorIlLi2ELi1ELi1EEEJSt4plusIlEEEEvT_T0_DpT1_
    .private_segment_fixed_size: 0
    .sgpr_count:     27
    .sgpr_spill_count: 0
    .symbol:         _ZN2at6native12_GLOBAL__N_125multi_tensor_apply_kernelINS1_28TensorListScalarListMetadataIlLi2EEENS1_25BinaryOpScalarListFunctorIlLi2ELi1ELi1EEEJSt4plusIlEEEEvT_T0_DpT1_.kd
    .uniform_work_group_size: 1
    .uses_dynamic_stack: false
    .vgpr_count:     33
    .vgpr_spill_count: 0
    .wavefront_size: 32
    .workgroup_processor_mode: 1
  - .args:
      - .offset:         0
        .size:           3264
        .value_kind:     by_value
      - .offset:         3264
        .size:           1
        .value_kind:     by_value
      - .offset:         3265
        .size:           1
        .value_kind:     by_value
      - .offset:         3272
        .size:           4
        .value_kind:     hidden_block_count_x
      - .offset:         3276
        .size:           4
        .value_kind:     hidden_block_count_y
      - .offset:         3280
        .size:           4
        .value_kind:     hidden_block_count_z
      - .offset:         3284
        .size:           2
        .value_kind:     hidden_group_size_x
      - .offset:         3286
        .size:           2
        .value_kind:     hidden_group_size_y
      - .offset:         3288
        .size:           2
        .value_kind:     hidden_group_size_z
      - .offset:         3290
        .size:           2
        .value_kind:     hidden_remainder_x
      - .offset:         3292
        .size:           2
        .value_kind:     hidden_remainder_y
      - .offset:         3294
        .size:           2
        .value_kind:     hidden_remainder_z
      - .offset:         3312
        .size:           8
        .value_kind:     hidden_global_offset_x
      - .offset:         3320
        .size:           8
        .value_kind:     hidden_global_offset_y
      - .offset:         3328
        .size:           8
        .value_kind:     hidden_global_offset_z
      - .offset:         3336
        .size:           2
        .value_kind:     hidden_grid_dims
    .group_segment_fixed_size: 0
    .kernarg_segment_align: 8
    .kernarg_segment_size: 3528
    .language:       OpenCL C
    .language_version:
      - 2
      - 0
    .max_flat_workgroup_size: 512
    .name:           _ZN2at6native12_GLOBAL__N_125multi_tensor_apply_kernelINS1_28TensorListScalarListMetadataIsLi2EEENS1_25BinaryOpScalarListFunctorIsLi2ELi1ELi1EEEJSt4plusIsEEEEvT_T0_DpT1_
    .private_segment_fixed_size: 0
    .sgpr_count:     25
    .sgpr_spill_count: 0
    .symbol:         _ZN2at6native12_GLOBAL__N_125multi_tensor_apply_kernelINS1_28TensorListScalarListMetadataIsLi2EEENS1_25BinaryOpScalarListFunctorIsLi2ELi1ELi1EEEJSt4plusIsEEEEvT_T0_DpT1_.kd
    .uniform_work_group_size: 1
    .uses_dynamic_stack: false
    .vgpr_count:     30
    .vgpr_spill_count: 0
    .wavefront_size: 32
    .workgroup_processor_mode: 1
  - .args:
      - .offset:         0
        .size:           3648
        .value_kind:     by_value
      - .offset:         3648
        .size:           1
        .value_kind:     by_value
      - .offset:         3649
        .size:           1
        .value_kind:     by_value
      - .offset:         3656
        .size:           4
        .value_kind:     hidden_block_count_x
      - .offset:         3660
        .size:           4
        .value_kind:     hidden_block_count_y
      - .offset:         3664
        .size:           4
        .value_kind:     hidden_block_count_z
      - .offset:         3668
        .size:           2
        .value_kind:     hidden_group_size_x
      - .offset:         3670
        .size:           2
        .value_kind:     hidden_group_size_y
      - .offset:         3672
        .size:           2
        .value_kind:     hidden_group_size_z
      - .offset:         3674
        .size:           2
        .value_kind:     hidden_remainder_x
      - .offset:         3676
        .size:           2
        .value_kind:     hidden_remainder_y
      - .offset:         3678
        .size:           2
        .value_kind:     hidden_remainder_z
      - .offset:         3696
        .size:           8
        .value_kind:     hidden_global_offset_x
      - .offset:         3704
        .size:           8
        .value_kind:     hidden_global_offset_y
      - .offset:         3712
        .size:           8
        .value_kind:     hidden_global_offset_z
      - .offset:         3720
        .size:           2
        .value_kind:     hidden_grid_dims
    .group_segment_fixed_size: 0
    .kernarg_segment_align: 8
    .kernarg_segment_size: 3912
    .language:       OpenCL C
    .language_version:
      - 2
      - 0
    .max_flat_workgroup_size: 512
    .name:           _ZN2at6native12_GLOBAL__N_125multi_tensor_apply_kernelINS1_28TensorListScalarListMetadataIdLi2EEENS1_25BinaryOpScalarListFunctorIdLi2ELi1ELi1EEEJSt4plusIdEEEEvT_T0_DpT1_
    .private_segment_fixed_size: 0
    .sgpr_count:     27
    .sgpr_spill_count: 0
    .symbol:         _ZN2at6native12_GLOBAL__N_125multi_tensor_apply_kernelINS1_28TensorListScalarListMetadataIdLi2EEENS1_25BinaryOpScalarListFunctorIdLi2ELi1ELi1EEEJSt4plusIdEEEEvT_T0_DpT1_.kd
    .uniform_work_group_size: 1
    .uses_dynamic_stack: false
    .vgpr_count:     33
    .vgpr_spill_count: 0
    .wavefront_size: 32
    .workgroup_processor_mode: 1
  - .args:
      - .offset:         0
        .size:           3392
        .value_kind:     by_value
      - .offset:         3392
        .size:           1
        .value_kind:     by_value
      - .offset:         3393
        .size:           1
        .value_kind:     by_value
      - .offset:         3400
        .size:           4
        .value_kind:     hidden_block_count_x
      - .offset:         3404
        .size:           4
        .value_kind:     hidden_block_count_y
      - .offset:         3408
        .size:           4
        .value_kind:     hidden_block_count_z
      - .offset:         3412
        .size:           2
        .value_kind:     hidden_group_size_x
      - .offset:         3414
        .size:           2
        .value_kind:     hidden_group_size_y
      - .offset:         3416
        .size:           2
        .value_kind:     hidden_group_size_z
      - .offset:         3418
        .size:           2
        .value_kind:     hidden_remainder_x
      - .offset:         3420
        .size:           2
        .value_kind:     hidden_remainder_y
      - .offset:         3422
        .size:           2
        .value_kind:     hidden_remainder_z
      - .offset:         3440
        .size:           8
        .value_kind:     hidden_global_offset_x
      - .offset:         3448
        .size:           8
        .value_kind:     hidden_global_offset_y
      - .offset:         3456
        .size:           8
        .value_kind:     hidden_global_offset_z
      - .offset:         3464
        .size:           2
        .value_kind:     hidden_grid_dims
    .group_segment_fixed_size: 0
    .kernarg_segment_align: 8
    .kernarg_segment_size: 3656
    .language:       OpenCL C
    .language_version:
      - 2
      - 0
    .max_flat_workgroup_size: 512
    .name:           _ZN2at6native12_GLOBAL__N_125multi_tensor_apply_kernelINS1_28TensorListScalarListMetadataIfLi2EEENS1_25BinaryOpScalarListFunctorIfLi2ELi1ELi1EEEJSt4plusIfEEEEvT_T0_DpT1_
    .private_segment_fixed_size: 0
    .sgpr_count:     26
    .sgpr_spill_count: 0
    .symbol:         _ZN2at6native12_GLOBAL__N_125multi_tensor_apply_kernelINS1_28TensorListScalarListMetadataIfLi2EEENS1_25BinaryOpScalarListFunctorIfLi2ELi1ELi1EEEJSt4plusIfEEEEvT_T0_DpT1_.kd
    .uniform_work_group_size: 1
    .uses_dynamic_stack: false
    .vgpr_count:     29
    .vgpr_spill_count: 0
    .wavefront_size: 32
    .workgroup_processor_mode: 1
  - .args:
      - .offset:         0
        .size:           4000
        .value_kind:     by_value
      - .offset:         4000
        .size:           1
        .value_kind:     by_value
      - .offset:         4001
        .size:           1
        .value_kind:     by_value
      - .offset:         4008
        .size:           4
        .value_kind:     hidden_block_count_x
      - .offset:         4012
        .size:           4
        .value_kind:     hidden_block_count_y
      - .offset:         4016
        .size:           4
        .value_kind:     hidden_block_count_z
      - .offset:         4020
        .size:           2
        .value_kind:     hidden_group_size_x
      - .offset:         4022
        .size:           2
        .value_kind:     hidden_group_size_y
      - .offset:         4024
        .size:           2
        .value_kind:     hidden_group_size_z
      - .offset:         4026
        .size:           2
        .value_kind:     hidden_remainder_x
      - .offset:         4028
        .size:           2
        .value_kind:     hidden_remainder_y
      - .offset:         4030
        .size:           2
        .value_kind:     hidden_remainder_z
      - .offset:         4048
        .size:           8
        .value_kind:     hidden_global_offset_x
      - .offset:         4056
        .size:           8
        .value_kind:     hidden_global_offset_y
      - .offset:         4064
        .size:           8
        .value_kind:     hidden_global_offset_z
      - .offset:         4072
        .size:           2
        .value_kind:     hidden_grid_dims
    .group_segment_fixed_size: 0
    .kernarg_segment_align: 16
    .kernarg_segment_size: 4264
    .language:       OpenCL C
    .language_version:
      - 2
      - 0
    .max_flat_workgroup_size: 512
    .name:           _ZN2at6native12_GLOBAL__N_125multi_tensor_apply_kernelINS1_28TensorListScalarListMetadataIN3c107complexIdEELi2EEENS1_25BinaryOpScalarListFunctorIS6_Li2ELi1ELi1EEEJSt4plusIS6_EEEEvT_T0_DpT1_
    .private_segment_fixed_size: 0
    .sgpr_count:     29
    .sgpr_spill_count: 0
    .symbol:         _ZN2at6native12_GLOBAL__N_125multi_tensor_apply_kernelINS1_28TensorListScalarListMetadataIN3c107complexIdEELi2EEENS1_25BinaryOpScalarListFunctorIS6_Li2ELi1ELi1EEEJSt4plusIS6_EEEEvT_T0_DpT1_.kd
    .uniform_work_group_size: 1
    .uses_dynamic_stack: false
    .vgpr_count:     25
    .vgpr_spill_count: 0
    .wavefront_size: 32
    .workgroup_processor_mode: 1
  - .args:
      - .offset:         0
        .size:           3648
        .value_kind:     by_value
      - .offset:         3648
        .size:           1
        .value_kind:     by_value
      - .offset:         3649
        .size:           1
        .value_kind:     by_value
      - .offset:         3656
        .size:           4
        .value_kind:     hidden_block_count_x
      - .offset:         3660
        .size:           4
        .value_kind:     hidden_block_count_y
      - .offset:         3664
        .size:           4
        .value_kind:     hidden_block_count_z
      - .offset:         3668
        .size:           2
        .value_kind:     hidden_group_size_x
      - .offset:         3670
        .size:           2
        .value_kind:     hidden_group_size_y
      - .offset:         3672
        .size:           2
        .value_kind:     hidden_group_size_z
      - .offset:         3674
        .size:           2
        .value_kind:     hidden_remainder_x
      - .offset:         3676
        .size:           2
        .value_kind:     hidden_remainder_y
      - .offset:         3678
        .size:           2
        .value_kind:     hidden_remainder_z
      - .offset:         3696
        .size:           8
        .value_kind:     hidden_global_offset_x
      - .offset:         3704
        .size:           8
        .value_kind:     hidden_global_offset_y
      - .offset:         3712
        .size:           8
        .value_kind:     hidden_global_offset_z
      - .offset:         3720
        .size:           2
        .value_kind:     hidden_grid_dims
    .group_segment_fixed_size: 0
    .kernarg_segment_align: 8
    .kernarg_segment_size: 3912
    .language:       OpenCL C
    .language_version:
      - 2
      - 0
    .max_flat_workgroup_size: 512
    .name:           _ZN2at6native12_GLOBAL__N_125multi_tensor_apply_kernelINS1_28TensorListScalarListMetadataIN3c107complexIfEELi2EEENS1_25BinaryOpScalarListFunctorIS6_Li2ELi1ELi1EEEJSt4plusIS6_EEEEvT_T0_DpT1_
    .private_segment_fixed_size: 16
    .sgpr_count:     31
    .sgpr_spill_count: 0
    .symbol:         _ZN2at6native12_GLOBAL__N_125multi_tensor_apply_kernelINS1_28TensorListScalarListMetadataIN3c107complexIfEELi2EEENS1_25BinaryOpScalarListFunctorIS6_Li2ELi1ELi1EEEJSt4plusIS6_EEEEvT_T0_DpT1_.kd
    .uniform_work_group_size: 1
    .uses_dynamic_stack: false
    .vgpr_count:     20
    .vgpr_spill_count: 0
    .wavefront_size: 32
    .workgroup_processor_mode: 1
  - .args:
      - .offset:         0
        .size:           3200
        .value_kind:     by_value
      - .offset:         3200
        .size:           1
        .value_kind:     by_value
      - .offset:         3201
        .size:           1
        .value_kind:     by_value
      - .offset:         3208
        .size:           4
        .value_kind:     hidden_block_count_x
      - .offset:         3212
        .size:           4
        .value_kind:     hidden_block_count_y
      - .offset:         3216
        .size:           4
        .value_kind:     hidden_block_count_z
      - .offset:         3220
        .size:           2
        .value_kind:     hidden_group_size_x
      - .offset:         3222
        .size:           2
        .value_kind:     hidden_group_size_y
      - .offset:         3224
        .size:           2
        .value_kind:     hidden_group_size_z
      - .offset:         3226
        .size:           2
        .value_kind:     hidden_remainder_x
      - .offset:         3228
        .size:           2
        .value_kind:     hidden_remainder_y
      - .offset:         3230
        .size:           2
        .value_kind:     hidden_remainder_z
      - .offset:         3248
        .size:           8
        .value_kind:     hidden_global_offset_x
      - .offset:         3256
        .size:           8
        .value_kind:     hidden_global_offset_y
      - .offset:         3264
        .size:           8
        .value_kind:     hidden_global_offset_z
      - .offset:         3272
        .size:           2
        .value_kind:     hidden_grid_dims
    .group_segment_fixed_size: 0
    .kernarg_segment_align: 8
    .kernarg_segment_size: 3464
    .language:       OpenCL C
    .language_version:
      - 2
      - 0
    .max_flat_workgroup_size: 512
    .name:           _ZN2at6native12_GLOBAL__N_125multi_tensor_apply_kernelINS1_28TensorListScalarListMetadataIbLi2EEENS1_25BinaryOpScalarListFunctorIbLi2ELi1ELi1EEEJSt4plusIbEEEEvT_T0_DpT1_
    .private_segment_fixed_size: 0
    .sgpr_count:     24
    .sgpr_spill_count: 0
    .symbol:         _ZN2at6native12_GLOBAL__N_125multi_tensor_apply_kernelINS1_28TensorListScalarListMetadataIbLi2EEENS1_25BinaryOpScalarListFunctorIbLi2ELi1ELi1EEEJSt4plusIbEEEEvT_T0_DpT1_.kd
    .uniform_work_group_size: 1
    .uses_dynamic_stack: false
    .vgpr_count:     30
    .vgpr_spill_count: 0
    .wavefront_size: 32
    .workgroup_processor_mode: 1
  - .args:
      - .offset:         0
        .size:           3392
        .value_kind:     by_value
      - .offset:         3392
        .size:           1
        .value_kind:     by_value
      - .offset:         3393
        .size:           1
        .value_kind:     by_value
      - .offset:         3400
        .size:           4
        .value_kind:     hidden_block_count_x
      - .offset:         3404
        .size:           4
        .value_kind:     hidden_block_count_y
      - .offset:         3408
        .size:           4
        .value_kind:     hidden_block_count_z
      - .offset:         3412
        .size:           2
        .value_kind:     hidden_group_size_x
      - .offset:         3414
        .size:           2
        .value_kind:     hidden_group_size_y
      - .offset:         3416
        .size:           2
        .value_kind:     hidden_group_size_z
      - .offset:         3418
        .size:           2
        .value_kind:     hidden_remainder_x
      - .offset:         3420
        .size:           2
        .value_kind:     hidden_remainder_y
      - .offset:         3422
        .size:           2
        .value_kind:     hidden_remainder_z
      - .offset:         3440
        .size:           8
        .value_kind:     hidden_global_offset_x
      - .offset:         3448
        .size:           8
        .value_kind:     hidden_global_offset_y
      - .offset:         3456
        .size:           8
        .value_kind:     hidden_global_offset_z
      - .offset:         3464
        .size:           2
        .value_kind:     hidden_grid_dims
    .group_segment_fixed_size: 0
    .kernarg_segment_align: 8
    .kernarg_segment_size: 3656
    .language:       OpenCL C
    .language_version:
      - 2
      - 0
    .max_flat_workgroup_size: 512
    .name:           _ZN2at6native12_GLOBAL__N_125multi_tensor_apply_kernelINS1_28TensorListScalarListMetadataIfLi2EEENS1_25BinaryOpScalarListFunctorIN3c104HalfELi2ELi1ELi1EEEJSt4plusIfEEEEvT_T0_DpT1_
    .private_segment_fixed_size: 0
    .sgpr_count:     26
    .sgpr_spill_count: 0
    .symbol:         _ZN2at6native12_GLOBAL__N_125multi_tensor_apply_kernelINS1_28TensorListScalarListMetadataIfLi2EEENS1_25BinaryOpScalarListFunctorIN3c104HalfELi2ELi1ELi1EEEJSt4plusIfEEEEvT_T0_DpT1_.kd
    .uniform_work_group_size: 1
    .uses_dynamic_stack: false
    .vgpr_count:     29
    .vgpr_spill_count: 0
    .wavefront_size: 32
    .workgroup_processor_mode: 1
  - .args:
      - .offset:         0
        .size:           3392
        .value_kind:     by_value
      - .offset:         3392
        .size:           1
        .value_kind:     by_value
      - .offset:         3393
        .size:           1
        .value_kind:     by_value
      - .offset:         3400
        .size:           4
        .value_kind:     hidden_block_count_x
      - .offset:         3404
        .size:           4
        .value_kind:     hidden_block_count_y
      - .offset:         3408
        .size:           4
        .value_kind:     hidden_block_count_z
      - .offset:         3412
        .size:           2
        .value_kind:     hidden_group_size_x
      - .offset:         3414
        .size:           2
        .value_kind:     hidden_group_size_y
      - .offset:         3416
        .size:           2
        .value_kind:     hidden_group_size_z
      - .offset:         3418
        .size:           2
        .value_kind:     hidden_remainder_x
      - .offset:         3420
        .size:           2
        .value_kind:     hidden_remainder_y
      - .offset:         3422
        .size:           2
        .value_kind:     hidden_remainder_z
      - .offset:         3440
        .size:           8
        .value_kind:     hidden_global_offset_x
      - .offset:         3448
        .size:           8
        .value_kind:     hidden_global_offset_y
      - .offset:         3456
        .size:           8
        .value_kind:     hidden_global_offset_z
      - .offset:         3464
        .size:           2
        .value_kind:     hidden_grid_dims
    .group_segment_fixed_size: 0
    .kernarg_segment_align: 8
    .kernarg_segment_size: 3656
    .language:       OpenCL C
    .language_version:
      - 2
      - 0
    .max_flat_workgroup_size: 512
    .name:           _ZN2at6native12_GLOBAL__N_125multi_tensor_apply_kernelINS1_28TensorListScalarListMetadataIfLi2EEENS1_25BinaryOpScalarListFunctorIN3c108BFloat16ELi2ELi1ELi1EEEJSt4plusIfEEEEvT_T0_DpT1_
    .private_segment_fixed_size: 0
    .sgpr_count:     26
    .sgpr_spill_count: 0
    .symbol:         _ZN2at6native12_GLOBAL__N_125multi_tensor_apply_kernelINS1_28TensorListScalarListMetadataIfLi2EEENS1_25BinaryOpScalarListFunctorIN3c108BFloat16ELi2ELi1ELi1EEEJSt4plusIfEEEEvT_T0_DpT1_.kd
    .uniform_work_group_size: 1
    .uses_dynamic_stack: false
    .vgpr_count:     30
    .vgpr_spill_count: 0
    .wavefront_size: 32
    .workgroup_processor_mode: 1
  - .args:
      - .offset:         0
        .size:           3232
        .value_kind:     by_value
      - .offset:         3232
        .size:           1
        .value_kind:     by_value
      - .offset:         3233
        .size:           1
        .value_kind:     by_value
      - .offset:         3240
        .size:           4
        .value_kind:     hidden_block_count_x
      - .offset:         3244
        .size:           4
        .value_kind:     hidden_block_count_y
      - .offset:         3248
        .size:           4
        .value_kind:     hidden_block_count_z
      - .offset:         3252
        .size:           2
        .value_kind:     hidden_group_size_x
      - .offset:         3254
        .size:           2
        .value_kind:     hidden_group_size_y
      - .offset:         3256
        .size:           2
        .value_kind:     hidden_group_size_z
      - .offset:         3258
        .size:           2
        .value_kind:     hidden_remainder_x
      - .offset:         3260
        .size:           2
        .value_kind:     hidden_remainder_y
      - .offset:         3262
        .size:           2
        .value_kind:     hidden_remainder_z
      - .offset:         3280
        .size:           8
        .value_kind:     hidden_global_offset_x
      - .offset:         3288
        .size:           8
        .value_kind:     hidden_global_offset_y
      - .offset:         3296
        .size:           8
        .value_kind:     hidden_global_offset_z
      - .offset:         3304
        .size:           2
        .value_kind:     hidden_grid_dims
    .group_segment_fixed_size: 0
    .kernarg_segment_align: 8
    .kernarg_segment_size: 3496
    .language:       OpenCL C
    .language_version:
      - 2
      - 0
    .max_flat_workgroup_size: 512
    .name:           _ZN2at6native12_GLOBAL__N_125multi_tensor_apply_kernelINS1_28TensorListScalarListMetadataIhLi1EEENS1_25BinaryOpScalarListFunctorIhLi1ELi1ELi0EEEJSt10multipliesIhEEEEvT_T0_DpT1_
    .private_segment_fixed_size: 0
    .sgpr_count:     22
    .sgpr_spill_count: 0
    .symbol:         _ZN2at6native12_GLOBAL__N_125multi_tensor_apply_kernelINS1_28TensorListScalarListMetadataIhLi1EEENS1_25BinaryOpScalarListFunctorIhLi1ELi1ELi0EEEJSt10multipliesIhEEEEvT_T0_DpT1_.kd
    .uniform_work_group_size: 1
    .uses_dynamic_stack: false
    .vgpr_count:     22
    .vgpr_spill_count: 0
    .wavefront_size: 32
    .workgroup_processor_mode: 1
  - .args:
      - .offset:         0
        .size:           3232
        .value_kind:     by_value
      - .offset:         3232
        .size:           1
        .value_kind:     by_value
      - .offset:         3233
        .size:           1
        .value_kind:     by_value
      - .offset:         3240
        .size:           4
        .value_kind:     hidden_block_count_x
      - .offset:         3244
        .size:           4
        .value_kind:     hidden_block_count_y
      - .offset:         3248
        .size:           4
        .value_kind:     hidden_block_count_z
      - .offset:         3252
        .size:           2
        .value_kind:     hidden_group_size_x
      - .offset:         3254
        .size:           2
        .value_kind:     hidden_group_size_y
      - .offset:         3256
        .size:           2
        .value_kind:     hidden_group_size_z
      - .offset:         3258
        .size:           2
        .value_kind:     hidden_remainder_x
      - .offset:         3260
        .size:           2
        .value_kind:     hidden_remainder_y
      - .offset:         3262
        .size:           2
        .value_kind:     hidden_remainder_z
      - .offset:         3280
        .size:           8
        .value_kind:     hidden_global_offset_x
      - .offset:         3288
        .size:           8
        .value_kind:     hidden_global_offset_y
      - .offset:         3296
        .size:           8
        .value_kind:     hidden_global_offset_z
      - .offset:         3304
        .size:           2
        .value_kind:     hidden_grid_dims
    .group_segment_fixed_size: 0
    .kernarg_segment_align: 8
    .kernarg_segment_size: 3496
    .language:       OpenCL C
    .language_version:
      - 2
      - 0
    .max_flat_workgroup_size: 512
    .name:           _ZN2at6native12_GLOBAL__N_125multi_tensor_apply_kernelINS1_28TensorListScalarListMetadataIaLi1EEENS1_25BinaryOpScalarListFunctorIaLi1ELi1ELi0EEEJSt10multipliesIaEEEEvT_T0_DpT1_
    .private_segment_fixed_size: 0
    .sgpr_count:     22
    .sgpr_spill_count: 0
    .symbol:         _ZN2at6native12_GLOBAL__N_125multi_tensor_apply_kernelINS1_28TensorListScalarListMetadataIaLi1EEENS1_25BinaryOpScalarListFunctorIaLi1ELi1ELi0EEEJSt10multipliesIaEEEEvT_T0_DpT1_.kd
    .uniform_work_group_size: 1
    .uses_dynamic_stack: false
    .vgpr_count:     22
    .vgpr_spill_count: 0
    .wavefront_size: 32
    .workgroup_processor_mode: 1
  - .args:
      - .offset:         0
        .size:           3520
        .value_kind:     by_value
      - .offset:         3520
        .size:           1
        .value_kind:     by_value
      - .offset:         3521
        .size:           1
        .value_kind:     by_value
      - .offset:         3528
        .size:           4
        .value_kind:     hidden_block_count_x
      - .offset:         3532
        .size:           4
        .value_kind:     hidden_block_count_y
      - .offset:         3536
        .size:           4
        .value_kind:     hidden_block_count_z
      - .offset:         3540
        .size:           2
        .value_kind:     hidden_group_size_x
      - .offset:         3542
        .size:           2
        .value_kind:     hidden_group_size_y
      - .offset:         3544
        .size:           2
        .value_kind:     hidden_group_size_z
      - .offset:         3546
        .size:           2
        .value_kind:     hidden_remainder_x
      - .offset:         3548
        .size:           2
        .value_kind:     hidden_remainder_y
      - .offset:         3550
        .size:           2
        .value_kind:     hidden_remainder_z
      - .offset:         3568
        .size:           8
        .value_kind:     hidden_global_offset_x
      - .offset:         3576
        .size:           8
        .value_kind:     hidden_global_offset_y
      - .offset:         3584
        .size:           8
        .value_kind:     hidden_global_offset_z
      - .offset:         3592
        .size:           2
        .value_kind:     hidden_grid_dims
    .group_segment_fixed_size: 0
    .kernarg_segment_align: 8
    .kernarg_segment_size: 3784
    .language:       OpenCL C
    .language_version:
      - 2
      - 0
    .max_flat_workgroup_size: 512
    .name:           _ZN2at6native12_GLOBAL__N_125multi_tensor_apply_kernelINS1_28TensorListScalarListMetadataIiLi1EEENS1_25BinaryOpScalarListFunctorIiLi1ELi1ELi0EEEJSt10multipliesIiEEEEvT_T0_DpT1_
    .private_segment_fixed_size: 0
    .sgpr_count:     26
    .sgpr_spill_count: 0
    .symbol:         _ZN2at6native12_GLOBAL__N_125multi_tensor_apply_kernelINS1_28TensorListScalarListMetadataIiLi1EEENS1_25BinaryOpScalarListFunctorIiLi1ELi1ELi0EEEJSt10multipliesIiEEEEvT_T0_DpT1_.kd
    .uniform_work_group_size: 1
    .uses_dynamic_stack: false
    .vgpr_count:     16
    .vgpr_spill_count: 0
    .wavefront_size: 32
    .workgroup_processor_mode: 1
  - .args:
      - .offset:         0
        .size:           3904
        .value_kind:     by_value
      - .offset:         3904
        .size:           1
        .value_kind:     by_value
      - .offset:         3905
        .size:           1
        .value_kind:     by_value
      - .offset:         3912
        .size:           4
        .value_kind:     hidden_block_count_x
      - .offset:         3916
        .size:           4
        .value_kind:     hidden_block_count_y
      - .offset:         3920
        .size:           4
        .value_kind:     hidden_block_count_z
      - .offset:         3924
        .size:           2
        .value_kind:     hidden_group_size_x
      - .offset:         3926
        .size:           2
        .value_kind:     hidden_group_size_y
      - .offset:         3928
        .size:           2
        .value_kind:     hidden_group_size_z
      - .offset:         3930
        .size:           2
        .value_kind:     hidden_remainder_x
      - .offset:         3932
        .size:           2
        .value_kind:     hidden_remainder_y
      - .offset:         3934
        .size:           2
        .value_kind:     hidden_remainder_z
      - .offset:         3952
        .size:           8
        .value_kind:     hidden_global_offset_x
      - .offset:         3960
        .size:           8
        .value_kind:     hidden_global_offset_y
      - .offset:         3968
        .size:           8
        .value_kind:     hidden_global_offset_z
      - .offset:         3976
        .size:           2
        .value_kind:     hidden_grid_dims
    .group_segment_fixed_size: 0
    .kernarg_segment_align: 8
    .kernarg_segment_size: 4168
    .language:       OpenCL C
    .language_version:
      - 2
      - 0
    .max_flat_workgroup_size: 512
    .name:           _ZN2at6native12_GLOBAL__N_125multi_tensor_apply_kernelINS1_28TensorListScalarListMetadataIlLi1EEENS1_25BinaryOpScalarListFunctorIlLi1ELi1ELi0EEEJSt10multipliesIlEEEEvT_T0_DpT1_
    .private_segment_fixed_size: 0
    .sgpr_count:     27
    .sgpr_spill_count: 0
    .symbol:         _ZN2at6native12_GLOBAL__N_125multi_tensor_apply_kernelINS1_28TensorListScalarListMetadataIlLi1EEENS1_25BinaryOpScalarListFunctorIlLi1ELi1ELi0EEEJSt10multipliesIlEEEEvT_T0_DpT1_.kd
    .uniform_work_group_size: 1
    .uses_dynamic_stack: false
    .vgpr_count:     22
    .vgpr_spill_count: 0
    .wavefront_size: 32
    .workgroup_processor_mode: 1
  - .args:
      - .offset:         0
        .size:           3328
        .value_kind:     by_value
      - .offset:         3328
        .size:           1
        .value_kind:     by_value
      - .offset:         3329
        .size:           1
        .value_kind:     by_value
      - .offset:         3336
        .size:           4
        .value_kind:     hidden_block_count_x
      - .offset:         3340
        .size:           4
        .value_kind:     hidden_block_count_y
      - .offset:         3344
        .size:           4
        .value_kind:     hidden_block_count_z
      - .offset:         3348
        .size:           2
        .value_kind:     hidden_group_size_x
      - .offset:         3350
        .size:           2
        .value_kind:     hidden_group_size_y
      - .offset:         3352
        .size:           2
        .value_kind:     hidden_group_size_z
      - .offset:         3354
        .size:           2
        .value_kind:     hidden_remainder_x
      - .offset:         3356
        .size:           2
        .value_kind:     hidden_remainder_y
      - .offset:         3358
        .size:           2
        .value_kind:     hidden_remainder_z
      - .offset:         3376
        .size:           8
        .value_kind:     hidden_global_offset_x
      - .offset:         3384
        .size:           8
        .value_kind:     hidden_global_offset_y
      - .offset:         3392
        .size:           8
        .value_kind:     hidden_global_offset_z
      - .offset:         3400
        .size:           2
        .value_kind:     hidden_grid_dims
    .group_segment_fixed_size: 0
    .kernarg_segment_align: 8
    .kernarg_segment_size: 3592
    .language:       OpenCL C
    .language_version:
      - 2
      - 0
    .max_flat_workgroup_size: 512
    .name:           _ZN2at6native12_GLOBAL__N_125multi_tensor_apply_kernelINS1_28TensorListScalarListMetadataIsLi1EEENS1_25BinaryOpScalarListFunctorIsLi1ELi1ELi0EEEJSt10multipliesIsEEEEvT_T0_DpT1_
    .private_segment_fixed_size: 0
    .sgpr_count:     24
    .sgpr_spill_count: 0
    .symbol:         _ZN2at6native12_GLOBAL__N_125multi_tensor_apply_kernelINS1_28TensorListScalarListMetadataIsLi1EEENS1_25BinaryOpScalarListFunctorIsLi1ELi1ELi0EEEJSt10multipliesIsEEEEvT_T0_DpT1_.kd
    .uniform_work_group_size: 1
    .uses_dynamic_stack: false
    .vgpr_count:     17
    .vgpr_spill_count: 0
    .wavefront_size: 32
    .workgroup_processor_mode: 1
  - .args:
      - .offset:         0
        .size:           3904
        .value_kind:     by_value
      - .offset:         3904
        .size:           1
        .value_kind:     by_value
      - .offset:         3905
        .size:           1
        .value_kind:     by_value
      - .offset:         3912
        .size:           4
        .value_kind:     hidden_block_count_x
      - .offset:         3916
        .size:           4
        .value_kind:     hidden_block_count_y
      - .offset:         3920
        .size:           4
        .value_kind:     hidden_block_count_z
      - .offset:         3924
        .size:           2
        .value_kind:     hidden_group_size_x
      - .offset:         3926
        .size:           2
        .value_kind:     hidden_group_size_y
      - .offset:         3928
        .size:           2
        .value_kind:     hidden_group_size_z
      - .offset:         3930
        .size:           2
        .value_kind:     hidden_remainder_x
      - .offset:         3932
        .size:           2
        .value_kind:     hidden_remainder_y
      - .offset:         3934
        .size:           2
        .value_kind:     hidden_remainder_z
      - .offset:         3952
        .size:           8
        .value_kind:     hidden_global_offset_x
      - .offset:         3960
        .size:           8
        .value_kind:     hidden_global_offset_y
      - .offset:         3968
        .size:           8
        .value_kind:     hidden_global_offset_z
      - .offset:         3976
        .size:           2
        .value_kind:     hidden_grid_dims
    .group_segment_fixed_size: 0
    .kernarg_segment_align: 8
    .kernarg_segment_size: 4168
    .language:       OpenCL C
    .language_version:
      - 2
      - 0
    .max_flat_workgroup_size: 512
    .name:           _ZN2at6native12_GLOBAL__N_125multi_tensor_apply_kernelINS1_28TensorListScalarListMetadataIdLi1EEENS1_25BinaryOpScalarListFunctorIdLi1ELi1ELi0EEEJSt10multipliesIdEEEEvT_T0_DpT1_
    .private_segment_fixed_size: 0
    .sgpr_count:     27
    .sgpr_spill_count: 0
    .symbol:         _ZN2at6native12_GLOBAL__N_125multi_tensor_apply_kernelINS1_28TensorListScalarListMetadataIdLi1EEENS1_25BinaryOpScalarListFunctorIdLi1ELi1ELi0EEEJSt10multipliesIdEEEEvT_T0_DpT1_.kd
    .uniform_work_group_size: 1
    .uses_dynamic_stack: false
    .vgpr_count:     21
    .vgpr_spill_count: 0
    .wavefront_size: 32
    .workgroup_processor_mode: 1
  - .args:
      - .offset:         0
        .size:           3520
        .value_kind:     by_value
      - .offset:         3520
        .size:           1
        .value_kind:     by_value
      - .offset:         3521
        .size:           1
        .value_kind:     by_value
      - .offset:         3528
        .size:           4
        .value_kind:     hidden_block_count_x
      - .offset:         3532
        .size:           4
        .value_kind:     hidden_block_count_y
      - .offset:         3536
        .size:           4
        .value_kind:     hidden_block_count_z
      - .offset:         3540
        .size:           2
        .value_kind:     hidden_group_size_x
      - .offset:         3542
        .size:           2
        .value_kind:     hidden_group_size_y
      - .offset:         3544
        .size:           2
        .value_kind:     hidden_group_size_z
      - .offset:         3546
        .size:           2
        .value_kind:     hidden_remainder_x
      - .offset:         3548
        .size:           2
        .value_kind:     hidden_remainder_y
      - .offset:         3550
        .size:           2
        .value_kind:     hidden_remainder_z
      - .offset:         3568
        .size:           8
        .value_kind:     hidden_global_offset_x
      - .offset:         3576
        .size:           8
        .value_kind:     hidden_global_offset_y
      - .offset:         3584
        .size:           8
        .value_kind:     hidden_global_offset_z
      - .offset:         3592
        .size:           2
        .value_kind:     hidden_grid_dims
    .group_segment_fixed_size: 0
    .kernarg_segment_align: 8
    .kernarg_segment_size: 3784
    .language:       OpenCL C
    .language_version:
      - 2
      - 0
    .max_flat_workgroup_size: 512
    .name:           _ZN2at6native12_GLOBAL__N_125multi_tensor_apply_kernelINS1_28TensorListScalarListMetadataIfLi1EEENS1_25BinaryOpScalarListFunctorIfLi1ELi1ELi0EEEJSt10multipliesIfEEEEvT_T0_DpT1_
    .private_segment_fixed_size: 0
    .sgpr_count:     26
    .sgpr_spill_count: 0
    .symbol:         _ZN2at6native12_GLOBAL__N_125multi_tensor_apply_kernelINS1_28TensorListScalarListMetadataIfLi1EEENS1_25BinaryOpScalarListFunctorIfLi1ELi1ELi0EEEJSt10multipliesIfEEEEvT_T0_DpT1_.kd
    .uniform_work_group_size: 1
    .uses_dynamic_stack: false
    .vgpr_count:     16
    .vgpr_spill_count: 0
    .wavefront_size: 32
    .workgroup_processor_mode: 1
  - .args:
      - .offset:         0
        .size:           3904
        .value_kind:     by_value
      - .offset:         3904
        .size:           1
        .value_kind:     by_value
      - .offset:         3905
        .size:           1
        .value_kind:     by_value
      - .offset:         3912
        .size:           4
        .value_kind:     hidden_block_count_x
      - .offset:         3916
        .size:           4
        .value_kind:     hidden_block_count_y
      - .offset:         3920
        .size:           4
        .value_kind:     hidden_block_count_z
      - .offset:         3924
        .size:           2
        .value_kind:     hidden_group_size_x
      - .offset:         3926
        .size:           2
        .value_kind:     hidden_group_size_y
      - .offset:         3928
        .size:           2
        .value_kind:     hidden_group_size_z
      - .offset:         3930
        .size:           2
        .value_kind:     hidden_remainder_x
      - .offset:         3932
        .size:           2
        .value_kind:     hidden_remainder_y
      - .offset:         3934
        .size:           2
        .value_kind:     hidden_remainder_z
      - .offset:         3952
        .size:           8
        .value_kind:     hidden_global_offset_x
      - .offset:         3960
        .size:           8
        .value_kind:     hidden_global_offset_y
      - .offset:         3968
        .size:           8
        .value_kind:     hidden_global_offset_z
      - .offset:         3976
        .size:           2
        .value_kind:     hidden_grid_dims
    .group_segment_fixed_size: 0
    .kernarg_segment_align: 16
    .kernarg_segment_size: 4168
    .language:       OpenCL C
    .language_version:
      - 2
      - 0
    .max_flat_workgroup_size: 512
    .name:           _ZN2at6native12_GLOBAL__N_125multi_tensor_apply_kernelINS1_28TensorListScalarListMetadataIN3c107complexIdEELi1EEENS1_25BinaryOpScalarListFunctorIS6_Li1ELi1ELi0EEEJSt10multipliesIS6_EEEEvT_T0_DpT1_
    .private_segment_fixed_size: 0
    .sgpr_count:     29
    .sgpr_spill_count: 0
    .symbol:         _ZN2at6native12_GLOBAL__N_125multi_tensor_apply_kernelINS1_28TensorListScalarListMetadataIN3c107complexIdEELi1EEENS1_25BinaryOpScalarListFunctorIS6_Li1ELi1ELi0EEEJSt10multipliesIS6_EEEEvT_T0_DpT1_.kd
    .uniform_work_group_size: 1
    .uses_dynamic_stack: false
    .vgpr_count:     33
    .vgpr_spill_count: 0
    .wavefront_size: 32
    .workgroup_processor_mode: 1
  - .args:
      - .offset:         0
        .size:           3904
        .value_kind:     by_value
      - .offset:         3904
        .size:           1
        .value_kind:     by_value
      - .offset:         3905
        .size:           1
        .value_kind:     by_value
      - .offset:         3912
        .size:           4
        .value_kind:     hidden_block_count_x
      - .offset:         3916
        .size:           4
        .value_kind:     hidden_block_count_y
      - .offset:         3920
        .size:           4
        .value_kind:     hidden_block_count_z
      - .offset:         3924
        .size:           2
        .value_kind:     hidden_group_size_x
      - .offset:         3926
        .size:           2
        .value_kind:     hidden_group_size_y
      - .offset:         3928
        .size:           2
        .value_kind:     hidden_group_size_z
      - .offset:         3930
        .size:           2
        .value_kind:     hidden_remainder_x
      - .offset:         3932
        .size:           2
        .value_kind:     hidden_remainder_y
      - .offset:         3934
        .size:           2
        .value_kind:     hidden_remainder_z
      - .offset:         3952
        .size:           8
        .value_kind:     hidden_global_offset_x
      - .offset:         3960
        .size:           8
        .value_kind:     hidden_global_offset_y
      - .offset:         3968
        .size:           8
        .value_kind:     hidden_global_offset_z
      - .offset:         3976
        .size:           2
        .value_kind:     hidden_grid_dims
    .group_segment_fixed_size: 0
    .kernarg_segment_align: 8
    .kernarg_segment_size: 4168
    .language:       OpenCL C
    .language_version:
      - 2
      - 0
    .max_flat_workgroup_size: 512
    .name:           _ZN2at6native12_GLOBAL__N_125multi_tensor_apply_kernelINS1_28TensorListScalarListMetadataIN3c107complexIfEELi1EEENS1_25BinaryOpScalarListFunctorIS6_Li1ELi1ELi0EEEJSt10multipliesIS6_EEEEvT_T0_DpT1_
    .private_segment_fixed_size: 16
    .sgpr_count:     33
    .sgpr_spill_count: 0
    .symbol:         _ZN2at6native12_GLOBAL__N_125multi_tensor_apply_kernelINS1_28TensorListScalarListMetadataIN3c107complexIfEELi1EEENS1_25BinaryOpScalarListFunctorIS6_Li1ELi1ELi0EEEJSt10multipliesIS6_EEEEvT_T0_DpT1_.kd
    .uniform_work_group_size: 1
    .uses_dynamic_stack: false
    .vgpr_count:     19
    .vgpr_spill_count: 0
    .wavefront_size: 32
    .workgroup_processor_mode: 1
  - .args:
      - .offset:         0
        .size:           3232
        .value_kind:     by_value
      - .offset:         3232
        .size:           1
        .value_kind:     by_value
      - .offset:         3233
        .size:           1
        .value_kind:     by_value
      - .offset:         3240
        .size:           4
        .value_kind:     hidden_block_count_x
      - .offset:         3244
        .size:           4
        .value_kind:     hidden_block_count_y
      - .offset:         3248
        .size:           4
        .value_kind:     hidden_block_count_z
      - .offset:         3252
        .size:           2
        .value_kind:     hidden_group_size_x
      - .offset:         3254
        .size:           2
        .value_kind:     hidden_group_size_y
      - .offset:         3256
        .size:           2
        .value_kind:     hidden_group_size_z
      - .offset:         3258
        .size:           2
        .value_kind:     hidden_remainder_x
      - .offset:         3260
        .size:           2
        .value_kind:     hidden_remainder_y
      - .offset:         3262
        .size:           2
        .value_kind:     hidden_remainder_z
      - .offset:         3280
        .size:           8
        .value_kind:     hidden_global_offset_x
      - .offset:         3288
        .size:           8
        .value_kind:     hidden_global_offset_y
      - .offset:         3296
        .size:           8
        .value_kind:     hidden_global_offset_z
      - .offset:         3304
        .size:           2
        .value_kind:     hidden_grid_dims
    .group_segment_fixed_size: 0
    .kernarg_segment_align: 8
    .kernarg_segment_size: 3496
    .language:       OpenCL C
    .language_version:
      - 2
      - 0
    .max_flat_workgroup_size: 512
    .name:           _ZN2at6native12_GLOBAL__N_125multi_tensor_apply_kernelINS1_28TensorListScalarListMetadataIbLi1EEENS1_25BinaryOpScalarListFunctorIbLi1ELi1ELi0EEEJSt10multipliesIbEEEEvT_T0_DpT1_
    .private_segment_fixed_size: 0
    .sgpr_count:     26
    .sgpr_spill_count: 0
    .symbol:         _ZN2at6native12_GLOBAL__N_125multi_tensor_apply_kernelINS1_28TensorListScalarListMetadataIbLi1EEENS1_25BinaryOpScalarListFunctorIbLi1ELi1ELi0EEEJSt10multipliesIbEEEEvT_T0_DpT1_.kd
    .uniform_work_group_size: 1
    .uses_dynamic_stack: false
    .vgpr_count:     18
    .vgpr_spill_count: 0
    .wavefront_size: 32
    .workgroup_processor_mode: 1
  - .args:
      - .offset:         0
        .size:           3520
        .value_kind:     by_value
      - .offset:         3520
        .size:           1
        .value_kind:     by_value
      - .offset:         3521
        .size:           1
        .value_kind:     by_value
      - .offset:         3528
        .size:           4
        .value_kind:     hidden_block_count_x
      - .offset:         3532
        .size:           4
        .value_kind:     hidden_block_count_y
      - .offset:         3536
        .size:           4
        .value_kind:     hidden_block_count_z
      - .offset:         3540
        .size:           2
        .value_kind:     hidden_group_size_x
      - .offset:         3542
        .size:           2
        .value_kind:     hidden_group_size_y
      - .offset:         3544
        .size:           2
        .value_kind:     hidden_group_size_z
      - .offset:         3546
        .size:           2
        .value_kind:     hidden_remainder_x
      - .offset:         3548
        .size:           2
        .value_kind:     hidden_remainder_y
      - .offset:         3550
        .size:           2
        .value_kind:     hidden_remainder_z
      - .offset:         3568
        .size:           8
        .value_kind:     hidden_global_offset_x
      - .offset:         3576
        .size:           8
        .value_kind:     hidden_global_offset_y
      - .offset:         3584
        .size:           8
        .value_kind:     hidden_global_offset_z
      - .offset:         3592
        .size:           2
        .value_kind:     hidden_grid_dims
    .group_segment_fixed_size: 0
    .kernarg_segment_align: 8
    .kernarg_segment_size: 3784
    .language:       OpenCL C
    .language_version:
      - 2
      - 0
    .max_flat_workgroup_size: 512
    .name:           _ZN2at6native12_GLOBAL__N_125multi_tensor_apply_kernelINS1_28TensorListScalarListMetadataIfLi1EEENS1_25BinaryOpScalarListFunctorIN3c104HalfELi1ELi1ELi0EEEJSt10multipliesIfEEEEvT_T0_DpT1_
    .private_segment_fixed_size: 0
    .sgpr_count:     25
    .sgpr_spill_count: 0
    .symbol:         _ZN2at6native12_GLOBAL__N_125multi_tensor_apply_kernelINS1_28TensorListScalarListMetadataIfLi1EEENS1_25BinaryOpScalarListFunctorIN3c104HalfELi1ELi1ELi0EEEJSt10multipliesIfEEEEvT_T0_DpT1_.kd
    .uniform_work_group_size: 1
    .uses_dynamic_stack: false
    .vgpr_count:     16
    .vgpr_spill_count: 0
    .wavefront_size: 32
    .workgroup_processor_mode: 1
  - .args:
      - .offset:         0
        .size:           3520
        .value_kind:     by_value
      - .offset:         3520
        .size:           1
        .value_kind:     by_value
      - .offset:         3521
        .size:           1
        .value_kind:     by_value
      - .offset:         3528
        .size:           4
        .value_kind:     hidden_block_count_x
      - .offset:         3532
        .size:           4
        .value_kind:     hidden_block_count_y
      - .offset:         3536
        .size:           4
        .value_kind:     hidden_block_count_z
      - .offset:         3540
        .size:           2
        .value_kind:     hidden_group_size_x
      - .offset:         3542
        .size:           2
        .value_kind:     hidden_group_size_y
      - .offset:         3544
        .size:           2
        .value_kind:     hidden_group_size_z
      - .offset:         3546
        .size:           2
        .value_kind:     hidden_remainder_x
      - .offset:         3548
        .size:           2
        .value_kind:     hidden_remainder_y
      - .offset:         3550
        .size:           2
        .value_kind:     hidden_remainder_z
      - .offset:         3568
        .size:           8
        .value_kind:     hidden_global_offset_x
      - .offset:         3576
        .size:           8
        .value_kind:     hidden_global_offset_y
      - .offset:         3584
        .size:           8
        .value_kind:     hidden_global_offset_z
      - .offset:         3592
        .size:           2
        .value_kind:     hidden_grid_dims
    .group_segment_fixed_size: 0
    .kernarg_segment_align: 8
    .kernarg_segment_size: 3784
    .language:       OpenCL C
    .language_version:
      - 2
      - 0
    .max_flat_workgroup_size: 512
    .name:           _ZN2at6native12_GLOBAL__N_125multi_tensor_apply_kernelINS1_28TensorListScalarListMetadataIfLi1EEENS1_25BinaryOpScalarListFunctorIN3c108BFloat16ELi1ELi1ELi0EEEJSt10multipliesIfEEEEvT_T0_DpT1_
    .private_segment_fixed_size: 0
    .sgpr_count:     25
    .sgpr_spill_count: 0
    .symbol:         _ZN2at6native12_GLOBAL__N_125multi_tensor_apply_kernelINS1_28TensorListScalarListMetadataIfLi1EEENS1_25BinaryOpScalarListFunctorIN3c108BFloat16ELi1ELi1ELi0EEEJSt10multipliesIfEEEEvT_T0_DpT1_.kd
    .uniform_work_group_size: 1
    .uses_dynamic_stack: false
    .vgpr_count:     17
    .vgpr_spill_count: 0
    .wavefront_size: 32
    .workgroup_processor_mode: 1
  - .args:
      - .offset:         0
        .size:           3200
        .value_kind:     by_value
      - .offset:         3200
        .size:           1
        .value_kind:     by_value
      - .offset:         3201
        .size:           1
        .value_kind:     by_value
      - .offset:         3208
        .size:           4
        .value_kind:     hidden_block_count_x
      - .offset:         3212
        .size:           4
        .value_kind:     hidden_block_count_y
      - .offset:         3216
        .size:           4
        .value_kind:     hidden_block_count_z
      - .offset:         3220
        .size:           2
        .value_kind:     hidden_group_size_x
      - .offset:         3222
        .size:           2
        .value_kind:     hidden_group_size_y
      - .offset:         3224
        .size:           2
        .value_kind:     hidden_group_size_z
      - .offset:         3226
        .size:           2
        .value_kind:     hidden_remainder_x
      - .offset:         3228
        .size:           2
        .value_kind:     hidden_remainder_y
      - .offset:         3230
        .size:           2
        .value_kind:     hidden_remainder_z
      - .offset:         3248
        .size:           8
        .value_kind:     hidden_global_offset_x
      - .offset:         3256
        .size:           8
        .value_kind:     hidden_global_offset_y
      - .offset:         3264
        .size:           8
        .value_kind:     hidden_global_offset_z
      - .offset:         3272
        .size:           2
        .value_kind:     hidden_grid_dims
    .group_segment_fixed_size: 0
    .kernarg_segment_align: 8
    .kernarg_segment_size: 3464
    .language:       OpenCL C
    .language_version:
      - 2
      - 0
    .max_flat_workgroup_size: 512
    .name:           _ZN2at6native12_GLOBAL__N_125multi_tensor_apply_kernelINS1_28TensorListScalarListMetadataIhLi2EEENS1_25BinaryOpScalarListFunctorIhLi2ELi1ELi1EEEJSt10multipliesIhEEEEvT_T0_DpT1_
    .private_segment_fixed_size: 0
    .sgpr_count:     24
    .sgpr_spill_count: 0
    .symbol:         _ZN2at6native12_GLOBAL__N_125multi_tensor_apply_kernelINS1_28TensorListScalarListMetadataIhLi2EEENS1_25BinaryOpScalarListFunctorIhLi2ELi1ELi1EEEJSt10multipliesIhEEEEvT_T0_DpT1_.kd
    .uniform_work_group_size: 1
    .uses_dynamic_stack: false
    .vgpr_count:     30
    .vgpr_spill_count: 0
    .wavefront_size: 32
    .workgroup_processor_mode: 1
  - .args:
      - .offset:         0
        .size:           3200
        .value_kind:     by_value
      - .offset:         3200
        .size:           1
        .value_kind:     by_value
      - .offset:         3201
        .size:           1
        .value_kind:     by_value
      - .offset:         3208
        .size:           4
        .value_kind:     hidden_block_count_x
      - .offset:         3212
        .size:           4
        .value_kind:     hidden_block_count_y
      - .offset:         3216
        .size:           4
        .value_kind:     hidden_block_count_z
      - .offset:         3220
        .size:           2
        .value_kind:     hidden_group_size_x
      - .offset:         3222
        .size:           2
        .value_kind:     hidden_group_size_y
      - .offset:         3224
        .size:           2
        .value_kind:     hidden_group_size_z
      - .offset:         3226
        .size:           2
        .value_kind:     hidden_remainder_x
      - .offset:         3228
        .size:           2
        .value_kind:     hidden_remainder_y
      - .offset:         3230
        .size:           2
        .value_kind:     hidden_remainder_z
      - .offset:         3248
        .size:           8
        .value_kind:     hidden_global_offset_x
      - .offset:         3256
        .size:           8
        .value_kind:     hidden_global_offset_y
      - .offset:         3264
        .size:           8
        .value_kind:     hidden_global_offset_z
      - .offset:         3272
        .size:           2
        .value_kind:     hidden_grid_dims
    .group_segment_fixed_size: 0
    .kernarg_segment_align: 8
    .kernarg_segment_size: 3464
    .language:       OpenCL C
    .language_version:
      - 2
      - 0
    .max_flat_workgroup_size: 512
    .name:           _ZN2at6native12_GLOBAL__N_125multi_tensor_apply_kernelINS1_28TensorListScalarListMetadataIaLi2EEENS1_25BinaryOpScalarListFunctorIaLi2ELi1ELi1EEEJSt10multipliesIaEEEEvT_T0_DpT1_
    .private_segment_fixed_size: 0
    .sgpr_count:     24
    .sgpr_spill_count: 0
    .symbol:         _ZN2at6native12_GLOBAL__N_125multi_tensor_apply_kernelINS1_28TensorListScalarListMetadataIaLi2EEENS1_25BinaryOpScalarListFunctorIaLi2ELi1ELi1EEEJSt10multipliesIaEEEEvT_T0_DpT1_.kd
    .uniform_work_group_size: 1
    .uses_dynamic_stack: false
    .vgpr_count:     30
    .vgpr_spill_count: 0
    .wavefront_size: 32
    .workgroup_processor_mode: 1
  - .args:
      - .offset:         0
        .size:           3392
        .value_kind:     by_value
      - .offset:         3392
        .size:           1
        .value_kind:     by_value
      - .offset:         3393
        .size:           1
        .value_kind:     by_value
      - .offset:         3400
        .size:           4
        .value_kind:     hidden_block_count_x
      - .offset:         3404
        .size:           4
        .value_kind:     hidden_block_count_y
      - .offset:         3408
        .size:           4
        .value_kind:     hidden_block_count_z
      - .offset:         3412
        .size:           2
        .value_kind:     hidden_group_size_x
      - .offset:         3414
        .size:           2
        .value_kind:     hidden_group_size_y
      - .offset:         3416
        .size:           2
        .value_kind:     hidden_group_size_z
      - .offset:         3418
        .size:           2
        .value_kind:     hidden_remainder_x
      - .offset:         3420
        .size:           2
        .value_kind:     hidden_remainder_y
      - .offset:         3422
        .size:           2
        .value_kind:     hidden_remainder_z
      - .offset:         3440
        .size:           8
        .value_kind:     hidden_global_offset_x
      - .offset:         3448
        .size:           8
        .value_kind:     hidden_global_offset_y
      - .offset:         3456
        .size:           8
        .value_kind:     hidden_global_offset_z
      - .offset:         3464
        .size:           2
        .value_kind:     hidden_grid_dims
    .group_segment_fixed_size: 0
    .kernarg_segment_align: 8
    .kernarg_segment_size: 3656
    .language:       OpenCL C
    .language_version:
      - 2
      - 0
    .max_flat_workgroup_size: 512
    .name:           _ZN2at6native12_GLOBAL__N_125multi_tensor_apply_kernelINS1_28TensorListScalarListMetadataIiLi2EEENS1_25BinaryOpScalarListFunctorIiLi2ELi1ELi1EEEJSt10multipliesIiEEEEvT_T0_DpT1_
    .private_segment_fixed_size: 0
    .sgpr_count:     26
    .sgpr_spill_count: 0
    .symbol:         _ZN2at6native12_GLOBAL__N_125multi_tensor_apply_kernelINS1_28TensorListScalarListMetadataIiLi2EEENS1_25BinaryOpScalarListFunctorIiLi2ELi1ELi1EEEJSt10multipliesIiEEEEvT_T0_DpT1_.kd
    .uniform_work_group_size: 1
    .uses_dynamic_stack: false
    .vgpr_count:     29
    .vgpr_spill_count: 0
    .wavefront_size: 32
    .workgroup_processor_mode: 1
  - .args:
      - .offset:         0
        .size:           3648
        .value_kind:     by_value
      - .offset:         3648
        .size:           1
        .value_kind:     by_value
      - .offset:         3649
        .size:           1
        .value_kind:     by_value
      - .offset:         3656
        .size:           4
        .value_kind:     hidden_block_count_x
      - .offset:         3660
        .size:           4
        .value_kind:     hidden_block_count_y
      - .offset:         3664
        .size:           4
        .value_kind:     hidden_block_count_z
      - .offset:         3668
        .size:           2
        .value_kind:     hidden_group_size_x
      - .offset:         3670
        .size:           2
        .value_kind:     hidden_group_size_y
      - .offset:         3672
        .size:           2
        .value_kind:     hidden_group_size_z
      - .offset:         3674
        .size:           2
        .value_kind:     hidden_remainder_x
      - .offset:         3676
        .size:           2
        .value_kind:     hidden_remainder_y
      - .offset:         3678
        .size:           2
        .value_kind:     hidden_remainder_z
      - .offset:         3696
        .size:           8
        .value_kind:     hidden_global_offset_x
      - .offset:         3704
        .size:           8
        .value_kind:     hidden_global_offset_y
      - .offset:         3712
        .size:           8
        .value_kind:     hidden_global_offset_z
      - .offset:         3720
        .size:           2
        .value_kind:     hidden_grid_dims
    .group_segment_fixed_size: 0
    .kernarg_segment_align: 8
    .kernarg_segment_size: 3912
    .language:       OpenCL C
    .language_version:
      - 2
      - 0
    .max_flat_workgroup_size: 512
    .name:           _ZN2at6native12_GLOBAL__N_125multi_tensor_apply_kernelINS1_28TensorListScalarListMetadataIlLi2EEENS1_25BinaryOpScalarListFunctorIlLi2ELi1ELi1EEEJSt10multipliesIlEEEEvT_T0_DpT1_
    .private_segment_fixed_size: 0
    .sgpr_count:     27
    .sgpr_spill_count: 0
    .symbol:         _ZN2at6native12_GLOBAL__N_125multi_tensor_apply_kernelINS1_28TensorListScalarListMetadataIlLi2EEENS1_25BinaryOpScalarListFunctorIlLi2ELi1ELi1EEEJSt10multipliesIlEEEEvT_T0_DpT1_.kd
    .uniform_work_group_size: 1
    .uses_dynamic_stack: false
    .vgpr_count:     35
    .vgpr_spill_count: 0
    .wavefront_size: 32
    .workgroup_processor_mode: 1
  - .args:
      - .offset:         0
        .size:           3264
        .value_kind:     by_value
      - .offset:         3264
        .size:           1
        .value_kind:     by_value
      - .offset:         3265
        .size:           1
        .value_kind:     by_value
      - .offset:         3272
        .size:           4
        .value_kind:     hidden_block_count_x
      - .offset:         3276
        .size:           4
        .value_kind:     hidden_block_count_y
      - .offset:         3280
        .size:           4
        .value_kind:     hidden_block_count_z
      - .offset:         3284
        .size:           2
        .value_kind:     hidden_group_size_x
      - .offset:         3286
        .size:           2
        .value_kind:     hidden_group_size_y
      - .offset:         3288
        .size:           2
        .value_kind:     hidden_group_size_z
      - .offset:         3290
        .size:           2
        .value_kind:     hidden_remainder_x
      - .offset:         3292
        .size:           2
        .value_kind:     hidden_remainder_y
      - .offset:         3294
        .size:           2
        .value_kind:     hidden_remainder_z
      - .offset:         3312
        .size:           8
        .value_kind:     hidden_global_offset_x
      - .offset:         3320
        .size:           8
        .value_kind:     hidden_global_offset_y
      - .offset:         3328
        .size:           8
        .value_kind:     hidden_global_offset_z
      - .offset:         3336
        .size:           2
        .value_kind:     hidden_grid_dims
    .group_segment_fixed_size: 0
    .kernarg_segment_align: 8
    .kernarg_segment_size: 3528
    .language:       OpenCL C
    .language_version:
      - 2
      - 0
    .max_flat_workgroup_size: 512
    .name:           _ZN2at6native12_GLOBAL__N_125multi_tensor_apply_kernelINS1_28TensorListScalarListMetadataIsLi2EEENS1_25BinaryOpScalarListFunctorIsLi2ELi1ELi1EEEJSt10multipliesIsEEEEvT_T0_DpT1_
    .private_segment_fixed_size: 0
    .sgpr_count:     25
    .sgpr_spill_count: 0
    .symbol:         _ZN2at6native12_GLOBAL__N_125multi_tensor_apply_kernelINS1_28TensorListScalarListMetadataIsLi2EEENS1_25BinaryOpScalarListFunctorIsLi2ELi1ELi1EEEJSt10multipliesIsEEEEvT_T0_DpT1_.kd
    .uniform_work_group_size: 1
    .uses_dynamic_stack: false
    .vgpr_count:     30
    .vgpr_spill_count: 0
    .wavefront_size: 32
    .workgroup_processor_mode: 1
  - .args:
      - .offset:         0
        .size:           3648
        .value_kind:     by_value
      - .offset:         3648
        .size:           1
        .value_kind:     by_value
      - .offset:         3649
        .size:           1
        .value_kind:     by_value
      - .offset:         3656
        .size:           4
        .value_kind:     hidden_block_count_x
      - .offset:         3660
        .size:           4
        .value_kind:     hidden_block_count_y
      - .offset:         3664
        .size:           4
        .value_kind:     hidden_block_count_z
      - .offset:         3668
        .size:           2
        .value_kind:     hidden_group_size_x
      - .offset:         3670
        .size:           2
        .value_kind:     hidden_group_size_y
      - .offset:         3672
        .size:           2
        .value_kind:     hidden_group_size_z
      - .offset:         3674
        .size:           2
        .value_kind:     hidden_remainder_x
      - .offset:         3676
        .size:           2
        .value_kind:     hidden_remainder_y
      - .offset:         3678
        .size:           2
        .value_kind:     hidden_remainder_z
      - .offset:         3696
        .size:           8
        .value_kind:     hidden_global_offset_x
      - .offset:         3704
        .size:           8
        .value_kind:     hidden_global_offset_y
      - .offset:         3712
        .size:           8
        .value_kind:     hidden_global_offset_z
      - .offset:         3720
        .size:           2
        .value_kind:     hidden_grid_dims
    .group_segment_fixed_size: 0
    .kernarg_segment_align: 8
    .kernarg_segment_size: 3912
    .language:       OpenCL C
    .language_version:
      - 2
      - 0
    .max_flat_workgroup_size: 512
    .name:           _ZN2at6native12_GLOBAL__N_125multi_tensor_apply_kernelINS1_28TensorListScalarListMetadataIdLi2EEENS1_25BinaryOpScalarListFunctorIdLi2ELi1ELi1EEEJSt10multipliesIdEEEEvT_T0_DpT1_
    .private_segment_fixed_size: 0
    .sgpr_count:     27
    .sgpr_spill_count: 0
    .symbol:         _ZN2at6native12_GLOBAL__N_125multi_tensor_apply_kernelINS1_28TensorListScalarListMetadataIdLi2EEENS1_25BinaryOpScalarListFunctorIdLi2ELi1ELi1EEEJSt10multipliesIdEEEEvT_T0_DpT1_.kd
    .uniform_work_group_size: 1
    .uses_dynamic_stack: false
    .vgpr_count:     33
    .vgpr_spill_count: 0
    .wavefront_size: 32
    .workgroup_processor_mode: 1
  - .args:
      - .offset:         0
        .size:           3392
        .value_kind:     by_value
      - .offset:         3392
        .size:           1
        .value_kind:     by_value
      - .offset:         3393
        .size:           1
        .value_kind:     by_value
      - .offset:         3400
        .size:           4
        .value_kind:     hidden_block_count_x
      - .offset:         3404
        .size:           4
        .value_kind:     hidden_block_count_y
      - .offset:         3408
        .size:           4
        .value_kind:     hidden_block_count_z
      - .offset:         3412
        .size:           2
        .value_kind:     hidden_group_size_x
      - .offset:         3414
        .size:           2
        .value_kind:     hidden_group_size_y
      - .offset:         3416
        .size:           2
        .value_kind:     hidden_group_size_z
      - .offset:         3418
        .size:           2
        .value_kind:     hidden_remainder_x
      - .offset:         3420
        .size:           2
        .value_kind:     hidden_remainder_y
      - .offset:         3422
        .size:           2
        .value_kind:     hidden_remainder_z
      - .offset:         3440
        .size:           8
        .value_kind:     hidden_global_offset_x
      - .offset:         3448
        .size:           8
        .value_kind:     hidden_global_offset_y
      - .offset:         3456
        .size:           8
        .value_kind:     hidden_global_offset_z
      - .offset:         3464
        .size:           2
        .value_kind:     hidden_grid_dims
    .group_segment_fixed_size: 0
    .kernarg_segment_align: 8
    .kernarg_segment_size: 3656
    .language:       OpenCL C
    .language_version:
      - 2
      - 0
    .max_flat_workgroup_size: 512
    .name:           _ZN2at6native12_GLOBAL__N_125multi_tensor_apply_kernelINS1_28TensorListScalarListMetadataIfLi2EEENS1_25BinaryOpScalarListFunctorIfLi2ELi1ELi1EEEJSt10multipliesIfEEEEvT_T0_DpT1_
    .private_segment_fixed_size: 0
    .sgpr_count:     26
    .sgpr_spill_count: 0
    .symbol:         _ZN2at6native12_GLOBAL__N_125multi_tensor_apply_kernelINS1_28TensorListScalarListMetadataIfLi2EEENS1_25BinaryOpScalarListFunctorIfLi2ELi1ELi1EEEJSt10multipliesIfEEEEvT_T0_DpT1_.kd
    .uniform_work_group_size: 1
    .uses_dynamic_stack: false
    .vgpr_count:     29
    .vgpr_spill_count: 0
    .wavefront_size: 32
    .workgroup_processor_mode: 1
  - .args:
      - .offset:         0
        .size:           4000
        .value_kind:     by_value
      - .offset:         4000
        .size:           1
        .value_kind:     by_value
      - .offset:         4001
        .size:           1
        .value_kind:     by_value
      - .offset:         4008
        .size:           4
        .value_kind:     hidden_block_count_x
      - .offset:         4012
        .size:           4
        .value_kind:     hidden_block_count_y
      - .offset:         4016
        .size:           4
        .value_kind:     hidden_block_count_z
      - .offset:         4020
        .size:           2
        .value_kind:     hidden_group_size_x
      - .offset:         4022
        .size:           2
        .value_kind:     hidden_group_size_y
      - .offset:         4024
        .size:           2
        .value_kind:     hidden_group_size_z
      - .offset:         4026
        .size:           2
        .value_kind:     hidden_remainder_x
      - .offset:         4028
        .size:           2
        .value_kind:     hidden_remainder_y
      - .offset:         4030
        .size:           2
        .value_kind:     hidden_remainder_z
      - .offset:         4048
        .size:           8
        .value_kind:     hidden_global_offset_x
      - .offset:         4056
        .size:           8
        .value_kind:     hidden_global_offset_y
      - .offset:         4064
        .size:           8
        .value_kind:     hidden_global_offset_z
      - .offset:         4072
        .size:           2
        .value_kind:     hidden_grid_dims
    .group_segment_fixed_size: 0
    .kernarg_segment_align: 16
    .kernarg_segment_size: 4264
    .language:       OpenCL C
    .language_version:
      - 2
      - 0
    .max_flat_workgroup_size: 512
    .name:           _ZN2at6native12_GLOBAL__N_125multi_tensor_apply_kernelINS1_28TensorListScalarListMetadataIN3c107complexIdEELi2EEENS1_25BinaryOpScalarListFunctorIS6_Li2ELi1ELi1EEEJSt10multipliesIS6_EEEEvT_T0_DpT1_
    .private_segment_fixed_size: 0
    .sgpr_count:     29
    .sgpr_spill_count: 0
    .symbol:         _ZN2at6native12_GLOBAL__N_125multi_tensor_apply_kernelINS1_28TensorListScalarListMetadataIN3c107complexIdEELi2EEENS1_25BinaryOpScalarListFunctorIS6_Li2ELi1ELi1EEEJSt10multipliesIS6_EEEEvT_T0_DpT1_.kd
    .uniform_work_group_size: 1
    .uses_dynamic_stack: false
    .vgpr_count:     29
    .vgpr_spill_count: 0
    .wavefront_size: 32
    .workgroup_processor_mode: 1
  - .args:
      - .offset:         0
        .size:           3648
        .value_kind:     by_value
      - .offset:         3648
        .size:           1
        .value_kind:     by_value
      - .offset:         3649
        .size:           1
        .value_kind:     by_value
      - .offset:         3656
        .size:           4
        .value_kind:     hidden_block_count_x
      - .offset:         3660
        .size:           4
        .value_kind:     hidden_block_count_y
      - .offset:         3664
        .size:           4
        .value_kind:     hidden_block_count_z
      - .offset:         3668
        .size:           2
        .value_kind:     hidden_group_size_x
      - .offset:         3670
        .size:           2
        .value_kind:     hidden_group_size_y
      - .offset:         3672
        .size:           2
        .value_kind:     hidden_group_size_z
      - .offset:         3674
        .size:           2
        .value_kind:     hidden_remainder_x
      - .offset:         3676
        .size:           2
        .value_kind:     hidden_remainder_y
      - .offset:         3678
        .size:           2
        .value_kind:     hidden_remainder_z
      - .offset:         3696
        .size:           8
        .value_kind:     hidden_global_offset_x
      - .offset:         3704
        .size:           8
        .value_kind:     hidden_global_offset_y
      - .offset:         3712
        .size:           8
        .value_kind:     hidden_global_offset_z
      - .offset:         3720
        .size:           2
        .value_kind:     hidden_grid_dims
    .group_segment_fixed_size: 0
    .kernarg_segment_align: 8
    .kernarg_segment_size: 3912
    .language:       OpenCL C
    .language_version:
      - 2
      - 0
    .max_flat_workgroup_size: 512
    .name:           _ZN2at6native12_GLOBAL__N_125multi_tensor_apply_kernelINS1_28TensorListScalarListMetadataIN3c107complexIfEELi2EEENS1_25BinaryOpScalarListFunctorIS6_Li2ELi1ELi1EEEJSt10multipliesIS6_EEEEvT_T0_DpT1_
    .private_segment_fixed_size: 16
    .sgpr_count:     31
    .sgpr_spill_count: 0
    .symbol:         _ZN2at6native12_GLOBAL__N_125multi_tensor_apply_kernelINS1_28TensorListScalarListMetadataIN3c107complexIfEELi2EEENS1_25BinaryOpScalarListFunctorIS6_Li2ELi1ELi1EEEJSt10multipliesIS6_EEEEvT_T0_DpT1_.kd
    .uniform_work_group_size: 1
    .uses_dynamic_stack: false
    .vgpr_count:     20
    .vgpr_spill_count: 0
    .wavefront_size: 32
    .workgroup_processor_mode: 1
  - .args:
      - .offset:         0
        .size:           3200
        .value_kind:     by_value
      - .offset:         3200
        .size:           1
        .value_kind:     by_value
      - .offset:         3201
        .size:           1
        .value_kind:     by_value
      - .offset:         3208
        .size:           4
        .value_kind:     hidden_block_count_x
      - .offset:         3212
        .size:           4
        .value_kind:     hidden_block_count_y
      - .offset:         3216
        .size:           4
        .value_kind:     hidden_block_count_z
      - .offset:         3220
        .size:           2
        .value_kind:     hidden_group_size_x
      - .offset:         3222
        .size:           2
        .value_kind:     hidden_group_size_y
      - .offset:         3224
        .size:           2
        .value_kind:     hidden_group_size_z
      - .offset:         3226
        .size:           2
        .value_kind:     hidden_remainder_x
      - .offset:         3228
        .size:           2
        .value_kind:     hidden_remainder_y
      - .offset:         3230
        .size:           2
        .value_kind:     hidden_remainder_z
      - .offset:         3248
        .size:           8
        .value_kind:     hidden_global_offset_x
      - .offset:         3256
        .size:           8
        .value_kind:     hidden_global_offset_y
      - .offset:         3264
        .size:           8
        .value_kind:     hidden_global_offset_z
      - .offset:         3272
        .size:           2
        .value_kind:     hidden_grid_dims
    .group_segment_fixed_size: 0
    .kernarg_segment_align: 8
    .kernarg_segment_size: 3464
    .language:       OpenCL C
    .language_version:
      - 2
      - 0
    .max_flat_workgroup_size: 512
    .name:           _ZN2at6native12_GLOBAL__N_125multi_tensor_apply_kernelINS1_28TensorListScalarListMetadataIbLi2EEENS1_25BinaryOpScalarListFunctorIbLi2ELi1ELi1EEEJSt10multipliesIbEEEEvT_T0_DpT1_
    .private_segment_fixed_size: 0
    .sgpr_count:     28
    .sgpr_spill_count: 0
    .symbol:         _ZN2at6native12_GLOBAL__N_125multi_tensor_apply_kernelINS1_28TensorListScalarListMetadataIbLi2EEENS1_25BinaryOpScalarListFunctorIbLi2ELi1ELi1EEEJSt10multipliesIbEEEEvT_T0_DpT1_.kd
    .uniform_work_group_size: 1
    .uses_dynamic_stack: false
    .vgpr_count:     26
    .vgpr_spill_count: 0
    .wavefront_size: 32
    .workgroup_processor_mode: 1
  - .args:
      - .offset:         0
        .size:           3392
        .value_kind:     by_value
      - .offset:         3392
        .size:           1
        .value_kind:     by_value
      - .offset:         3393
        .size:           1
        .value_kind:     by_value
      - .offset:         3400
        .size:           4
        .value_kind:     hidden_block_count_x
      - .offset:         3404
        .size:           4
        .value_kind:     hidden_block_count_y
      - .offset:         3408
        .size:           4
        .value_kind:     hidden_block_count_z
      - .offset:         3412
        .size:           2
        .value_kind:     hidden_group_size_x
      - .offset:         3414
        .size:           2
        .value_kind:     hidden_group_size_y
      - .offset:         3416
        .size:           2
        .value_kind:     hidden_group_size_z
      - .offset:         3418
        .size:           2
        .value_kind:     hidden_remainder_x
      - .offset:         3420
        .size:           2
        .value_kind:     hidden_remainder_y
      - .offset:         3422
        .size:           2
        .value_kind:     hidden_remainder_z
      - .offset:         3440
        .size:           8
        .value_kind:     hidden_global_offset_x
      - .offset:         3448
        .size:           8
        .value_kind:     hidden_global_offset_y
      - .offset:         3456
        .size:           8
        .value_kind:     hidden_global_offset_z
      - .offset:         3464
        .size:           2
        .value_kind:     hidden_grid_dims
    .group_segment_fixed_size: 0
    .kernarg_segment_align: 8
    .kernarg_segment_size: 3656
    .language:       OpenCL C
    .language_version:
      - 2
      - 0
    .max_flat_workgroup_size: 512
    .name:           _ZN2at6native12_GLOBAL__N_125multi_tensor_apply_kernelINS1_28TensorListScalarListMetadataIfLi2EEENS1_25BinaryOpScalarListFunctorIN3c104HalfELi2ELi1ELi1EEEJSt10multipliesIfEEEEvT_T0_DpT1_
    .private_segment_fixed_size: 0
    .sgpr_count:     26
    .sgpr_spill_count: 0
    .symbol:         _ZN2at6native12_GLOBAL__N_125multi_tensor_apply_kernelINS1_28TensorListScalarListMetadataIfLi2EEENS1_25BinaryOpScalarListFunctorIN3c104HalfELi2ELi1ELi1EEEJSt10multipliesIfEEEEvT_T0_DpT1_.kd
    .uniform_work_group_size: 1
    .uses_dynamic_stack: false
    .vgpr_count:     29
    .vgpr_spill_count: 0
    .wavefront_size: 32
    .workgroup_processor_mode: 1
  - .args:
      - .offset:         0
        .size:           3392
        .value_kind:     by_value
      - .offset:         3392
        .size:           1
        .value_kind:     by_value
      - .offset:         3393
        .size:           1
        .value_kind:     by_value
      - .offset:         3400
        .size:           4
        .value_kind:     hidden_block_count_x
      - .offset:         3404
        .size:           4
        .value_kind:     hidden_block_count_y
      - .offset:         3408
        .size:           4
        .value_kind:     hidden_block_count_z
      - .offset:         3412
        .size:           2
        .value_kind:     hidden_group_size_x
      - .offset:         3414
        .size:           2
        .value_kind:     hidden_group_size_y
      - .offset:         3416
        .size:           2
        .value_kind:     hidden_group_size_z
      - .offset:         3418
        .size:           2
        .value_kind:     hidden_remainder_x
      - .offset:         3420
        .size:           2
        .value_kind:     hidden_remainder_y
      - .offset:         3422
        .size:           2
        .value_kind:     hidden_remainder_z
      - .offset:         3440
        .size:           8
        .value_kind:     hidden_global_offset_x
      - .offset:         3448
        .size:           8
        .value_kind:     hidden_global_offset_y
      - .offset:         3456
        .size:           8
        .value_kind:     hidden_global_offset_z
      - .offset:         3464
        .size:           2
        .value_kind:     hidden_grid_dims
    .group_segment_fixed_size: 0
    .kernarg_segment_align: 8
    .kernarg_segment_size: 3656
    .language:       OpenCL C
    .language_version:
      - 2
      - 0
    .max_flat_workgroup_size: 512
    .name:           _ZN2at6native12_GLOBAL__N_125multi_tensor_apply_kernelINS1_28TensorListScalarListMetadataIfLi2EEENS1_25BinaryOpScalarListFunctorIN3c108BFloat16ELi2ELi1ELi1EEEJSt10multipliesIfEEEEvT_T0_DpT1_
    .private_segment_fixed_size: 0
    .sgpr_count:     26
    .sgpr_spill_count: 0
    .symbol:         _ZN2at6native12_GLOBAL__N_125multi_tensor_apply_kernelINS1_28TensorListScalarListMetadataIfLi2EEENS1_25BinaryOpScalarListFunctorIN3c108BFloat16ELi2ELi1ELi1EEEJSt10multipliesIfEEEEvT_T0_DpT1_.kd
    .uniform_work_group_size: 1
    .uses_dynamic_stack: false
    .vgpr_count:     30
    .vgpr_spill_count: 0
    .wavefront_size: 32
    .workgroup_processor_mode: 1
  - .args:
      - .offset:         0
        .size:           3232
        .value_kind:     by_value
      - .offset:         3232
        .size:           1
        .value_kind:     by_value
      - .offset:         3233
        .size:           1
        .value_kind:     by_value
      - .offset:         3240
        .size:           4
        .value_kind:     hidden_block_count_x
      - .offset:         3244
        .size:           4
        .value_kind:     hidden_block_count_y
      - .offset:         3248
        .size:           4
        .value_kind:     hidden_block_count_z
      - .offset:         3252
        .size:           2
        .value_kind:     hidden_group_size_x
      - .offset:         3254
        .size:           2
        .value_kind:     hidden_group_size_y
      - .offset:         3256
        .size:           2
        .value_kind:     hidden_group_size_z
      - .offset:         3258
        .size:           2
        .value_kind:     hidden_remainder_x
      - .offset:         3260
        .size:           2
        .value_kind:     hidden_remainder_y
      - .offset:         3262
        .size:           2
        .value_kind:     hidden_remainder_z
      - .offset:         3280
        .size:           8
        .value_kind:     hidden_global_offset_x
      - .offset:         3288
        .size:           8
        .value_kind:     hidden_global_offset_y
      - .offset:         3296
        .size:           8
        .value_kind:     hidden_global_offset_z
      - .offset:         3304
        .size:           2
        .value_kind:     hidden_grid_dims
    .group_segment_fixed_size: 0
    .kernarg_segment_align: 8
    .kernarg_segment_size: 3496
    .language:       OpenCL C
    .language_version:
      - 2
      - 0
    .max_flat_workgroup_size: 512
    .name:           _ZN2at6native12_GLOBAL__N_125multi_tensor_apply_kernelINS1_28TensorListScalarListMetadataIhLi1EEENS1_25BinaryOpScalarListFunctorIhLi1ELi1ELi0EEEJSt7dividesIhEEEEvT_T0_DpT1_
    .private_segment_fixed_size: 0
    .sgpr_count:     22
    .sgpr_spill_count: 0
    .symbol:         _ZN2at6native12_GLOBAL__N_125multi_tensor_apply_kernelINS1_28TensorListScalarListMetadataIhLi1EEENS1_25BinaryOpScalarListFunctorIhLi1ELi1ELi0EEEJSt7dividesIhEEEEvT_T0_DpT1_.kd
    .uniform_work_group_size: 1
    .uses_dynamic_stack: false
    .vgpr_count:     25
    .vgpr_spill_count: 0
    .wavefront_size: 32
    .workgroup_processor_mode: 1
  - .args:
      - .offset:         0
        .size:           3232
        .value_kind:     by_value
      - .offset:         3232
        .size:           1
        .value_kind:     by_value
      - .offset:         3233
        .size:           1
        .value_kind:     by_value
      - .offset:         3240
        .size:           4
        .value_kind:     hidden_block_count_x
      - .offset:         3244
        .size:           4
        .value_kind:     hidden_block_count_y
      - .offset:         3248
        .size:           4
        .value_kind:     hidden_block_count_z
      - .offset:         3252
        .size:           2
        .value_kind:     hidden_group_size_x
      - .offset:         3254
        .size:           2
        .value_kind:     hidden_group_size_y
      - .offset:         3256
        .size:           2
        .value_kind:     hidden_group_size_z
      - .offset:         3258
        .size:           2
        .value_kind:     hidden_remainder_x
      - .offset:         3260
        .size:           2
        .value_kind:     hidden_remainder_y
      - .offset:         3262
        .size:           2
        .value_kind:     hidden_remainder_z
      - .offset:         3280
        .size:           8
        .value_kind:     hidden_global_offset_x
      - .offset:         3288
        .size:           8
        .value_kind:     hidden_global_offset_y
      - .offset:         3296
        .size:           8
        .value_kind:     hidden_global_offset_z
      - .offset:         3304
        .size:           2
        .value_kind:     hidden_grid_dims
    .group_segment_fixed_size: 0
    .kernarg_segment_align: 8
    .kernarg_segment_size: 3496
    .language:       OpenCL C
    .language_version:
      - 2
      - 0
    .max_flat_workgroup_size: 512
    .name:           _ZN2at6native12_GLOBAL__N_125multi_tensor_apply_kernelINS1_28TensorListScalarListMetadataIaLi1EEENS1_25BinaryOpScalarListFunctorIaLi1ELi1ELi0EEEJSt7dividesIaEEEEvT_T0_DpT1_
    .private_segment_fixed_size: 0
    .sgpr_count:     22
    .sgpr_spill_count: 0
    .symbol:         _ZN2at6native12_GLOBAL__N_125multi_tensor_apply_kernelINS1_28TensorListScalarListMetadataIaLi1EEENS1_25BinaryOpScalarListFunctorIaLi1ELi1ELi0EEEJSt7dividesIaEEEEvT_T0_DpT1_.kd
    .uniform_work_group_size: 1
    .uses_dynamic_stack: false
    .vgpr_count:     25
    .vgpr_spill_count: 0
    .wavefront_size: 32
    .workgroup_processor_mode: 1
  - .args:
      - .offset:         0
        .size:           3520
        .value_kind:     by_value
      - .offset:         3520
        .size:           1
        .value_kind:     by_value
      - .offset:         3521
        .size:           1
        .value_kind:     by_value
      - .offset:         3528
        .size:           4
        .value_kind:     hidden_block_count_x
      - .offset:         3532
        .size:           4
        .value_kind:     hidden_block_count_y
      - .offset:         3536
        .size:           4
        .value_kind:     hidden_block_count_z
      - .offset:         3540
        .size:           2
        .value_kind:     hidden_group_size_x
      - .offset:         3542
        .size:           2
        .value_kind:     hidden_group_size_y
      - .offset:         3544
        .size:           2
        .value_kind:     hidden_group_size_z
      - .offset:         3546
        .size:           2
        .value_kind:     hidden_remainder_x
      - .offset:         3548
        .size:           2
        .value_kind:     hidden_remainder_y
      - .offset:         3550
        .size:           2
        .value_kind:     hidden_remainder_z
      - .offset:         3568
        .size:           8
        .value_kind:     hidden_global_offset_x
      - .offset:         3576
        .size:           8
        .value_kind:     hidden_global_offset_y
      - .offset:         3584
        .size:           8
        .value_kind:     hidden_global_offset_z
      - .offset:         3592
        .size:           2
        .value_kind:     hidden_grid_dims
    .group_segment_fixed_size: 0
    .kernarg_segment_align: 8
    .kernarg_segment_size: 3784
    .language:       OpenCL C
    .language_version:
      - 2
      - 0
    .max_flat_workgroup_size: 512
    .name:           _ZN2at6native12_GLOBAL__N_125multi_tensor_apply_kernelINS1_28TensorListScalarListMetadataIiLi1EEENS1_25BinaryOpScalarListFunctorIiLi1ELi1ELi0EEEJSt7dividesIiEEEEvT_T0_DpT1_
    .private_segment_fixed_size: 0
    .sgpr_count:     28
    .sgpr_spill_count: 0
    .symbol:         _ZN2at6native12_GLOBAL__N_125multi_tensor_apply_kernelINS1_28TensorListScalarListMetadataIiLi1EEENS1_25BinaryOpScalarListFunctorIiLi1ELi1ELi0EEEJSt7dividesIiEEEEvT_T0_DpT1_.kd
    .uniform_work_group_size: 1
    .uses_dynamic_stack: false
    .vgpr_count:     24
    .vgpr_spill_count: 0
    .wavefront_size: 32
    .workgroup_processor_mode: 1
  - .args:
      - .offset:         0
        .size:           3904
        .value_kind:     by_value
      - .offset:         3904
        .size:           1
        .value_kind:     by_value
      - .offset:         3905
        .size:           1
        .value_kind:     by_value
      - .offset:         3912
        .size:           4
        .value_kind:     hidden_block_count_x
      - .offset:         3916
        .size:           4
        .value_kind:     hidden_block_count_y
      - .offset:         3920
        .size:           4
        .value_kind:     hidden_block_count_z
      - .offset:         3924
        .size:           2
        .value_kind:     hidden_group_size_x
      - .offset:         3926
        .size:           2
        .value_kind:     hidden_group_size_y
      - .offset:         3928
        .size:           2
        .value_kind:     hidden_group_size_z
      - .offset:         3930
        .size:           2
        .value_kind:     hidden_remainder_x
      - .offset:         3932
        .size:           2
        .value_kind:     hidden_remainder_y
      - .offset:         3934
        .size:           2
        .value_kind:     hidden_remainder_z
      - .offset:         3952
        .size:           8
        .value_kind:     hidden_global_offset_x
      - .offset:         3960
        .size:           8
        .value_kind:     hidden_global_offset_y
      - .offset:         3968
        .size:           8
        .value_kind:     hidden_global_offset_z
      - .offset:         3976
        .size:           2
        .value_kind:     hidden_grid_dims
    .group_segment_fixed_size: 0
    .kernarg_segment_align: 8
    .kernarg_segment_size: 4168
    .language:       OpenCL C
    .language_version:
      - 2
      - 0
    .max_flat_workgroup_size: 512
    .name:           _ZN2at6native12_GLOBAL__N_125multi_tensor_apply_kernelINS1_28TensorListScalarListMetadataIlLi1EEENS1_25BinaryOpScalarListFunctorIlLi1ELi1ELi0EEEJSt7dividesIlEEEEvT_T0_DpT1_
    .private_segment_fixed_size: 0
    .sgpr_count:     43
    .sgpr_spill_count: 0
    .symbol:         _ZN2at6native12_GLOBAL__N_125multi_tensor_apply_kernelINS1_28TensorListScalarListMetadataIlLi1EEENS1_25BinaryOpScalarListFunctorIlLi1ELi1ELi0EEEJSt7dividesIlEEEEvT_T0_DpT1_.kd
    .uniform_work_group_size: 1
    .uses_dynamic_stack: false
    .vgpr_count:     29
    .vgpr_spill_count: 0
    .wavefront_size: 32
    .workgroup_processor_mode: 1
  - .args:
      - .offset:         0
        .size:           3328
        .value_kind:     by_value
      - .offset:         3328
        .size:           1
        .value_kind:     by_value
      - .offset:         3329
        .size:           1
        .value_kind:     by_value
      - .offset:         3336
        .size:           4
        .value_kind:     hidden_block_count_x
      - .offset:         3340
        .size:           4
        .value_kind:     hidden_block_count_y
      - .offset:         3344
        .size:           4
        .value_kind:     hidden_block_count_z
      - .offset:         3348
        .size:           2
        .value_kind:     hidden_group_size_x
      - .offset:         3350
        .size:           2
        .value_kind:     hidden_group_size_y
      - .offset:         3352
        .size:           2
        .value_kind:     hidden_group_size_z
      - .offset:         3354
        .size:           2
        .value_kind:     hidden_remainder_x
      - .offset:         3356
        .size:           2
        .value_kind:     hidden_remainder_y
      - .offset:         3358
        .size:           2
        .value_kind:     hidden_remainder_z
      - .offset:         3376
        .size:           8
        .value_kind:     hidden_global_offset_x
      - .offset:         3384
        .size:           8
        .value_kind:     hidden_global_offset_y
      - .offset:         3392
        .size:           8
        .value_kind:     hidden_global_offset_z
      - .offset:         3400
        .size:           2
        .value_kind:     hidden_grid_dims
    .group_segment_fixed_size: 0
    .kernarg_segment_align: 8
    .kernarg_segment_size: 3592
    .language:       OpenCL C
    .language_version:
      - 2
      - 0
    .max_flat_workgroup_size: 512
    .name:           _ZN2at6native12_GLOBAL__N_125multi_tensor_apply_kernelINS1_28TensorListScalarListMetadataIsLi1EEENS1_25BinaryOpScalarListFunctorIsLi1ELi1ELi0EEEJSt7dividesIsEEEEvT_T0_DpT1_
    .private_segment_fixed_size: 0
    .sgpr_count:     24
    .sgpr_spill_count: 0
    .symbol:         _ZN2at6native12_GLOBAL__N_125multi_tensor_apply_kernelINS1_28TensorListScalarListMetadataIsLi1EEENS1_25BinaryOpScalarListFunctorIsLi1ELi1ELi0EEEJSt7dividesIsEEEEvT_T0_DpT1_.kd
    .uniform_work_group_size: 1
    .uses_dynamic_stack: false
    .vgpr_count:     20
    .vgpr_spill_count: 0
    .wavefront_size: 32
    .workgroup_processor_mode: 1
  - .args:
      - .offset:         0
        .size:           3904
        .value_kind:     by_value
      - .offset:         3904
        .size:           1
        .value_kind:     by_value
      - .offset:         3905
        .size:           1
        .value_kind:     by_value
      - .offset:         3912
        .size:           4
        .value_kind:     hidden_block_count_x
      - .offset:         3916
        .size:           4
        .value_kind:     hidden_block_count_y
      - .offset:         3920
        .size:           4
        .value_kind:     hidden_block_count_z
      - .offset:         3924
        .size:           2
        .value_kind:     hidden_group_size_x
      - .offset:         3926
        .size:           2
        .value_kind:     hidden_group_size_y
      - .offset:         3928
        .size:           2
        .value_kind:     hidden_group_size_z
      - .offset:         3930
        .size:           2
        .value_kind:     hidden_remainder_x
      - .offset:         3932
        .size:           2
        .value_kind:     hidden_remainder_y
      - .offset:         3934
        .size:           2
        .value_kind:     hidden_remainder_z
      - .offset:         3952
        .size:           8
        .value_kind:     hidden_global_offset_x
      - .offset:         3960
        .size:           8
        .value_kind:     hidden_global_offset_y
      - .offset:         3968
        .size:           8
        .value_kind:     hidden_global_offset_z
      - .offset:         3976
        .size:           2
        .value_kind:     hidden_grid_dims
    .group_segment_fixed_size: 0
    .kernarg_segment_align: 8
    .kernarg_segment_size: 4168
    .language:       OpenCL C
    .language_version:
      - 2
      - 0
    .max_flat_workgroup_size: 512
    .name:           _ZN2at6native12_GLOBAL__N_125multi_tensor_apply_kernelINS1_28TensorListScalarListMetadataIdLi1EEENS1_25BinaryOpScalarListFunctorIdLi1ELi1ELi0EEEJSt7dividesIdEEEEvT_T0_DpT1_
    .private_segment_fixed_size: 0
    .sgpr_count:     27
    .sgpr_spill_count: 0
    .symbol:         _ZN2at6native12_GLOBAL__N_125multi_tensor_apply_kernelINS1_28TensorListScalarListMetadataIdLi1EEENS1_25BinaryOpScalarListFunctorIdLi1ELi1ELi0EEEJSt7dividesIdEEEEvT_T0_DpT1_.kd
    .uniform_work_group_size: 1
    .uses_dynamic_stack: false
    .vgpr_count:     44
    .vgpr_spill_count: 0
    .wavefront_size: 32
    .workgroup_processor_mode: 1
  - .args:
      - .offset:         0
        .size:           3520
        .value_kind:     by_value
      - .offset:         3520
        .size:           1
        .value_kind:     by_value
      - .offset:         3521
        .size:           1
        .value_kind:     by_value
      - .offset:         3528
        .size:           4
        .value_kind:     hidden_block_count_x
      - .offset:         3532
        .size:           4
        .value_kind:     hidden_block_count_y
      - .offset:         3536
        .size:           4
        .value_kind:     hidden_block_count_z
      - .offset:         3540
        .size:           2
        .value_kind:     hidden_group_size_x
      - .offset:         3542
        .size:           2
        .value_kind:     hidden_group_size_y
      - .offset:         3544
        .size:           2
        .value_kind:     hidden_group_size_z
      - .offset:         3546
        .size:           2
        .value_kind:     hidden_remainder_x
      - .offset:         3548
        .size:           2
        .value_kind:     hidden_remainder_y
      - .offset:         3550
        .size:           2
        .value_kind:     hidden_remainder_z
      - .offset:         3568
        .size:           8
        .value_kind:     hidden_global_offset_x
      - .offset:         3576
        .size:           8
        .value_kind:     hidden_global_offset_y
      - .offset:         3584
        .size:           8
        .value_kind:     hidden_global_offset_z
      - .offset:         3592
        .size:           2
        .value_kind:     hidden_grid_dims
    .group_segment_fixed_size: 0
    .kernarg_segment_align: 8
    .kernarg_segment_size: 3784
    .language:       OpenCL C
    .language_version:
      - 2
      - 0
    .max_flat_workgroup_size: 512
    .name:           _ZN2at6native12_GLOBAL__N_125multi_tensor_apply_kernelINS1_28TensorListScalarListMetadataIfLi1EEENS1_25BinaryOpScalarListFunctorIfLi1ELi1ELi0EEEJSt7dividesIfEEEEvT_T0_DpT1_
    .private_segment_fixed_size: 0
    .sgpr_count:     26
    .sgpr_spill_count: 0
    .symbol:         _ZN2at6native12_GLOBAL__N_125multi_tensor_apply_kernelINS1_28TensorListScalarListMetadataIfLi1EEENS1_25BinaryOpScalarListFunctorIfLi1ELi1ELi0EEEJSt7dividesIfEEEEvT_T0_DpT1_.kd
    .uniform_work_group_size: 1
    .uses_dynamic_stack: false
    .vgpr_count:     28
    .vgpr_spill_count: 0
    .wavefront_size: 32
    .workgroup_processor_mode: 1
  - .args:
      - .offset:         0
        .size:           3904
        .value_kind:     by_value
      - .offset:         3904
        .size:           1
        .value_kind:     by_value
      - .offset:         3905
        .size:           1
        .value_kind:     by_value
      - .offset:         3912
        .size:           4
        .value_kind:     hidden_block_count_x
      - .offset:         3916
        .size:           4
        .value_kind:     hidden_block_count_y
      - .offset:         3920
        .size:           4
        .value_kind:     hidden_block_count_z
      - .offset:         3924
        .size:           2
        .value_kind:     hidden_group_size_x
      - .offset:         3926
        .size:           2
        .value_kind:     hidden_group_size_y
      - .offset:         3928
        .size:           2
        .value_kind:     hidden_group_size_z
      - .offset:         3930
        .size:           2
        .value_kind:     hidden_remainder_x
      - .offset:         3932
        .size:           2
        .value_kind:     hidden_remainder_y
      - .offset:         3934
        .size:           2
        .value_kind:     hidden_remainder_z
      - .offset:         3952
        .size:           8
        .value_kind:     hidden_global_offset_x
      - .offset:         3960
        .size:           8
        .value_kind:     hidden_global_offset_y
      - .offset:         3968
        .size:           8
        .value_kind:     hidden_global_offset_z
      - .offset:         3976
        .size:           2
        .value_kind:     hidden_grid_dims
    .group_segment_fixed_size: 0
    .kernarg_segment_align: 16
    .kernarg_segment_size: 4168
    .language:       OpenCL C
    .language_version:
      - 2
      - 0
    .max_flat_workgroup_size: 512
    .name:           _ZN2at6native12_GLOBAL__N_125multi_tensor_apply_kernelINS1_28TensorListScalarListMetadataIN3c107complexIdEELi1EEENS1_25BinaryOpScalarListFunctorIS6_Li1ELi1ELi0EEEJSt7dividesIS6_EEEEvT_T0_DpT1_
    .private_segment_fixed_size: 0
    .sgpr_count:     37
    .sgpr_spill_count: 0
    .symbol:         _ZN2at6native12_GLOBAL__N_125multi_tensor_apply_kernelINS1_28TensorListScalarListMetadataIN3c107complexIdEELi1EEENS1_25BinaryOpScalarListFunctorIS6_Li1ELi1ELi0EEEJSt7dividesIS6_EEEEvT_T0_DpT1_.kd
    .uniform_work_group_size: 1
    .uses_dynamic_stack: false
    .vgpr_count:     53
    .vgpr_spill_count: 0
    .wavefront_size: 32
    .workgroup_processor_mode: 1
  - .args:
      - .offset:         0
        .size:           3904
        .value_kind:     by_value
      - .offset:         3904
        .size:           1
        .value_kind:     by_value
      - .offset:         3905
        .size:           1
        .value_kind:     by_value
      - .offset:         3912
        .size:           4
        .value_kind:     hidden_block_count_x
      - .offset:         3916
        .size:           4
        .value_kind:     hidden_block_count_y
      - .offset:         3920
        .size:           4
        .value_kind:     hidden_block_count_z
      - .offset:         3924
        .size:           2
        .value_kind:     hidden_group_size_x
      - .offset:         3926
        .size:           2
        .value_kind:     hidden_group_size_y
      - .offset:         3928
        .size:           2
        .value_kind:     hidden_group_size_z
      - .offset:         3930
        .size:           2
        .value_kind:     hidden_remainder_x
      - .offset:         3932
        .size:           2
        .value_kind:     hidden_remainder_y
      - .offset:         3934
        .size:           2
        .value_kind:     hidden_remainder_z
      - .offset:         3952
        .size:           8
        .value_kind:     hidden_global_offset_x
      - .offset:         3960
        .size:           8
        .value_kind:     hidden_global_offset_y
      - .offset:         3968
        .size:           8
        .value_kind:     hidden_global_offset_z
      - .offset:         3976
        .size:           2
        .value_kind:     hidden_grid_dims
    .group_segment_fixed_size: 0
    .kernarg_segment_align: 8
    .kernarg_segment_size: 4168
    .language:       OpenCL C
    .language_version:
      - 2
      - 0
    .max_flat_workgroup_size: 512
    .name:           _ZN2at6native12_GLOBAL__N_125multi_tensor_apply_kernelINS1_28TensorListScalarListMetadataIN3c107complexIfEELi1EEENS1_25BinaryOpScalarListFunctorIS6_Li1ELi1ELi0EEEJSt7dividesIS6_EEEEvT_T0_DpT1_
    .private_segment_fixed_size: 0
    .sgpr_count:     30
    .sgpr_spill_count: 0
    .symbol:         _ZN2at6native12_GLOBAL__N_125multi_tensor_apply_kernelINS1_28TensorListScalarListMetadataIN3c107complexIfEELi1EEENS1_25BinaryOpScalarListFunctorIS6_Li1ELi1ELi0EEEJSt7dividesIS6_EEEEvT_T0_DpT1_.kd
    .uniform_work_group_size: 1
    .uses_dynamic_stack: false
    .vgpr_count:     37
    .vgpr_spill_count: 0
    .wavefront_size: 32
    .workgroup_processor_mode: 1
  - .args:
      - .offset:         0
        .size:           3232
        .value_kind:     by_value
      - .offset:         3232
        .size:           1
        .value_kind:     by_value
      - .offset:         3233
        .size:           1
        .value_kind:     by_value
      - .offset:         3240
        .size:           4
        .value_kind:     hidden_block_count_x
      - .offset:         3244
        .size:           4
        .value_kind:     hidden_block_count_y
      - .offset:         3248
        .size:           4
        .value_kind:     hidden_block_count_z
      - .offset:         3252
        .size:           2
        .value_kind:     hidden_group_size_x
      - .offset:         3254
        .size:           2
        .value_kind:     hidden_group_size_y
      - .offset:         3256
        .size:           2
        .value_kind:     hidden_group_size_z
      - .offset:         3258
        .size:           2
        .value_kind:     hidden_remainder_x
      - .offset:         3260
        .size:           2
        .value_kind:     hidden_remainder_y
      - .offset:         3262
        .size:           2
        .value_kind:     hidden_remainder_z
      - .offset:         3280
        .size:           8
        .value_kind:     hidden_global_offset_x
      - .offset:         3288
        .size:           8
        .value_kind:     hidden_global_offset_y
      - .offset:         3296
        .size:           8
        .value_kind:     hidden_global_offset_z
      - .offset:         3304
        .size:           2
        .value_kind:     hidden_grid_dims
    .group_segment_fixed_size: 0
    .kernarg_segment_align: 8
    .kernarg_segment_size: 3496
    .language:       OpenCL C
    .language_version:
      - 2
      - 0
    .max_flat_workgroup_size: 512
    .name:           _ZN2at6native12_GLOBAL__N_125multi_tensor_apply_kernelINS1_28TensorListScalarListMetadataIbLi1EEENS1_25BinaryOpScalarListFunctorIbLi1ELi1ELi0EEEJSt7dividesIbEEEEvT_T0_DpT1_
    .private_segment_fixed_size: 0
    .sgpr_count:     16
    .sgpr_spill_count: 0
    .symbol:         _ZN2at6native12_GLOBAL__N_125multi_tensor_apply_kernelINS1_28TensorListScalarListMetadataIbLi1EEENS1_25BinaryOpScalarListFunctorIbLi1ELi1ELi0EEEJSt7dividesIbEEEEvT_T0_DpT1_.kd
    .uniform_work_group_size: 1
    .uses_dynamic_stack: false
    .vgpr_count:     20
    .vgpr_spill_count: 0
    .wavefront_size: 32
    .workgroup_processor_mode: 1
  - .args:
      - .offset:         0
        .size:           3520
        .value_kind:     by_value
      - .offset:         3520
        .size:           1
        .value_kind:     by_value
      - .offset:         3521
        .size:           1
        .value_kind:     by_value
      - .offset:         3528
        .size:           4
        .value_kind:     hidden_block_count_x
      - .offset:         3532
        .size:           4
        .value_kind:     hidden_block_count_y
      - .offset:         3536
        .size:           4
        .value_kind:     hidden_block_count_z
      - .offset:         3540
        .size:           2
        .value_kind:     hidden_group_size_x
      - .offset:         3542
        .size:           2
        .value_kind:     hidden_group_size_y
      - .offset:         3544
        .size:           2
        .value_kind:     hidden_group_size_z
      - .offset:         3546
        .size:           2
        .value_kind:     hidden_remainder_x
      - .offset:         3548
        .size:           2
        .value_kind:     hidden_remainder_y
      - .offset:         3550
        .size:           2
        .value_kind:     hidden_remainder_z
      - .offset:         3568
        .size:           8
        .value_kind:     hidden_global_offset_x
      - .offset:         3576
        .size:           8
        .value_kind:     hidden_global_offset_y
      - .offset:         3584
        .size:           8
        .value_kind:     hidden_global_offset_z
      - .offset:         3592
        .size:           2
        .value_kind:     hidden_grid_dims
    .group_segment_fixed_size: 0
    .kernarg_segment_align: 8
    .kernarg_segment_size: 3784
    .language:       OpenCL C
    .language_version:
      - 2
      - 0
    .max_flat_workgroup_size: 512
    .name:           _ZN2at6native12_GLOBAL__N_125multi_tensor_apply_kernelINS1_28TensorListScalarListMetadataIfLi1EEENS1_25BinaryOpScalarListFunctorIN3c104HalfELi1ELi1ELi0EEEJSt7dividesIfEEEEvT_T0_DpT1_
    .private_segment_fixed_size: 0
    .sgpr_count:     25
    .sgpr_spill_count: 0
    .symbol:         _ZN2at6native12_GLOBAL__N_125multi_tensor_apply_kernelINS1_28TensorListScalarListMetadataIfLi1EEENS1_25BinaryOpScalarListFunctorIN3c104HalfELi1ELi1ELi0EEEJSt7dividesIfEEEEvT_T0_DpT1_.kd
    .uniform_work_group_size: 1
    .uses_dynamic_stack: false
    .vgpr_count:     28
    .vgpr_spill_count: 0
    .wavefront_size: 32
    .workgroup_processor_mode: 1
  - .args:
      - .offset:         0
        .size:           3520
        .value_kind:     by_value
      - .offset:         3520
        .size:           1
        .value_kind:     by_value
      - .offset:         3521
        .size:           1
        .value_kind:     by_value
      - .offset:         3528
        .size:           4
        .value_kind:     hidden_block_count_x
      - .offset:         3532
        .size:           4
        .value_kind:     hidden_block_count_y
      - .offset:         3536
        .size:           4
        .value_kind:     hidden_block_count_z
      - .offset:         3540
        .size:           2
        .value_kind:     hidden_group_size_x
      - .offset:         3542
        .size:           2
        .value_kind:     hidden_group_size_y
      - .offset:         3544
        .size:           2
        .value_kind:     hidden_group_size_z
      - .offset:         3546
        .size:           2
        .value_kind:     hidden_remainder_x
      - .offset:         3548
        .size:           2
        .value_kind:     hidden_remainder_y
      - .offset:         3550
        .size:           2
        .value_kind:     hidden_remainder_z
      - .offset:         3568
        .size:           8
        .value_kind:     hidden_global_offset_x
      - .offset:         3576
        .size:           8
        .value_kind:     hidden_global_offset_y
      - .offset:         3584
        .size:           8
        .value_kind:     hidden_global_offset_z
      - .offset:         3592
        .size:           2
        .value_kind:     hidden_grid_dims
    .group_segment_fixed_size: 0
    .kernarg_segment_align: 8
    .kernarg_segment_size: 3784
    .language:       OpenCL C
    .language_version:
      - 2
      - 0
    .max_flat_workgroup_size: 512
    .name:           _ZN2at6native12_GLOBAL__N_125multi_tensor_apply_kernelINS1_28TensorListScalarListMetadataIfLi1EEENS1_25BinaryOpScalarListFunctorIN3c108BFloat16ELi1ELi1ELi0EEEJSt7dividesIfEEEEvT_T0_DpT1_
    .private_segment_fixed_size: 0
    .sgpr_count:     25
    .sgpr_spill_count: 0
    .symbol:         _ZN2at6native12_GLOBAL__N_125multi_tensor_apply_kernelINS1_28TensorListScalarListMetadataIfLi1EEENS1_25BinaryOpScalarListFunctorIN3c108BFloat16ELi1ELi1ELi0EEEJSt7dividesIfEEEEvT_T0_DpT1_.kd
    .uniform_work_group_size: 1
    .uses_dynamic_stack: false
    .vgpr_count:     27
    .vgpr_spill_count: 0
    .wavefront_size: 32
    .workgroup_processor_mode: 1
  - .args:
      - .offset:         0
        .size:           3200
        .value_kind:     by_value
      - .offset:         3200
        .size:           1
        .value_kind:     by_value
      - .offset:         3201
        .size:           1
        .value_kind:     by_value
      - .offset:         3208
        .size:           4
        .value_kind:     hidden_block_count_x
      - .offset:         3212
        .size:           4
        .value_kind:     hidden_block_count_y
      - .offset:         3216
        .size:           4
        .value_kind:     hidden_block_count_z
      - .offset:         3220
        .size:           2
        .value_kind:     hidden_group_size_x
      - .offset:         3222
        .size:           2
        .value_kind:     hidden_group_size_y
      - .offset:         3224
        .size:           2
        .value_kind:     hidden_group_size_z
      - .offset:         3226
        .size:           2
        .value_kind:     hidden_remainder_x
      - .offset:         3228
        .size:           2
        .value_kind:     hidden_remainder_y
      - .offset:         3230
        .size:           2
        .value_kind:     hidden_remainder_z
      - .offset:         3248
        .size:           8
        .value_kind:     hidden_global_offset_x
      - .offset:         3256
        .size:           8
        .value_kind:     hidden_global_offset_y
      - .offset:         3264
        .size:           8
        .value_kind:     hidden_global_offset_z
      - .offset:         3272
        .size:           2
        .value_kind:     hidden_grid_dims
    .group_segment_fixed_size: 0
    .kernarg_segment_align: 8
    .kernarg_segment_size: 3464
    .language:       OpenCL C
    .language_version:
      - 2
      - 0
    .max_flat_workgroup_size: 512
    .name:           _ZN2at6native12_GLOBAL__N_125multi_tensor_apply_kernelINS1_28TensorListScalarListMetadataIhLi2EEENS1_25BinaryOpScalarListFunctorIhLi2ELi1ELi1EEEJSt7dividesIhEEEEvT_T0_DpT1_
    .private_segment_fixed_size: 0
    .sgpr_count:     24
    .sgpr_spill_count: 0
    .symbol:         _ZN2at6native12_GLOBAL__N_125multi_tensor_apply_kernelINS1_28TensorListScalarListMetadataIhLi2EEENS1_25BinaryOpScalarListFunctorIhLi2ELi1ELi1EEEJSt7dividesIhEEEEvT_T0_DpT1_.kd
    .uniform_work_group_size: 1
    .uses_dynamic_stack: false
    .vgpr_count:     33
    .vgpr_spill_count: 0
    .wavefront_size: 32
    .workgroup_processor_mode: 1
  - .args:
      - .offset:         0
        .size:           3200
        .value_kind:     by_value
      - .offset:         3200
        .size:           1
        .value_kind:     by_value
      - .offset:         3201
        .size:           1
        .value_kind:     by_value
      - .offset:         3208
        .size:           4
        .value_kind:     hidden_block_count_x
      - .offset:         3212
        .size:           4
        .value_kind:     hidden_block_count_y
      - .offset:         3216
        .size:           4
        .value_kind:     hidden_block_count_z
      - .offset:         3220
        .size:           2
        .value_kind:     hidden_group_size_x
      - .offset:         3222
        .size:           2
        .value_kind:     hidden_group_size_y
      - .offset:         3224
        .size:           2
        .value_kind:     hidden_group_size_z
      - .offset:         3226
        .size:           2
        .value_kind:     hidden_remainder_x
      - .offset:         3228
        .size:           2
        .value_kind:     hidden_remainder_y
      - .offset:         3230
        .size:           2
        .value_kind:     hidden_remainder_z
      - .offset:         3248
        .size:           8
        .value_kind:     hidden_global_offset_x
      - .offset:         3256
        .size:           8
        .value_kind:     hidden_global_offset_y
      - .offset:         3264
        .size:           8
        .value_kind:     hidden_global_offset_z
      - .offset:         3272
        .size:           2
        .value_kind:     hidden_grid_dims
    .group_segment_fixed_size: 0
    .kernarg_segment_align: 8
    .kernarg_segment_size: 3464
    .language:       OpenCL C
    .language_version:
      - 2
      - 0
    .max_flat_workgroup_size: 512
    .name:           _ZN2at6native12_GLOBAL__N_125multi_tensor_apply_kernelINS1_28TensorListScalarListMetadataIaLi2EEENS1_25BinaryOpScalarListFunctorIaLi2ELi1ELi1EEEJSt7dividesIaEEEEvT_T0_DpT1_
    .private_segment_fixed_size: 0
    .sgpr_count:     24
    .sgpr_spill_count: 0
    .symbol:         _ZN2at6native12_GLOBAL__N_125multi_tensor_apply_kernelINS1_28TensorListScalarListMetadataIaLi2EEENS1_25BinaryOpScalarListFunctorIaLi2ELi1ELi1EEEJSt7dividesIaEEEEvT_T0_DpT1_.kd
    .uniform_work_group_size: 1
    .uses_dynamic_stack: false
    .vgpr_count:     33
    .vgpr_spill_count: 0
    .wavefront_size: 32
    .workgroup_processor_mode: 1
  - .args:
      - .offset:         0
        .size:           3392
        .value_kind:     by_value
      - .offset:         3392
        .size:           1
        .value_kind:     by_value
      - .offset:         3393
        .size:           1
        .value_kind:     by_value
      - .offset:         3400
        .size:           4
        .value_kind:     hidden_block_count_x
      - .offset:         3404
        .size:           4
        .value_kind:     hidden_block_count_y
      - .offset:         3408
        .size:           4
        .value_kind:     hidden_block_count_z
      - .offset:         3412
        .size:           2
        .value_kind:     hidden_group_size_x
      - .offset:         3414
        .size:           2
        .value_kind:     hidden_group_size_y
      - .offset:         3416
        .size:           2
        .value_kind:     hidden_group_size_z
      - .offset:         3418
        .size:           2
        .value_kind:     hidden_remainder_x
      - .offset:         3420
        .size:           2
        .value_kind:     hidden_remainder_y
      - .offset:         3422
        .size:           2
        .value_kind:     hidden_remainder_z
      - .offset:         3440
        .size:           8
        .value_kind:     hidden_global_offset_x
      - .offset:         3448
        .size:           8
        .value_kind:     hidden_global_offset_y
      - .offset:         3456
        .size:           8
        .value_kind:     hidden_global_offset_z
      - .offset:         3464
        .size:           2
        .value_kind:     hidden_grid_dims
    .group_segment_fixed_size: 0
    .kernarg_segment_align: 8
    .kernarg_segment_size: 3656
    .language:       OpenCL C
    .language_version:
      - 2
      - 0
    .max_flat_workgroup_size: 512
    .name:           _ZN2at6native12_GLOBAL__N_125multi_tensor_apply_kernelINS1_28TensorListScalarListMetadataIiLi2EEENS1_25BinaryOpScalarListFunctorIiLi2ELi1ELi1EEEJSt7dividesIiEEEEvT_T0_DpT1_
    .private_segment_fixed_size: 0
    .sgpr_count:     28
    .sgpr_spill_count: 0
    .symbol:         _ZN2at6native12_GLOBAL__N_125multi_tensor_apply_kernelINS1_28TensorListScalarListMetadataIiLi2EEENS1_25BinaryOpScalarListFunctorIiLi2ELi1ELi1EEEJSt7dividesIiEEEEvT_T0_DpT1_.kd
    .uniform_work_group_size: 1
    .uses_dynamic_stack: false
    .vgpr_count:     32
    .vgpr_spill_count: 0
    .wavefront_size: 32
    .workgroup_processor_mode: 1
  - .args:
      - .offset:         0
        .size:           3648
        .value_kind:     by_value
      - .offset:         3648
        .size:           1
        .value_kind:     by_value
      - .offset:         3649
        .size:           1
        .value_kind:     by_value
      - .offset:         3656
        .size:           4
        .value_kind:     hidden_block_count_x
      - .offset:         3660
        .size:           4
        .value_kind:     hidden_block_count_y
      - .offset:         3664
        .size:           4
        .value_kind:     hidden_block_count_z
      - .offset:         3668
        .size:           2
        .value_kind:     hidden_group_size_x
      - .offset:         3670
        .size:           2
        .value_kind:     hidden_group_size_y
      - .offset:         3672
        .size:           2
        .value_kind:     hidden_group_size_z
      - .offset:         3674
        .size:           2
        .value_kind:     hidden_remainder_x
      - .offset:         3676
        .size:           2
        .value_kind:     hidden_remainder_y
      - .offset:         3678
        .size:           2
        .value_kind:     hidden_remainder_z
      - .offset:         3696
        .size:           8
        .value_kind:     hidden_global_offset_x
      - .offset:         3704
        .size:           8
        .value_kind:     hidden_global_offset_y
      - .offset:         3712
        .size:           8
        .value_kind:     hidden_global_offset_z
      - .offset:         3720
        .size:           2
        .value_kind:     hidden_grid_dims
    .group_segment_fixed_size: 0
    .kernarg_segment_align: 8
    .kernarg_segment_size: 3912
    .language:       OpenCL C
    .language_version:
      - 2
      - 0
    .max_flat_workgroup_size: 512
    .name:           _ZN2at6native12_GLOBAL__N_125multi_tensor_apply_kernelINS1_28TensorListScalarListMetadataIlLi2EEENS1_25BinaryOpScalarListFunctorIlLi2ELi1ELi1EEEJSt7dividesIlEEEEvT_T0_DpT1_
    .private_segment_fixed_size: 0
    .sgpr_count:     43
    .sgpr_spill_count: 0
    .symbol:         _ZN2at6native12_GLOBAL__N_125multi_tensor_apply_kernelINS1_28TensorListScalarListMetadataIlLi2EEENS1_25BinaryOpScalarListFunctorIlLi2ELi1ELi1EEEJSt7dividesIlEEEEvT_T0_DpT1_.kd
    .uniform_work_group_size: 1
    .uses_dynamic_stack: false
    .vgpr_count:     41
    .vgpr_spill_count: 0
    .wavefront_size: 32
    .workgroup_processor_mode: 1
  - .args:
      - .offset:         0
        .size:           3264
        .value_kind:     by_value
      - .offset:         3264
        .size:           1
        .value_kind:     by_value
      - .offset:         3265
        .size:           1
        .value_kind:     by_value
      - .offset:         3272
        .size:           4
        .value_kind:     hidden_block_count_x
      - .offset:         3276
        .size:           4
        .value_kind:     hidden_block_count_y
      - .offset:         3280
        .size:           4
        .value_kind:     hidden_block_count_z
      - .offset:         3284
        .size:           2
        .value_kind:     hidden_group_size_x
      - .offset:         3286
        .size:           2
        .value_kind:     hidden_group_size_y
      - .offset:         3288
        .size:           2
        .value_kind:     hidden_group_size_z
      - .offset:         3290
        .size:           2
        .value_kind:     hidden_remainder_x
      - .offset:         3292
        .size:           2
        .value_kind:     hidden_remainder_y
      - .offset:         3294
        .size:           2
        .value_kind:     hidden_remainder_z
      - .offset:         3312
        .size:           8
        .value_kind:     hidden_global_offset_x
      - .offset:         3320
        .size:           8
        .value_kind:     hidden_global_offset_y
      - .offset:         3328
        .size:           8
        .value_kind:     hidden_global_offset_z
      - .offset:         3336
        .size:           2
        .value_kind:     hidden_grid_dims
    .group_segment_fixed_size: 0
    .kernarg_segment_align: 8
    .kernarg_segment_size: 3528
    .language:       OpenCL C
    .language_version:
      - 2
      - 0
    .max_flat_workgroup_size: 512
    .name:           _ZN2at6native12_GLOBAL__N_125multi_tensor_apply_kernelINS1_28TensorListScalarListMetadataIsLi2EEENS1_25BinaryOpScalarListFunctorIsLi2ELi1ELi1EEEJSt7dividesIsEEEEvT_T0_DpT1_
    .private_segment_fixed_size: 0
    .sgpr_count:     25
    .sgpr_spill_count: 0
    .symbol:         _ZN2at6native12_GLOBAL__N_125multi_tensor_apply_kernelINS1_28TensorListScalarListMetadataIsLi2EEENS1_25BinaryOpScalarListFunctorIsLi2ELi1ELi1EEEJSt7dividesIsEEEEvT_T0_DpT1_.kd
    .uniform_work_group_size: 1
    .uses_dynamic_stack: false
    .vgpr_count:     33
    .vgpr_spill_count: 0
    .wavefront_size: 32
    .workgroup_processor_mode: 1
  - .args:
      - .offset:         0
        .size:           3648
        .value_kind:     by_value
      - .offset:         3648
        .size:           1
        .value_kind:     by_value
      - .offset:         3649
        .size:           1
        .value_kind:     by_value
      - .offset:         3656
        .size:           4
        .value_kind:     hidden_block_count_x
      - .offset:         3660
        .size:           4
        .value_kind:     hidden_block_count_y
      - .offset:         3664
        .size:           4
        .value_kind:     hidden_block_count_z
      - .offset:         3668
        .size:           2
        .value_kind:     hidden_group_size_x
      - .offset:         3670
        .size:           2
        .value_kind:     hidden_group_size_y
      - .offset:         3672
        .size:           2
        .value_kind:     hidden_group_size_z
      - .offset:         3674
        .size:           2
        .value_kind:     hidden_remainder_x
      - .offset:         3676
        .size:           2
        .value_kind:     hidden_remainder_y
      - .offset:         3678
        .size:           2
        .value_kind:     hidden_remainder_z
      - .offset:         3696
        .size:           8
        .value_kind:     hidden_global_offset_x
      - .offset:         3704
        .size:           8
        .value_kind:     hidden_global_offset_y
      - .offset:         3712
        .size:           8
        .value_kind:     hidden_global_offset_z
      - .offset:         3720
        .size:           2
        .value_kind:     hidden_grid_dims
    .group_segment_fixed_size: 0
    .kernarg_segment_align: 8
    .kernarg_segment_size: 3912
    .language:       OpenCL C
    .language_version:
      - 2
      - 0
    .max_flat_workgroup_size: 512
    .name:           _ZN2at6native12_GLOBAL__N_125multi_tensor_apply_kernelINS1_28TensorListScalarListMetadataIdLi2EEENS1_25BinaryOpScalarListFunctorIdLi2ELi1ELi1EEEJSt7dividesIdEEEEvT_T0_DpT1_
    .private_segment_fixed_size: 0
    .sgpr_count:     27
    .sgpr_spill_count: 0
    .symbol:         _ZN2at6native12_GLOBAL__N_125multi_tensor_apply_kernelINS1_28TensorListScalarListMetadataIdLi2EEENS1_25BinaryOpScalarListFunctorIdLi2ELi1ELi1EEEJSt7dividesIdEEEEvT_T0_DpT1_.kd
    .uniform_work_group_size: 1
    .uses_dynamic_stack: false
    .vgpr_count:     44
    .vgpr_spill_count: 0
    .wavefront_size: 32
    .workgroup_processor_mode: 1
  - .args:
      - .offset:         0
        .size:           3392
        .value_kind:     by_value
      - .offset:         3392
        .size:           1
        .value_kind:     by_value
      - .offset:         3393
        .size:           1
        .value_kind:     by_value
      - .offset:         3400
        .size:           4
        .value_kind:     hidden_block_count_x
      - .offset:         3404
        .size:           4
        .value_kind:     hidden_block_count_y
      - .offset:         3408
        .size:           4
        .value_kind:     hidden_block_count_z
      - .offset:         3412
        .size:           2
        .value_kind:     hidden_group_size_x
      - .offset:         3414
        .size:           2
        .value_kind:     hidden_group_size_y
      - .offset:         3416
        .size:           2
        .value_kind:     hidden_group_size_z
      - .offset:         3418
        .size:           2
        .value_kind:     hidden_remainder_x
      - .offset:         3420
        .size:           2
        .value_kind:     hidden_remainder_y
      - .offset:         3422
        .size:           2
        .value_kind:     hidden_remainder_z
      - .offset:         3440
        .size:           8
        .value_kind:     hidden_global_offset_x
      - .offset:         3448
        .size:           8
        .value_kind:     hidden_global_offset_y
      - .offset:         3456
        .size:           8
        .value_kind:     hidden_global_offset_z
      - .offset:         3464
        .size:           2
        .value_kind:     hidden_grid_dims
    .group_segment_fixed_size: 0
    .kernarg_segment_align: 8
    .kernarg_segment_size: 3656
    .language:       OpenCL C
    .language_version:
      - 2
      - 0
    .max_flat_workgroup_size: 512
    .name:           _ZN2at6native12_GLOBAL__N_125multi_tensor_apply_kernelINS1_28TensorListScalarListMetadataIfLi2EEENS1_25BinaryOpScalarListFunctorIfLi2ELi1ELi1EEEJSt7dividesIfEEEEvT_T0_DpT1_
    .private_segment_fixed_size: 0
    .sgpr_count:     26
    .sgpr_spill_count: 0
    .symbol:         _ZN2at6native12_GLOBAL__N_125multi_tensor_apply_kernelINS1_28TensorListScalarListMetadataIfLi2EEENS1_25BinaryOpScalarListFunctorIfLi2ELi1ELi1EEEJSt7dividesIfEEEEvT_T0_DpT1_.kd
    .uniform_work_group_size: 1
    .uses_dynamic_stack: false
    .vgpr_count:     32
    .vgpr_spill_count: 0
    .wavefront_size: 32
    .workgroup_processor_mode: 1
  - .args:
      - .offset:         0
        .size:           4000
        .value_kind:     by_value
      - .offset:         4000
        .size:           1
        .value_kind:     by_value
      - .offset:         4001
        .size:           1
        .value_kind:     by_value
      - .offset:         4008
        .size:           4
        .value_kind:     hidden_block_count_x
      - .offset:         4012
        .size:           4
        .value_kind:     hidden_block_count_y
      - .offset:         4016
        .size:           4
        .value_kind:     hidden_block_count_z
      - .offset:         4020
        .size:           2
        .value_kind:     hidden_group_size_x
      - .offset:         4022
        .size:           2
        .value_kind:     hidden_group_size_y
      - .offset:         4024
        .size:           2
        .value_kind:     hidden_group_size_z
      - .offset:         4026
        .size:           2
        .value_kind:     hidden_remainder_x
      - .offset:         4028
        .size:           2
        .value_kind:     hidden_remainder_y
      - .offset:         4030
        .size:           2
        .value_kind:     hidden_remainder_z
      - .offset:         4048
        .size:           8
        .value_kind:     hidden_global_offset_x
      - .offset:         4056
        .size:           8
        .value_kind:     hidden_global_offset_y
      - .offset:         4064
        .size:           8
        .value_kind:     hidden_global_offset_z
      - .offset:         4072
        .size:           2
        .value_kind:     hidden_grid_dims
    .group_segment_fixed_size: 0
    .kernarg_segment_align: 16
    .kernarg_segment_size: 4264
    .language:       OpenCL C
    .language_version:
      - 2
      - 0
    .max_flat_workgroup_size: 512
    .name:           _ZN2at6native12_GLOBAL__N_125multi_tensor_apply_kernelINS1_28TensorListScalarListMetadataIN3c107complexIdEELi2EEENS1_25BinaryOpScalarListFunctorIS6_Li2ELi1ELi1EEEJSt7dividesIS6_EEEEvT_T0_DpT1_
    .private_segment_fixed_size: 0
    .sgpr_count:     36
    .sgpr_spill_count: 0
    .symbol:         _ZN2at6native12_GLOBAL__N_125multi_tensor_apply_kernelINS1_28TensorListScalarListMetadataIN3c107complexIdEELi2EEENS1_25BinaryOpScalarListFunctorIS6_Li2ELi1ELi1EEEJSt7dividesIS6_EEEEvT_T0_DpT1_.kd
    .uniform_work_group_size: 1
    .uses_dynamic_stack: false
    .vgpr_count:     49
    .vgpr_spill_count: 0
    .wavefront_size: 32
    .workgroup_processor_mode: 1
  - .args:
      - .offset:         0
        .size:           3648
        .value_kind:     by_value
      - .offset:         3648
        .size:           1
        .value_kind:     by_value
      - .offset:         3649
        .size:           1
        .value_kind:     by_value
      - .offset:         3656
        .size:           4
        .value_kind:     hidden_block_count_x
      - .offset:         3660
        .size:           4
        .value_kind:     hidden_block_count_y
      - .offset:         3664
        .size:           4
        .value_kind:     hidden_block_count_z
      - .offset:         3668
        .size:           2
        .value_kind:     hidden_group_size_x
      - .offset:         3670
        .size:           2
        .value_kind:     hidden_group_size_y
      - .offset:         3672
        .size:           2
        .value_kind:     hidden_group_size_z
      - .offset:         3674
        .size:           2
        .value_kind:     hidden_remainder_x
      - .offset:         3676
        .size:           2
        .value_kind:     hidden_remainder_y
      - .offset:         3678
        .size:           2
        .value_kind:     hidden_remainder_z
      - .offset:         3696
        .size:           8
        .value_kind:     hidden_global_offset_x
      - .offset:         3704
        .size:           8
        .value_kind:     hidden_global_offset_y
      - .offset:         3712
        .size:           8
        .value_kind:     hidden_global_offset_z
      - .offset:         3720
        .size:           2
        .value_kind:     hidden_grid_dims
    .group_segment_fixed_size: 0
    .kernarg_segment_align: 8
    .kernarg_segment_size: 3912
    .language:       OpenCL C
    .language_version:
      - 2
      - 0
    .max_flat_workgroup_size: 512
    .name:           _ZN2at6native12_GLOBAL__N_125multi_tensor_apply_kernelINS1_28TensorListScalarListMetadataIN3c107complexIfEELi2EEENS1_25BinaryOpScalarListFunctorIS6_Li2ELi1ELi1EEEJSt7dividesIS6_EEEEvT_T0_DpT1_
    .private_segment_fixed_size: 0
    .sgpr_count:     29
    .sgpr_spill_count: 0
    .symbol:         _ZN2at6native12_GLOBAL__N_125multi_tensor_apply_kernelINS1_28TensorListScalarListMetadataIN3c107complexIfEELi2EEENS1_25BinaryOpScalarListFunctorIS6_Li2ELi1ELi1EEEJSt7dividesIS6_EEEEvT_T0_DpT1_.kd
    .uniform_work_group_size: 1
    .uses_dynamic_stack: false
    .vgpr_count:     33
    .vgpr_spill_count: 0
    .wavefront_size: 32
    .workgroup_processor_mode: 1
  - .args:
      - .offset:         0
        .size:           3200
        .value_kind:     by_value
      - .offset:         3200
        .size:           1
        .value_kind:     by_value
      - .offset:         3201
        .size:           1
        .value_kind:     by_value
      - .offset:         3208
        .size:           4
        .value_kind:     hidden_block_count_x
      - .offset:         3212
        .size:           4
        .value_kind:     hidden_block_count_y
      - .offset:         3216
        .size:           4
        .value_kind:     hidden_block_count_z
      - .offset:         3220
        .size:           2
        .value_kind:     hidden_group_size_x
      - .offset:         3222
        .size:           2
        .value_kind:     hidden_group_size_y
      - .offset:         3224
        .size:           2
        .value_kind:     hidden_group_size_z
      - .offset:         3226
        .size:           2
        .value_kind:     hidden_remainder_x
      - .offset:         3228
        .size:           2
        .value_kind:     hidden_remainder_y
      - .offset:         3230
        .size:           2
        .value_kind:     hidden_remainder_z
      - .offset:         3248
        .size:           8
        .value_kind:     hidden_global_offset_x
      - .offset:         3256
        .size:           8
        .value_kind:     hidden_global_offset_y
      - .offset:         3264
        .size:           8
        .value_kind:     hidden_global_offset_z
      - .offset:         3272
        .size:           2
        .value_kind:     hidden_grid_dims
    .group_segment_fixed_size: 0
    .kernarg_segment_align: 8
    .kernarg_segment_size: 3464
    .language:       OpenCL C
    .language_version:
      - 2
      - 0
    .max_flat_workgroup_size: 512
    .name:           _ZN2at6native12_GLOBAL__N_125multi_tensor_apply_kernelINS1_28TensorListScalarListMetadataIbLi2EEENS1_25BinaryOpScalarListFunctorIbLi2ELi1ELi1EEEJSt7dividesIbEEEEvT_T0_DpT1_
    .private_segment_fixed_size: 0
    .sgpr_count:     24
    .sgpr_spill_count: 0
    .symbol:         _ZN2at6native12_GLOBAL__N_125multi_tensor_apply_kernelINS1_28TensorListScalarListMetadataIbLi2EEENS1_25BinaryOpScalarListFunctorIbLi2ELi1ELi1EEEJSt7dividesIbEEEEvT_T0_DpT1_.kd
    .uniform_work_group_size: 1
    .uses_dynamic_stack: false
    .vgpr_count:     28
    .vgpr_spill_count: 0
    .wavefront_size: 32
    .workgroup_processor_mode: 1
  - .args:
      - .offset:         0
        .size:           3392
        .value_kind:     by_value
      - .offset:         3392
        .size:           1
        .value_kind:     by_value
      - .offset:         3393
        .size:           1
        .value_kind:     by_value
      - .offset:         3400
        .size:           4
        .value_kind:     hidden_block_count_x
      - .offset:         3404
        .size:           4
        .value_kind:     hidden_block_count_y
      - .offset:         3408
        .size:           4
        .value_kind:     hidden_block_count_z
      - .offset:         3412
        .size:           2
        .value_kind:     hidden_group_size_x
      - .offset:         3414
        .size:           2
        .value_kind:     hidden_group_size_y
      - .offset:         3416
        .size:           2
        .value_kind:     hidden_group_size_z
      - .offset:         3418
        .size:           2
        .value_kind:     hidden_remainder_x
      - .offset:         3420
        .size:           2
        .value_kind:     hidden_remainder_y
      - .offset:         3422
        .size:           2
        .value_kind:     hidden_remainder_z
      - .offset:         3440
        .size:           8
        .value_kind:     hidden_global_offset_x
      - .offset:         3448
        .size:           8
        .value_kind:     hidden_global_offset_y
      - .offset:         3456
        .size:           8
        .value_kind:     hidden_global_offset_z
      - .offset:         3464
        .size:           2
        .value_kind:     hidden_grid_dims
    .group_segment_fixed_size: 0
    .kernarg_segment_align: 8
    .kernarg_segment_size: 3656
    .language:       OpenCL C
    .language_version:
      - 2
      - 0
    .max_flat_workgroup_size: 512
    .name:           _ZN2at6native12_GLOBAL__N_125multi_tensor_apply_kernelINS1_28TensorListScalarListMetadataIfLi2EEENS1_25BinaryOpScalarListFunctorIN3c104HalfELi2ELi1ELi1EEEJSt7dividesIfEEEEvT_T0_DpT1_
    .private_segment_fixed_size: 0
    .sgpr_count:     26
    .sgpr_spill_count: 0
    .symbol:         _ZN2at6native12_GLOBAL__N_125multi_tensor_apply_kernelINS1_28TensorListScalarListMetadataIfLi2EEENS1_25BinaryOpScalarListFunctorIN3c104HalfELi2ELi1ELi1EEEJSt7dividesIfEEEEvT_T0_DpT1_.kd
    .uniform_work_group_size: 1
    .uses_dynamic_stack: false
    .vgpr_count:     32
    .vgpr_spill_count: 0
    .wavefront_size: 32
    .workgroup_processor_mode: 1
  - .args:
      - .offset:         0
        .size:           3392
        .value_kind:     by_value
      - .offset:         3392
        .size:           1
        .value_kind:     by_value
      - .offset:         3393
        .size:           1
        .value_kind:     by_value
      - .offset:         3400
        .size:           4
        .value_kind:     hidden_block_count_x
      - .offset:         3404
        .size:           4
        .value_kind:     hidden_block_count_y
      - .offset:         3408
        .size:           4
        .value_kind:     hidden_block_count_z
      - .offset:         3412
        .size:           2
        .value_kind:     hidden_group_size_x
      - .offset:         3414
        .size:           2
        .value_kind:     hidden_group_size_y
      - .offset:         3416
        .size:           2
        .value_kind:     hidden_group_size_z
      - .offset:         3418
        .size:           2
        .value_kind:     hidden_remainder_x
      - .offset:         3420
        .size:           2
        .value_kind:     hidden_remainder_y
      - .offset:         3422
        .size:           2
        .value_kind:     hidden_remainder_z
      - .offset:         3440
        .size:           8
        .value_kind:     hidden_global_offset_x
      - .offset:         3448
        .size:           8
        .value_kind:     hidden_global_offset_y
      - .offset:         3456
        .size:           8
        .value_kind:     hidden_global_offset_z
      - .offset:         3464
        .size:           2
        .value_kind:     hidden_grid_dims
    .group_segment_fixed_size: 0
    .kernarg_segment_align: 8
    .kernarg_segment_size: 3656
    .language:       OpenCL C
    .language_version:
      - 2
      - 0
    .max_flat_workgroup_size: 512
    .name:           _ZN2at6native12_GLOBAL__N_125multi_tensor_apply_kernelINS1_28TensorListScalarListMetadataIfLi2EEENS1_25BinaryOpScalarListFunctorIN3c108BFloat16ELi2ELi1ELi1EEEJSt7dividesIfEEEEvT_T0_DpT1_
    .private_segment_fixed_size: 0
    .sgpr_count:     26
    .sgpr_spill_count: 0
    .symbol:         _ZN2at6native12_GLOBAL__N_125multi_tensor_apply_kernelINS1_28TensorListScalarListMetadataIfLi2EEENS1_25BinaryOpScalarListFunctorIN3c108BFloat16ELi2ELi1ELi1EEEJSt7dividesIfEEEEvT_T0_DpT1_.kd
    .uniform_work_group_size: 1
    .uses_dynamic_stack: false
    .vgpr_count:     33
    .vgpr_spill_count: 0
    .wavefront_size: 32
    .workgroup_processor_mode: 1
  - .args:
      - .offset:         0
        .size:           3232
        .value_kind:     by_value
      - .offset:         3232
        .size:           1
        .value_kind:     by_value
      - .offset:         3233
        .size:           1
        .value_kind:     by_value
      - .offset:         3240
        .size:           4
        .value_kind:     hidden_block_count_x
      - .offset:         3244
        .size:           4
        .value_kind:     hidden_block_count_y
      - .offset:         3248
        .size:           4
        .value_kind:     hidden_block_count_z
      - .offset:         3252
        .size:           2
        .value_kind:     hidden_group_size_x
      - .offset:         3254
        .size:           2
        .value_kind:     hidden_group_size_y
      - .offset:         3256
        .size:           2
        .value_kind:     hidden_group_size_z
      - .offset:         3258
        .size:           2
        .value_kind:     hidden_remainder_x
      - .offset:         3260
        .size:           2
        .value_kind:     hidden_remainder_y
      - .offset:         3262
        .size:           2
        .value_kind:     hidden_remainder_z
      - .offset:         3280
        .size:           8
        .value_kind:     hidden_global_offset_x
      - .offset:         3288
        .size:           8
        .value_kind:     hidden_global_offset_y
      - .offset:         3296
        .size:           8
        .value_kind:     hidden_global_offset_z
      - .offset:         3304
        .size:           2
        .value_kind:     hidden_grid_dims
    .group_segment_fixed_size: 0
    .kernarg_segment_align: 8
    .kernarg_segment_size: 3496
    .language:       OpenCL C
    .language_version:
      - 2
      - 0
    .max_flat_workgroup_size: 512
    .name:           _ZN2at6native12_GLOBAL__N_125multi_tensor_apply_kernelINS1_28TensorListScalarListMetadataIhLi1EEENS1_25BinaryOpScalarListFunctorIhLi1ELi1ELi0EEEJNS1_13power_functorIhEEEEEvT_T0_DpT1_
    .private_segment_fixed_size: 0
    .sgpr_count:     26
    .sgpr_spill_count: 0
    .symbol:         _ZN2at6native12_GLOBAL__N_125multi_tensor_apply_kernelINS1_28TensorListScalarListMetadataIhLi1EEENS1_25BinaryOpScalarListFunctorIhLi1ELi1ELi0EEEJNS1_13power_functorIhEEEEEvT_T0_DpT1_.kd
    .uniform_work_group_size: 1
    .uses_dynamic_stack: false
    .vgpr_count:     16
    .vgpr_spill_count: 0
    .wavefront_size: 32
    .workgroup_processor_mode: 1
  - .args:
      - .offset:         0
        .size:           3232
        .value_kind:     by_value
      - .offset:         3232
        .size:           1
        .value_kind:     by_value
      - .offset:         3233
        .size:           1
        .value_kind:     by_value
      - .offset:         3240
        .size:           4
        .value_kind:     hidden_block_count_x
      - .offset:         3244
        .size:           4
        .value_kind:     hidden_block_count_y
      - .offset:         3248
        .size:           4
        .value_kind:     hidden_block_count_z
      - .offset:         3252
        .size:           2
        .value_kind:     hidden_group_size_x
      - .offset:         3254
        .size:           2
        .value_kind:     hidden_group_size_y
      - .offset:         3256
        .size:           2
        .value_kind:     hidden_group_size_z
      - .offset:         3258
        .size:           2
        .value_kind:     hidden_remainder_x
      - .offset:         3260
        .size:           2
        .value_kind:     hidden_remainder_y
      - .offset:         3262
        .size:           2
        .value_kind:     hidden_remainder_z
      - .offset:         3280
        .size:           8
        .value_kind:     hidden_global_offset_x
      - .offset:         3288
        .size:           8
        .value_kind:     hidden_global_offset_y
      - .offset:         3296
        .size:           8
        .value_kind:     hidden_global_offset_z
      - .offset:         3304
        .size:           2
        .value_kind:     hidden_grid_dims
    .group_segment_fixed_size: 0
    .kernarg_segment_align: 8
    .kernarg_segment_size: 3496
    .language:       OpenCL C
    .language_version:
      - 2
      - 0
    .max_flat_workgroup_size: 512
    .name:           _ZN2at6native12_GLOBAL__N_125multi_tensor_apply_kernelINS1_28TensorListScalarListMetadataIaLi1EEENS1_25BinaryOpScalarListFunctorIaLi1ELi1ELi0EEEJNS1_13power_functorIaEEEEEvT_T0_DpT1_
    .private_segment_fixed_size: 0
    .sgpr_count:     29
    .sgpr_spill_count: 0
    .symbol:         _ZN2at6native12_GLOBAL__N_125multi_tensor_apply_kernelINS1_28TensorListScalarListMetadataIaLi1EEENS1_25BinaryOpScalarListFunctorIaLi1ELi1ELi0EEEJNS1_13power_functorIaEEEEEvT_T0_DpT1_.kd
    .uniform_work_group_size: 1
    .uses_dynamic_stack: false
    .vgpr_count:     19
    .vgpr_spill_count: 0
    .wavefront_size: 32
    .workgroup_processor_mode: 1
  - .args:
      - .offset:         0
        .size:           3520
        .value_kind:     by_value
      - .offset:         3520
        .size:           1
        .value_kind:     by_value
      - .offset:         3521
        .size:           1
        .value_kind:     by_value
      - .offset:         3528
        .size:           4
        .value_kind:     hidden_block_count_x
      - .offset:         3532
        .size:           4
        .value_kind:     hidden_block_count_y
      - .offset:         3536
        .size:           4
        .value_kind:     hidden_block_count_z
      - .offset:         3540
        .size:           2
        .value_kind:     hidden_group_size_x
      - .offset:         3542
        .size:           2
        .value_kind:     hidden_group_size_y
      - .offset:         3544
        .size:           2
        .value_kind:     hidden_group_size_z
      - .offset:         3546
        .size:           2
        .value_kind:     hidden_remainder_x
      - .offset:         3548
        .size:           2
        .value_kind:     hidden_remainder_y
      - .offset:         3550
        .size:           2
        .value_kind:     hidden_remainder_z
      - .offset:         3568
        .size:           8
        .value_kind:     hidden_global_offset_x
      - .offset:         3576
        .size:           8
        .value_kind:     hidden_global_offset_y
      - .offset:         3584
        .size:           8
        .value_kind:     hidden_global_offset_z
      - .offset:         3592
        .size:           2
        .value_kind:     hidden_grid_dims
    .group_segment_fixed_size: 0
    .kernarg_segment_align: 8
    .kernarg_segment_size: 3784
    .language:       OpenCL C
    .language_version:
      - 2
      - 0
    .max_flat_workgroup_size: 512
    .name:           _ZN2at6native12_GLOBAL__N_125multi_tensor_apply_kernelINS1_28TensorListScalarListMetadataIiLi1EEENS1_25BinaryOpScalarListFunctorIiLi1ELi1ELi0EEEJNS1_13power_functorIiEEEEEvT_T0_DpT1_
    .private_segment_fixed_size: 0
    .sgpr_count:     30
    .sgpr_spill_count: 0
    .symbol:         _ZN2at6native12_GLOBAL__N_125multi_tensor_apply_kernelINS1_28TensorListScalarListMetadataIiLi1EEENS1_25BinaryOpScalarListFunctorIiLi1ELi1ELi0EEEJNS1_13power_functorIiEEEEEvT_T0_DpT1_.kd
    .uniform_work_group_size: 1
    .uses_dynamic_stack: false
    .vgpr_count:     17
    .vgpr_spill_count: 0
    .wavefront_size: 32
    .workgroup_processor_mode: 1
  - .args:
      - .offset:         0
        .size:           3904
        .value_kind:     by_value
      - .offset:         3904
        .size:           1
        .value_kind:     by_value
      - .offset:         3905
        .size:           1
        .value_kind:     by_value
      - .offset:         3912
        .size:           4
        .value_kind:     hidden_block_count_x
      - .offset:         3916
        .size:           4
        .value_kind:     hidden_block_count_y
      - .offset:         3920
        .size:           4
        .value_kind:     hidden_block_count_z
      - .offset:         3924
        .size:           2
        .value_kind:     hidden_group_size_x
      - .offset:         3926
        .size:           2
        .value_kind:     hidden_group_size_y
      - .offset:         3928
        .size:           2
        .value_kind:     hidden_group_size_z
      - .offset:         3930
        .size:           2
        .value_kind:     hidden_remainder_x
      - .offset:         3932
        .size:           2
        .value_kind:     hidden_remainder_y
      - .offset:         3934
        .size:           2
        .value_kind:     hidden_remainder_z
      - .offset:         3952
        .size:           8
        .value_kind:     hidden_global_offset_x
      - .offset:         3960
        .size:           8
        .value_kind:     hidden_global_offset_y
      - .offset:         3968
        .size:           8
        .value_kind:     hidden_global_offset_z
      - .offset:         3976
        .size:           2
        .value_kind:     hidden_grid_dims
    .group_segment_fixed_size: 0
    .kernarg_segment_align: 8
    .kernarg_segment_size: 4168
    .language:       OpenCL C
    .language_version:
      - 2
      - 0
    .max_flat_workgroup_size: 512
    .name:           _ZN2at6native12_GLOBAL__N_125multi_tensor_apply_kernelINS1_28TensorListScalarListMetadataIlLi1EEENS1_25BinaryOpScalarListFunctorIlLi1ELi1ELi0EEEJNS1_13power_functorIlEEEEEvT_T0_DpT1_
    .private_segment_fixed_size: 0
    .sgpr_count:     32
    .sgpr_spill_count: 0
    .symbol:         _ZN2at6native12_GLOBAL__N_125multi_tensor_apply_kernelINS1_28TensorListScalarListMetadataIlLi1EEENS1_25BinaryOpScalarListFunctorIlLi1ELi1ELi0EEEJNS1_13power_functorIlEEEEEvT_T0_DpT1_.kd
    .uniform_work_group_size: 1
    .uses_dynamic_stack: false
    .vgpr_count:     26
    .vgpr_spill_count: 0
    .wavefront_size: 32
    .workgroup_processor_mode: 1
  - .args:
      - .offset:         0
        .size:           3328
        .value_kind:     by_value
      - .offset:         3328
        .size:           1
        .value_kind:     by_value
      - .offset:         3329
        .size:           1
        .value_kind:     by_value
      - .offset:         3336
        .size:           4
        .value_kind:     hidden_block_count_x
      - .offset:         3340
        .size:           4
        .value_kind:     hidden_block_count_y
      - .offset:         3344
        .size:           4
        .value_kind:     hidden_block_count_z
      - .offset:         3348
        .size:           2
        .value_kind:     hidden_group_size_x
      - .offset:         3350
        .size:           2
        .value_kind:     hidden_group_size_y
      - .offset:         3352
        .size:           2
        .value_kind:     hidden_group_size_z
      - .offset:         3354
        .size:           2
        .value_kind:     hidden_remainder_x
      - .offset:         3356
        .size:           2
        .value_kind:     hidden_remainder_y
      - .offset:         3358
        .size:           2
        .value_kind:     hidden_remainder_z
      - .offset:         3376
        .size:           8
        .value_kind:     hidden_global_offset_x
      - .offset:         3384
        .size:           8
        .value_kind:     hidden_global_offset_y
      - .offset:         3392
        .size:           8
        .value_kind:     hidden_global_offset_z
      - .offset:         3400
        .size:           2
        .value_kind:     hidden_grid_dims
    .group_segment_fixed_size: 0
    .kernarg_segment_align: 8
    .kernarg_segment_size: 3592
    .language:       OpenCL C
    .language_version:
      - 2
      - 0
    .max_flat_workgroup_size: 512
    .name:           _ZN2at6native12_GLOBAL__N_125multi_tensor_apply_kernelINS1_28TensorListScalarListMetadataIsLi1EEENS1_25BinaryOpScalarListFunctorIsLi1ELi1ELi0EEEJNS1_13power_functorIsEEEEEvT_T0_DpT1_
    .private_segment_fixed_size: 0
    .sgpr_count:     30
    .sgpr_spill_count: 0
    .symbol:         _ZN2at6native12_GLOBAL__N_125multi_tensor_apply_kernelINS1_28TensorListScalarListMetadataIsLi1EEENS1_25BinaryOpScalarListFunctorIsLi1ELi1ELi0EEEJNS1_13power_functorIsEEEEEvT_T0_DpT1_.kd
    .uniform_work_group_size: 1
    .uses_dynamic_stack: false
    .vgpr_count:     17
    .vgpr_spill_count: 0
    .wavefront_size: 32
    .workgroup_processor_mode: 1
  - .args:
      - .offset:         0
        .size:           3904
        .value_kind:     by_value
      - .offset:         3904
        .size:           1
        .value_kind:     by_value
      - .offset:         3905
        .size:           1
        .value_kind:     by_value
      - .offset:         3912
        .size:           4
        .value_kind:     hidden_block_count_x
      - .offset:         3916
        .size:           4
        .value_kind:     hidden_block_count_y
      - .offset:         3920
        .size:           4
        .value_kind:     hidden_block_count_z
      - .offset:         3924
        .size:           2
        .value_kind:     hidden_group_size_x
      - .offset:         3926
        .size:           2
        .value_kind:     hidden_group_size_y
      - .offset:         3928
        .size:           2
        .value_kind:     hidden_group_size_z
      - .offset:         3930
        .size:           2
        .value_kind:     hidden_remainder_x
      - .offset:         3932
        .size:           2
        .value_kind:     hidden_remainder_y
      - .offset:         3934
        .size:           2
        .value_kind:     hidden_remainder_z
      - .offset:         3952
        .size:           8
        .value_kind:     hidden_global_offset_x
      - .offset:         3960
        .size:           8
        .value_kind:     hidden_global_offset_y
      - .offset:         3968
        .size:           8
        .value_kind:     hidden_global_offset_z
      - .offset:         3976
        .size:           2
        .value_kind:     hidden_grid_dims
    .group_segment_fixed_size: 0
    .kernarg_segment_align: 8
    .kernarg_segment_size: 4168
    .language:       OpenCL C
    .language_version:
      - 2
      - 0
    .max_flat_workgroup_size: 512
    .name:           _ZN2at6native12_GLOBAL__N_125multi_tensor_apply_kernelINS1_28TensorListScalarListMetadataIdLi1EEENS1_25BinaryOpScalarListFunctorIdLi1ELi1ELi0EEEJNS1_13power_functorIdEEEEEvT_T0_DpT1_
    .private_segment_fixed_size: 0
    .sgpr_count:     93
    .sgpr_spill_count: 0
    .symbol:         _ZN2at6native12_GLOBAL__N_125multi_tensor_apply_kernelINS1_28TensorListScalarListMetadataIdLi1EEENS1_25BinaryOpScalarListFunctorIdLi1ELi1ELi0EEEJNS1_13power_functorIdEEEEEvT_T0_DpT1_.kd
    .uniform_work_group_size: 1
    .uses_dynamic_stack: false
    .vgpr_count:     78
    .vgpr_spill_count: 0
    .wavefront_size: 32
    .workgroup_processor_mode: 1
  - .args:
      - .offset:         0
        .size:           3520
        .value_kind:     by_value
      - .offset:         3520
        .size:           1
        .value_kind:     by_value
      - .offset:         3521
        .size:           1
        .value_kind:     by_value
      - .offset:         3528
        .size:           4
        .value_kind:     hidden_block_count_x
      - .offset:         3532
        .size:           4
        .value_kind:     hidden_block_count_y
      - .offset:         3536
        .size:           4
        .value_kind:     hidden_block_count_z
      - .offset:         3540
        .size:           2
        .value_kind:     hidden_group_size_x
      - .offset:         3542
        .size:           2
        .value_kind:     hidden_group_size_y
      - .offset:         3544
        .size:           2
        .value_kind:     hidden_group_size_z
      - .offset:         3546
        .size:           2
        .value_kind:     hidden_remainder_x
      - .offset:         3548
        .size:           2
        .value_kind:     hidden_remainder_y
      - .offset:         3550
        .size:           2
        .value_kind:     hidden_remainder_z
      - .offset:         3568
        .size:           8
        .value_kind:     hidden_global_offset_x
      - .offset:         3576
        .size:           8
        .value_kind:     hidden_global_offset_y
      - .offset:         3584
        .size:           8
        .value_kind:     hidden_global_offset_z
      - .offset:         3592
        .size:           2
        .value_kind:     hidden_grid_dims
    .group_segment_fixed_size: 0
    .kernarg_segment_align: 8
    .kernarg_segment_size: 3784
    .language:       OpenCL C
    .language_version:
      - 2
      - 0
    .max_flat_workgroup_size: 512
    .name:           _ZN2at6native12_GLOBAL__N_125multi_tensor_apply_kernelINS1_28TensorListScalarListMetadataIfLi1EEENS1_25BinaryOpScalarListFunctorIfLi1ELi1ELi0EEEJNS1_13power_functorIfEEEEEvT_T0_DpT1_
    .private_segment_fixed_size: 0
    .sgpr_count:     34
    .sgpr_spill_count: 0
    .symbol:         _ZN2at6native12_GLOBAL__N_125multi_tensor_apply_kernelINS1_28TensorListScalarListMetadataIfLi1EEENS1_25BinaryOpScalarListFunctorIfLi1ELi1ELi0EEEJNS1_13power_functorIfEEEEEvT_T0_DpT1_.kd
    .uniform_work_group_size: 1
    .uses_dynamic_stack: false
    .vgpr_count:     60
    .vgpr_spill_count: 0
    .wavefront_size: 32
    .workgroup_processor_mode: 1
  - .args:
      - .offset:         0
        .size:           3904
        .value_kind:     by_value
      - .offset:         3904
        .size:           1
        .value_kind:     by_value
      - .offset:         3905
        .size:           1
        .value_kind:     by_value
      - .offset:         3912
        .size:           4
        .value_kind:     hidden_block_count_x
      - .offset:         3916
        .size:           4
        .value_kind:     hidden_block_count_y
      - .offset:         3920
        .size:           4
        .value_kind:     hidden_block_count_z
      - .offset:         3924
        .size:           2
        .value_kind:     hidden_group_size_x
      - .offset:         3926
        .size:           2
        .value_kind:     hidden_group_size_y
      - .offset:         3928
        .size:           2
        .value_kind:     hidden_group_size_z
      - .offset:         3930
        .size:           2
        .value_kind:     hidden_remainder_x
      - .offset:         3932
        .size:           2
        .value_kind:     hidden_remainder_y
      - .offset:         3934
        .size:           2
        .value_kind:     hidden_remainder_z
      - .offset:         3952
        .size:           8
        .value_kind:     hidden_global_offset_x
      - .offset:         3960
        .size:           8
        .value_kind:     hidden_global_offset_y
      - .offset:         3968
        .size:           8
        .value_kind:     hidden_global_offset_z
      - .offset:         3976
        .size:           2
        .value_kind:     hidden_grid_dims
    .group_segment_fixed_size: 0
    .kernarg_segment_align: 16
    .kernarg_segment_size: 4168
    .language:       OpenCL C
    .language_version:
      - 2
      - 0
    .max_flat_workgroup_size: 512
    .name:           _ZN2at6native12_GLOBAL__N_125multi_tensor_apply_kernelINS1_28TensorListScalarListMetadataIN3c107complexIdEELi1EEENS1_25BinaryOpScalarListFunctorIS6_Li1ELi1ELi0EEEJNS1_13power_functorIS6_EEEEEvT_T0_DpT1_
    .private_segment_fixed_size: 0
    .sgpr_count:     52
    .sgpr_spill_count: 0
    .symbol:         _ZN2at6native12_GLOBAL__N_125multi_tensor_apply_kernelINS1_28TensorListScalarListMetadataIN3c107complexIdEELi1EEENS1_25BinaryOpScalarListFunctorIS6_Li1ELi1ELi0EEEJNS1_13power_functorIS6_EEEEEvT_T0_DpT1_.kd
    .uniform_work_group_size: 1
    .uses_dynamic_stack: false
    .vgpr_count:     77
    .vgpr_spill_count: 0
    .wavefront_size: 32
    .workgroup_processor_mode: 1
  - .args:
      - .offset:         0
        .size:           3904
        .value_kind:     by_value
      - .offset:         3904
        .size:           1
        .value_kind:     by_value
      - .offset:         3905
        .size:           1
        .value_kind:     by_value
      - .offset:         3912
        .size:           4
        .value_kind:     hidden_block_count_x
      - .offset:         3916
        .size:           4
        .value_kind:     hidden_block_count_y
      - .offset:         3920
        .size:           4
        .value_kind:     hidden_block_count_z
      - .offset:         3924
        .size:           2
        .value_kind:     hidden_group_size_x
      - .offset:         3926
        .size:           2
        .value_kind:     hidden_group_size_y
      - .offset:         3928
        .size:           2
        .value_kind:     hidden_group_size_z
      - .offset:         3930
        .size:           2
        .value_kind:     hidden_remainder_x
      - .offset:         3932
        .size:           2
        .value_kind:     hidden_remainder_y
      - .offset:         3934
        .size:           2
        .value_kind:     hidden_remainder_z
      - .offset:         3952
        .size:           8
        .value_kind:     hidden_global_offset_x
      - .offset:         3960
        .size:           8
        .value_kind:     hidden_global_offset_y
      - .offset:         3968
        .size:           8
        .value_kind:     hidden_global_offset_z
      - .offset:         3976
        .size:           2
        .value_kind:     hidden_grid_dims
    .group_segment_fixed_size: 0
    .kernarg_segment_align: 8
    .kernarg_segment_size: 4168
    .language:       OpenCL C
    .language_version:
      - 2
      - 0
    .max_flat_workgroup_size: 512
    .name:           _ZN2at6native12_GLOBAL__N_125multi_tensor_apply_kernelINS1_28TensorListScalarListMetadataIN3c107complexIfEELi1EEENS1_25BinaryOpScalarListFunctorIS6_Li1ELi1ELi0EEEJNS1_13power_functorIS6_EEEEEvT_T0_DpT1_
    .private_segment_fixed_size: 16
    .sgpr_count:     55
    .sgpr_spill_count: 0
    .symbol:         _ZN2at6native12_GLOBAL__N_125multi_tensor_apply_kernelINS1_28TensorListScalarListMetadataIN3c107complexIfEELi1EEENS1_25BinaryOpScalarListFunctorIS6_Li1ELi1ELi0EEEJNS1_13power_functorIS6_EEEEEvT_T0_DpT1_.kd
    .uniform_work_group_size: 1
    .uses_dynamic_stack: false
    .vgpr_count:     39
    .vgpr_spill_count: 0
    .wavefront_size: 32
    .workgroup_processor_mode: 1
  - .args:
      - .offset:         0
        .size:           3520
        .value_kind:     by_value
      - .offset:         3520
        .size:           1
        .value_kind:     by_value
      - .offset:         3521
        .size:           1
        .value_kind:     by_value
      - .offset:         3528
        .size:           4
        .value_kind:     hidden_block_count_x
      - .offset:         3532
        .size:           4
        .value_kind:     hidden_block_count_y
      - .offset:         3536
        .size:           4
        .value_kind:     hidden_block_count_z
      - .offset:         3540
        .size:           2
        .value_kind:     hidden_group_size_x
      - .offset:         3542
        .size:           2
        .value_kind:     hidden_group_size_y
      - .offset:         3544
        .size:           2
        .value_kind:     hidden_group_size_z
      - .offset:         3546
        .size:           2
        .value_kind:     hidden_remainder_x
      - .offset:         3548
        .size:           2
        .value_kind:     hidden_remainder_y
      - .offset:         3550
        .size:           2
        .value_kind:     hidden_remainder_z
      - .offset:         3568
        .size:           8
        .value_kind:     hidden_global_offset_x
      - .offset:         3576
        .size:           8
        .value_kind:     hidden_global_offset_y
      - .offset:         3584
        .size:           8
        .value_kind:     hidden_global_offset_z
      - .offset:         3592
        .size:           2
        .value_kind:     hidden_grid_dims
    .group_segment_fixed_size: 0
    .kernarg_segment_align: 8
    .kernarg_segment_size: 3784
    .language:       OpenCL C
    .language_version:
      - 2
      - 0
    .max_flat_workgroup_size: 512
    .name:           _ZN2at6native12_GLOBAL__N_125multi_tensor_apply_kernelINS1_28TensorListScalarListMetadataIfLi1EEENS1_25BinaryOpScalarListFunctorIN3c104HalfELi1ELi1ELi0EEEJNS1_13power_functorIfEEEEEvT_T0_DpT1_
    .private_segment_fixed_size: 0
    .sgpr_count:     34
    .sgpr_spill_count: 0
    .symbol:         _ZN2at6native12_GLOBAL__N_125multi_tensor_apply_kernelINS1_28TensorListScalarListMetadataIfLi1EEENS1_25BinaryOpScalarListFunctorIN3c104HalfELi1ELi1ELi0EEEJNS1_13power_functorIfEEEEEvT_T0_DpT1_.kd
    .uniform_work_group_size: 1
    .uses_dynamic_stack: false
    .vgpr_count:     60
    .vgpr_spill_count: 0
    .wavefront_size: 32
    .workgroup_processor_mode: 1
  - .args:
      - .offset:         0
        .size:           3520
        .value_kind:     by_value
      - .offset:         3520
        .size:           1
        .value_kind:     by_value
      - .offset:         3521
        .size:           1
        .value_kind:     by_value
      - .offset:         3528
        .size:           4
        .value_kind:     hidden_block_count_x
      - .offset:         3532
        .size:           4
        .value_kind:     hidden_block_count_y
      - .offset:         3536
        .size:           4
        .value_kind:     hidden_block_count_z
      - .offset:         3540
        .size:           2
        .value_kind:     hidden_group_size_x
      - .offset:         3542
        .size:           2
        .value_kind:     hidden_group_size_y
      - .offset:         3544
        .size:           2
        .value_kind:     hidden_group_size_z
      - .offset:         3546
        .size:           2
        .value_kind:     hidden_remainder_x
      - .offset:         3548
        .size:           2
        .value_kind:     hidden_remainder_y
      - .offset:         3550
        .size:           2
        .value_kind:     hidden_remainder_z
      - .offset:         3568
        .size:           8
        .value_kind:     hidden_global_offset_x
      - .offset:         3576
        .size:           8
        .value_kind:     hidden_global_offset_y
      - .offset:         3584
        .size:           8
        .value_kind:     hidden_global_offset_z
      - .offset:         3592
        .size:           2
        .value_kind:     hidden_grid_dims
    .group_segment_fixed_size: 0
    .kernarg_segment_align: 8
    .kernarg_segment_size: 3784
    .language:       OpenCL C
    .language_version:
      - 2
      - 0
    .max_flat_workgroup_size: 512
    .name:           _ZN2at6native12_GLOBAL__N_125multi_tensor_apply_kernelINS1_28TensorListScalarListMetadataIfLi1EEENS1_25BinaryOpScalarListFunctorIN3c108BFloat16ELi1ELi1ELi0EEEJNS1_13power_functorIfEEEEEvT_T0_DpT1_
    .private_segment_fixed_size: 0
    .sgpr_count:     32
    .sgpr_spill_count: 0
    .symbol:         _ZN2at6native12_GLOBAL__N_125multi_tensor_apply_kernelINS1_28TensorListScalarListMetadataIfLi1EEENS1_25BinaryOpScalarListFunctorIN3c108BFloat16ELi1ELi1ELi0EEEJNS1_13power_functorIfEEEEEvT_T0_DpT1_.kd
    .uniform_work_group_size: 1
    .uses_dynamic_stack: false
    .vgpr_count:     60
    .vgpr_spill_count: 0
    .wavefront_size: 32
    .workgroup_processor_mode: 1
  - .args:
      - .offset:         0
        .size:           3200
        .value_kind:     by_value
      - .offset:         3200
        .size:           1
        .value_kind:     by_value
      - .offset:         3201
        .size:           1
        .value_kind:     by_value
      - .offset:         3208
        .size:           4
        .value_kind:     hidden_block_count_x
      - .offset:         3212
        .size:           4
        .value_kind:     hidden_block_count_y
      - .offset:         3216
        .size:           4
        .value_kind:     hidden_block_count_z
      - .offset:         3220
        .size:           2
        .value_kind:     hidden_group_size_x
      - .offset:         3222
        .size:           2
        .value_kind:     hidden_group_size_y
      - .offset:         3224
        .size:           2
        .value_kind:     hidden_group_size_z
      - .offset:         3226
        .size:           2
        .value_kind:     hidden_remainder_x
      - .offset:         3228
        .size:           2
        .value_kind:     hidden_remainder_y
      - .offset:         3230
        .size:           2
        .value_kind:     hidden_remainder_z
      - .offset:         3248
        .size:           8
        .value_kind:     hidden_global_offset_x
      - .offset:         3256
        .size:           8
        .value_kind:     hidden_global_offset_y
      - .offset:         3264
        .size:           8
        .value_kind:     hidden_global_offset_z
      - .offset:         3272
        .size:           2
        .value_kind:     hidden_grid_dims
    .group_segment_fixed_size: 0
    .kernarg_segment_align: 8
    .kernarg_segment_size: 3464
    .language:       OpenCL C
    .language_version:
      - 2
      - 0
    .max_flat_workgroup_size: 512
    .name:           _ZN2at6native12_GLOBAL__N_125multi_tensor_apply_kernelINS1_28TensorListScalarListMetadataIhLi2EEENS1_25BinaryOpScalarListFunctorIhLi2ELi1ELi1EEEJNS1_13power_functorIhEEEEEvT_T0_DpT1_
    .private_segment_fixed_size: 0
    .sgpr_count:     28
    .sgpr_spill_count: 0
    .symbol:         _ZN2at6native12_GLOBAL__N_125multi_tensor_apply_kernelINS1_28TensorListScalarListMetadataIhLi2EEENS1_25BinaryOpScalarListFunctorIhLi2ELi1ELi1EEEJNS1_13power_functorIhEEEEEvT_T0_DpT1_.kd
    .uniform_work_group_size: 1
    .uses_dynamic_stack: false
    .vgpr_count:     16
    .vgpr_spill_count: 0
    .wavefront_size: 32
    .workgroup_processor_mode: 1
  - .args:
      - .offset:         0
        .size:           3200
        .value_kind:     by_value
      - .offset:         3200
        .size:           1
        .value_kind:     by_value
      - .offset:         3201
        .size:           1
        .value_kind:     by_value
      - .offset:         3208
        .size:           4
        .value_kind:     hidden_block_count_x
      - .offset:         3212
        .size:           4
        .value_kind:     hidden_block_count_y
      - .offset:         3216
        .size:           4
        .value_kind:     hidden_block_count_z
      - .offset:         3220
        .size:           2
        .value_kind:     hidden_group_size_x
      - .offset:         3222
        .size:           2
        .value_kind:     hidden_group_size_y
      - .offset:         3224
        .size:           2
        .value_kind:     hidden_group_size_z
      - .offset:         3226
        .size:           2
        .value_kind:     hidden_remainder_x
      - .offset:         3228
        .size:           2
        .value_kind:     hidden_remainder_y
      - .offset:         3230
        .size:           2
        .value_kind:     hidden_remainder_z
      - .offset:         3248
        .size:           8
        .value_kind:     hidden_global_offset_x
      - .offset:         3256
        .size:           8
        .value_kind:     hidden_global_offset_y
      - .offset:         3264
        .size:           8
        .value_kind:     hidden_global_offset_z
      - .offset:         3272
        .size:           2
        .value_kind:     hidden_grid_dims
    .group_segment_fixed_size: 0
    .kernarg_segment_align: 8
    .kernarg_segment_size: 3464
    .language:       OpenCL C
    .language_version:
      - 2
      - 0
    .max_flat_workgroup_size: 512
    .name:           _ZN2at6native12_GLOBAL__N_125multi_tensor_apply_kernelINS1_28TensorListScalarListMetadataIaLi2EEENS1_25BinaryOpScalarListFunctorIaLi2ELi1ELi1EEEJNS1_13power_functorIaEEEEEvT_T0_DpT1_
    .private_segment_fixed_size: 0
    .sgpr_count:     31
    .sgpr_spill_count: 0
    .symbol:         _ZN2at6native12_GLOBAL__N_125multi_tensor_apply_kernelINS1_28TensorListScalarListMetadataIaLi2EEENS1_25BinaryOpScalarListFunctorIaLi2ELi1ELi1EEEJNS1_13power_functorIaEEEEEvT_T0_DpT1_.kd
    .uniform_work_group_size: 1
    .uses_dynamic_stack: false
    .vgpr_count:     19
    .vgpr_spill_count: 0
    .wavefront_size: 32
    .workgroup_processor_mode: 1
  - .args:
      - .offset:         0
        .size:           3392
        .value_kind:     by_value
      - .offset:         3392
        .size:           1
        .value_kind:     by_value
      - .offset:         3393
        .size:           1
        .value_kind:     by_value
      - .offset:         3400
        .size:           4
        .value_kind:     hidden_block_count_x
      - .offset:         3404
        .size:           4
        .value_kind:     hidden_block_count_y
      - .offset:         3408
        .size:           4
        .value_kind:     hidden_block_count_z
      - .offset:         3412
        .size:           2
        .value_kind:     hidden_group_size_x
      - .offset:         3414
        .size:           2
        .value_kind:     hidden_group_size_y
      - .offset:         3416
        .size:           2
        .value_kind:     hidden_group_size_z
      - .offset:         3418
        .size:           2
        .value_kind:     hidden_remainder_x
      - .offset:         3420
        .size:           2
        .value_kind:     hidden_remainder_y
      - .offset:         3422
        .size:           2
        .value_kind:     hidden_remainder_z
      - .offset:         3440
        .size:           8
        .value_kind:     hidden_global_offset_x
      - .offset:         3448
        .size:           8
        .value_kind:     hidden_global_offset_y
      - .offset:         3456
        .size:           8
        .value_kind:     hidden_global_offset_z
      - .offset:         3464
        .size:           2
        .value_kind:     hidden_grid_dims
    .group_segment_fixed_size: 0
    .kernarg_segment_align: 8
    .kernarg_segment_size: 3656
    .language:       OpenCL C
    .language_version:
      - 2
      - 0
    .max_flat_workgroup_size: 512
    .name:           _ZN2at6native12_GLOBAL__N_125multi_tensor_apply_kernelINS1_28TensorListScalarListMetadataIiLi2EEENS1_25BinaryOpScalarListFunctorIiLi2ELi1ELi1EEEJNS1_13power_functorIiEEEEEvT_T0_DpT1_
    .private_segment_fixed_size: 0
    .sgpr_count:     32
    .sgpr_spill_count: 0
    .symbol:         _ZN2at6native12_GLOBAL__N_125multi_tensor_apply_kernelINS1_28TensorListScalarListMetadataIiLi2EEENS1_25BinaryOpScalarListFunctorIiLi2ELi1ELi1EEEJNS1_13power_functorIiEEEEEvT_T0_DpT1_.kd
    .uniform_work_group_size: 1
    .uses_dynamic_stack: false
    .vgpr_count:     17
    .vgpr_spill_count: 0
    .wavefront_size: 32
    .workgroup_processor_mode: 1
  - .args:
      - .offset:         0
        .size:           3648
        .value_kind:     by_value
      - .offset:         3648
        .size:           1
        .value_kind:     by_value
      - .offset:         3649
        .size:           1
        .value_kind:     by_value
      - .offset:         3656
        .size:           4
        .value_kind:     hidden_block_count_x
      - .offset:         3660
        .size:           4
        .value_kind:     hidden_block_count_y
      - .offset:         3664
        .size:           4
        .value_kind:     hidden_block_count_z
      - .offset:         3668
        .size:           2
        .value_kind:     hidden_group_size_x
      - .offset:         3670
        .size:           2
        .value_kind:     hidden_group_size_y
      - .offset:         3672
        .size:           2
        .value_kind:     hidden_group_size_z
      - .offset:         3674
        .size:           2
        .value_kind:     hidden_remainder_x
      - .offset:         3676
        .size:           2
        .value_kind:     hidden_remainder_y
      - .offset:         3678
        .size:           2
        .value_kind:     hidden_remainder_z
      - .offset:         3696
        .size:           8
        .value_kind:     hidden_global_offset_x
      - .offset:         3704
        .size:           8
        .value_kind:     hidden_global_offset_y
      - .offset:         3712
        .size:           8
        .value_kind:     hidden_global_offset_z
      - .offset:         3720
        .size:           2
        .value_kind:     hidden_grid_dims
    .group_segment_fixed_size: 0
    .kernarg_segment_align: 8
    .kernarg_segment_size: 3912
    .language:       OpenCL C
    .language_version:
      - 2
      - 0
    .max_flat_workgroup_size: 512
    .name:           _ZN2at6native12_GLOBAL__N_125multi_tensor_apply_kernelINS1_28TensorListScalarListMetadataIlLi2EEENS1_25BinaryOpScalarListFunctorIlLi2ELi1ELi1EEEJNS1_13power_functorIlEEEEEvT_T0_DpT1_
    .private_segment_fixed_size: 0
    .sgpr_count:     34
    .sgpr_spill_count: 0
    .symbol:         _ZN2at6native12_GLOBAL__N_125multi_tensor_apply_kernelINS1_28TensorListScalarListMetadataIlLi2EEENS1_25BinaryOpScalarListFunctorIlLi2ELi1ELi1EEEJNS1_13power_functorIlEEEEEvT_T0_DpT1_.kd
    .uniform_work_group_size: 1
    .uses_dynamic_stack: false
    .vgpr_count:     26
    .vgpr_spill_count: 0
    .wavefront_size: 32
    .workgroup_processor_mode: 1
  - .args:
      - .offset:         0
        .size:           3264
        .value_kind:     by_value
      - .offset:         3264
        .size:           1
        .value_kind:     by_value
      - .offset:         3265
        .size:           1
        .value_kind:     by_value
      - .offset:         3272
        .size:           4
        .value_kind:     hidden_block_count_x
      - .offset:         3276
        .size:           4
        .value_kind:     hidden_block_count_y
      - .offset:         3280
        .size:           4
        .value_kind:     hidden_block_count_z
      - .offset:         3284
        .size:           2
        .value_kind:     hidden_group_size_x
      - .offset:         3286
        .size:           2
        .value_kind:     hidden_group_size_y
      - .offset:         3288
        .size:           2
        .value_kind:     hidden_group_size_z
      - .offset:         3290
        .size:           2
        .value_kind:     hidden_remainder_x
      - .offset:         3292
        .size:           2
        .value_kind:     hidden_remainder_y
      - .offset:         3294
        .size:           2
        .value_kind:     hidden_remainder_z
      - .offset:         3312
        .size:           8
        .value_kind:     hidden_global_offset_x
      - .offset:         3320
        .size:           8
        .value_kind:     hidden_global_offset_y
      - .offset:         3328
        .size:           8
        .value_kind:     hidden_global_offset_z
      - .offset:         3336
        .size:           2
        .value_kind:     hidden_grid_dims
    .group_segment_fixed_size: 0
    .kernarg_segment_align: 8
    .kernarg_segment_size: 3528
    .language:       OpenCL C
    .language_version:
      - 2
      - 0
    .max_flat_workgroup_size: 512
    .name:           _ZN2at6native12_GLOBAL__N_125multi_tensor_apply_kernelINS1_28TensorListScalarListMetadataIsLi2EEENS1_25BinaryOpScalarListFunctorIsLi2ELi1ELi1EEEJNS1_13power_functorIsEEEEEvT_T0_DpT1_
    .private_segment_fixed_size: 0
    .sgpr_count:     32
    .sgpr_spill_count: 0
    .symbol:         _ZN2at6native12_GLOBAL__N_125multi_tensor_apply_kernelINS1_28TensorListScalarListMetadataIsLi2EEENS1_25BinaryOpScalarListFunctorIsLi2ELi1ELi1EEEJNS1_13power_functorIsEEEEEvT_T0_DpT1_.kd
    .uniform_work_group_size: 1
    .uses_dynamic_stack: false
    .vgpr_count:     17
    .vgpr_spill_count: 0
    .wavefront_size: 32
    .workgroup_processor_mode: 1
  - .args:
      - .offset:         0
        .size:           3648
        .value_kind:     by_value
      - .offset:         3648
        .size:           1
        .value_kind:     by_value
      - .offset:         3649
        .size:           1
        .value_kind:     by_value
      - .offset:         3656
        .size:           4
        .value_kind:     hidden_block_count_x
      - .offset:         3660
        .size:           4
        .value_kind:     hidden_block_count_y
      - .offset:         3664
        .size:           4
        .value_kind:     hidden_block_count_z
      - .offset:         3668
        .size:           2
        .value_kind:     hidden_group_size_x
      - .offset:         3670
        .size:           2
        .value_kind:     hidden_group_size_y
      - .offset:         3672
        .size:           2
        .value_kind:     hidden_group_size_z
      - .offset:         3674
        .size:           2
        .value_kind:     hidden_remainder_x
      - .offset:         3676
        .size:           2
        .value_kind:     hidden_remainder_y
      - .offset:         3678
        .size:           2
        .value_kind:     hidden_remainder_z
      - .offset:         3696
        .size:           8
        .value_kind:     hidden_global_offset_x
      - .offset:         3704
        .size:           8
        .value_kind:     hidden_global_offset_y
      - .offset:         3712
        .size:           8
        .value_kind:     hidden_global_offset_z
      - .offset:         3720
        .size:           2
        .value_kind:     hidden_grid_dims
    .group_segment_fixed_size: 0
    .kernarg_segment_align: 8
    .kernarg_segment_size: 3912
    .language:       OpenCL C
    .language_version:
      - 2
      - 0
    .max_flat_workgroup_size: 512
    .name:           _ZN2at6native12_GLOBAL__N_125multi_tensor_apply_kernelINS1_28TensorListScalarListMetadataIdLi2EEENS1_25BinaryOpScalarListFunctorIdLi2ELi1ELi1EEEJNS1_13power_functorIdEEEEEvT_T0_DpT1_
    .private_segment_fixed_size: 0
    .sgpr_count:     90
    .sgpr_spill_count: 0
    .symbol:         _ZN2at6native12_GLOBAL__N_125multi_tensor_apply_kernelINS1_28TensorListScalarListMetadataIdLi2EEENS1_25BinaryOpScalarListFunctorIdLi2ELi1ELi1EEEJNS1_13power_functorIdEEEEEvT_T0_DpT1_.kd
    .uniform_work_group_size: 1
    .uses_dynamic_stack: false
    .vgpr_count:     80
    .vgpr_spill_count: 0
    .wavefront_size: 32
    .workgroup_processor_mode: 1
  - .args:
      - .offset:         0
        .size:           3392
        .value_kind:     by_value
      - .offset:         3392
        .size:           1
        .value_kind:     by_value
      - .offset:         3393
        .size:           1
        .value_kind:     by_value
      - .offset:         3400
        .size:           4
        .value_kind:     hidden_block_count_x
      - .offset:         3404
        .size:           4
        .value_kind:     hidden_block_count_y
      - .offset:         3408
        .size:           4
        .value_kind:     hidden_block_count_z
      - .offset:         3412
        .size:           2
        .value_kind:     hidden_group_size_x
      - .offset:         3414
        .size:           2
        .value_kind:     hidden_group_size_y
      - .offset:         3416
        .size:           2
        .value_kind:     hidden_group_size_z
      - .offset:         3418
        .size:           2
        .value_kind:     hidden_remainder_x
      - .offset:         3420
        .size:           2
        .value_kind:     hidden_remainder_y
      - .offset:         3422
        .size:           2
        .value_kind:     hidden_remainder_z
      - .offset:         3440
        .size:           8
        .value_kind:     hidden_global_offset_x
      - .offset:         3448
        .size:           8
        .value_kind:     hidden_global_offset_y
      - .offset:         3456
        .size:           8
        .value_kind:     hidden_global_offset_z
      - .offset:         3464
        .size:           2
        .value_kind:     hidden_grid_dims
    .group_segment_fixed_size: 0
    .kernarg_segment_align: 8
    .kernarg_segment_size: 3656
    .language:       OpenCL C
    .language_version:
      - 2
      - 0
    .max_flat_workgroup_size: 512
    .name:           _ZN2at6native12_GLOBAL__N_125multi_tensor_apply_kernelINS1_28TensorListScalarListMetadataIfLi2EEENS1_25BinaryOpScalarListFunctorIfLi2ELi1ELi1EEEJNS1_13power_functorIfEEEEEvT_T0_DpT1_
    .private_segment_fixed_size: 0
    .sgpr_count:     41
    .sgpr_spill_count: 0
    .symbol:         _ZN2at6native12_GLOBAL__N_125multi_tensor_apply_kernelINS1_28TensorListScalarListMetadataIfLi2EEENS1_25BinaryOpScalarListFunctorIfLi2ELi1ELi1EEEJNS1_13power_functorIfEEEEEvT_T0_DpT1_.kd
    .uniform_work_group_size: 1
    .uses_dynamic_stack: false
    .vgpr_count:     60
    .vgpr_spill_count: 0
    .wavefront_size: 32
    .workgroup_processor_mode: 1
  - .args:
      - .offset:         0
        .size:           4000
        .value_kind:     by_value
      - .offset:         4000
        .size:           1
        .value_kind:     by_value
      - .offset:         4001
        .size:           1
        .value_kind:     by_value
      - .offset:         4008
        .size:           4
        .value_kind:     hidden_block_count_x
      - .offset:         4012
        .size:           4
        .value_kind:     hidden_block_count_y
      - .offset:         4016
        .size:           4
        .value_kind:     hidden_block_count_z
      - .offset:         4020
        .size:           2
        .value_kind:     hidden_group_size_x
      - .offset:         4022
        .size:           2
        .value_kind:     hidden_group_size_y
      - .offset:         4024
        .size:           2
        .value_kind:     hidden_group_size_z
      - .offset:         4026
        .size:           2
        .value_kind:     hidden_remainder_x
      - .offset:         4028
        .size:           2
        .value_kind:     hidden_remainder_y
      - .offset:         4030
        .size:           2
        .value_kind:     hidden_remainder_z
      - .offset:         4048
        .size:           8
        .value_kind:     hidden_global_offset_x
      - .offset:         4056
        .size:           8
        .value_kind:     hidden_global_offset_y
      - .offset:         4064
        .size:           8
        .value_kind:     hidden_global_offset_z
      - .offset:         4072
        .size:           2
        .value_kind:     hidden_grid_dims
    .group_segment_fixed_size: 0
    .kernarg_segment_align: 16
    .kernarg_segment_size: 4264
    .language:       OpenCL C
    .language_version:
      - 2
      - 0
    .max_flat_workgroup_size: 512
    .name:           _ZN2at6native12_GLOBAL__N_125multi_tensor_apply_kernelINS1_28TensorListScalarListMetadataIN3c107complexIdEELi2EEENS1_25BinaryOpScalarListFunctorIS6_Li2ELi1ELi1EEEJNS1_13power_functorIS6_EEEEEvT_T0_DpT1_
    .private_segment_fixed_size: 0
    .sgpr_count:     52
    .sgpr_spill_count: 0
    .symbol:         _ZN2at6native12_GLOBAL__N_125multi_tensor_apply_kernelINS1_28TensorListScalarListMetadataIN3c107complexIdEELi2EEENS1_25BinaryOpScalarListFunctorIS6_Li2ELi1ELi1EEEJNS1_13power_functorIS6_EEEEEvT_T0_DpT1_.kd
    .uniform_work_group_size: 1
    .uses_dynamic_stack: false
    .vgpr_count:     74
    .vgpr_spill_count: 0
    .wavefront_size: 32
    .workgroup_processor_mode: 1
  - .args:
      - .offset:         0
        .size:           3648
        .value_kind:     by_value
      - .offset:         3648
        .size:           1
        .value_kind:     by_value
      - .offset:         3649
        .size:           1
        .value_kind:     by_value
      - .offset:         3656
        .size:           4
        .value_kind:     hidden_block_count_x
      - .offset:         3660
        .size:           4
        .value_kind:     hidden_block_count_y
      - .offset:         3664
        .size:           4
        .value_kind:     hidden_block_count_z
      - .offset:         3668
        .size:           2
        .value_kind:     hidden_group_size_x
      - .offset:         3670
        .size:           2
        .value_kind:     hidden_group_size_y
      - .offset:         3672
        .size:           2
        .value_kind:     hidden_group_size_z
      - .offset:         3674
        .size:           2
        .value_kind:     hidden_remainder_x
      - .offset:         3676
        .size:           2
        .value_kind:     hidden_remainder_y
      - .offset:         3678
        .size:           2
        .value_kind:     hidden_remainder_z
      - .offset:         3696
        .size:           8
        .value_kind:     hidden_global_offset_x
      - .offset:         3704
        .size:           8
        .value_kind:     hidden_global_offset_y
      - .offset:         3712
        .size:           8
        .value_kind:     hidden_global_offset_z
      - .offset:         3720
        .size:           2
        .value_kind:     hidden_grid_dims
    .group_segment_fixed_size: 0
    .kernarg_segment_align: 8
    .kernarg_segment_size: 3912
    .language:       OpenCL C
    .language_version:
      - 2
      - 0
    .max_flat_workgroup_size: 512
    .name:           _ZN2at6native12_GLOBAL__N_125multi_tensor_apply_kernelINS1_28TensorListScalarListMetadataIN3c107complexIfEELi2EEENS1_25BinaryOpScalarListFunctorIS6_Li2ELi1ELi1EEEJNS1_13power_functorIS6_EEEEEvT_T0_DpT1_
    .private_segment_fixed_size: 16
    .sgpr_count:     53
    .sgpr_spill_count: 0
    .symbol:         _ZN2at6native12_GLOBAL__N_125multi_tensor_apply_kernelINS1_28TensorListScalarListMetadataIN3c107complexIfEELi2EEENS1_25BinaryOpScalarListFunctorIS6_Li2ELi1ELi1EEEJNS1_13power_functorIS6_EEEEEvT_T0_DpT1_.kd
    .uniform_work_group_size: 1
    .uses_dynamic_stack: false
    .vgpr_count:     39
    .vgpr_spill_count: 0
    .wavefront_size: 32
    .workgroup_processor_mode: 1
  - .args:
      - .offset:         0
        .size:           3392
        .value_kind:     by_value
      - .offset:         3392
        .size:           1
        .value_kind:     by_value
      - .offset:         3393
        .size:           1
        .value_kind:     by_value
      - .offset:         3400
        .size:           4
        .value_kind:     hidden_block_count_x
      - .offset:         3404
        .size:           4
        .value_kind:     hidden_block_count_y
      - .offset:         3408
        .size:           4
        .value_kind:     hidden_block_count_z
      - .offset:         3412
        .size:           2
        .value_kind:     hidden_group_size_x
      - .offset:         3414
        .size:           2
        .value_kind:     hidden_group_size_y
      - .offset:         3416
        .size:           2
        .value_kind:     hidden_group_size_z
      - .offset:         3418
        .size:           2
        .value_kind:     hidden_remainder_x
      - .offset:         3420
        .size:           2
        .value_kind:     hidden_remainder_y
      - .offset:         3422
        .size:           2
        .value_kind:     hidden_remainder_z
      - .offset:         3440
        .size:           8
        .value_kind:     hidden_global_offset_x
      - .offset:         3448
        .size:           8
        .value_kind:     hidden_global_offset_y
      - .offset:         3456
        .size:           8
        .value_kind:     hidden_global_offset_z
      - .offset:         3464
        .size:           2
        .value_kind:     hidden_grid_dims
    .group_segment_fixed_size: 0
    .kernarg_segment_align: 8
    .kernarg_segment_size: 3656
    .language:       OpenCL C
    .language_version:
      - 2
      - 0
    .max_flat_workgroup_size: 512
    .name:           _ZN2at6native12_GLOBAL__N_125multi_tensor_apply_kernelINS1_28TensorListScalarListMetadataIfLi2EEENS1_25BinaryOpScalarListFunctorIN3c104HalfELi2ELi1ELi1EEEJNS1_13power_functorIfEEEEEvT_T0_DpT1_
    .private_segment_fixed_size: 0
    .sgpr_count:     39
    .sgpr_spill_count: 0
    .symbol:         _ZN2at6native12_GLOBAL__N_125multi_tensor_apply_kernelINS1_28TensorListScalarListMetadataIfLi2EEENS1_25BinaryOpScalarListFunctorIN3c104HalfELi2ELi1ELi1EEEJNS1_13power_functorIfEEEEEvT_T0_DpT1_.kd
    .uniform_work_group_size: 1
    .uses_dynamic_stack: false
    .vgpr_count:     60
    .vgpr_spill_count: 0
    .wavefront_size: 32
    .workgroup_processor_mode: 1
  - .args:
      - .offset:         0
        .size:           3392
        .value_kind:     by_value
      - .offset:         3392
        .size:           1
        .value_kind:     by_value
      - .offset:         3393
        .size:           1
        .value_kind:     by_value
      - .offset:         3400
        .size:           4
        .value_kind:     hidden_block_count_x
      - .offset:         3404
        .size:           4
        .value_kind:     hidden_block_count_y
      - .offset:         3408
        .size:           4
        .value_kind:     hidden_block_count_z
      - .offset:         3412
        .size:           2
        .value_kind:     hidden_group_size_x
      - .offset:         3414
        .size:           2
        .value_kind:     hidden_group_size_y
      - .offset:         3416
        .size:           2
        .value_kind:     hidden_group_size_z
      - .offset:         3418
        .size:           2
        .value_kind:     hidden_remainder_x
      - .offset:         3420
        .size:           2
        .value_kind:     hidden_remainder_y
      - .offset:         3422
        .size:           2
        .value_kind:     hidden_remainder_z
      - .offset:         3440
        .size:           8
        .value_kind:     hidden_global_offset_x
      - .offset:         3448
        .size:           8
        .value_kind:     hidden_global_offset_y
      - .offset:         3456
        .size:           8
        .value_kind:     hidden_global_offset_z
      - .offset:         3464
        .size:           2
        .value_kind:     hidden_grid_dims
    .group_segment_fixed_size: 0
    .kernarg_segment_align: 8
    .kernarg_segment_size: 3656
    .language:       OpenCL C
    .language_version:
      - 2
      - 0
    .max_flat_workgroup_size: 512
    .name:           _ZN2at6native12_GLOBAL__N_125multi_tensor_apply_kernelINS1_28TensorListScalarListMetadataIfLi2EEENS1_25BinaryOpScalarListFunctorIN3c108BFloat16ELi2ELi1ELi1EEEJNS1_13power_functorIfEEEEEvT_T0_DpT1_
    .private_segment_fixed_size: 0
    .sgpr_count:     30
    .sgpr_spill_count: 0
    .symbol:         _ZN2at6native12_GLOBAL__N_125multi_tensor_apply_kernelINS1_28TensorListScalarListMetadataIfLi2EEENS1_25BinaryOpScalarListFunctorIN3c108BFloat16ELi2ELi1ELi1EEEJNS1_13power_functorIfEEEEEvT_T0_DpT1_.kd
    .uniform_work_group_size: 1
    .uses_dynamic_stack: false
    .vgpr_count:     60
    .vgpr_spill_count: 0
    .wavefront_size: 32
    .workgroup_processor_mode: 1
  - .args:
      - .offset:         0
        .size:           3232
        .value_kind:     by_value
      - .offset:         3232
        .size:           1
        .value_kind:     by_value
      - .offset:         3233
        .size:           1
        .value_kind:     by_value
      - .offset:         3240
        .size:           4
        .value_kind:     hidden_block_count_x
      - .offset:         3244
        .size:           4
        .value_kind:     hidden_block_count_y
      - .offset:         3248
        .size:           4
        .value_kind:     hidden_block_count_z
      - .offset:         3252
        .size:           2
        .value_kind:     hidden_group_size_x
      - .offset:         3254
        .size:           2
        .value_kind:     hidden_group_size_y
      - .offset:         3256
        .size:           2
        .value_kind:     hidden_group_size_z
      - .offset:         3258
        .size:           2
        .value_kind:     hidden_remainder_x
      - .offset:         3260
        .size:           2
        .value_kind:     hidden_remainder_y
      - .offset:         3262
        .size:           2
        .value_kind:     hidden_remainder_z
      - .offset:         3280
        .size:           8
        .value_kind:     hidden_global_offset_x
      - .offset:         3288
        .size:           8
        .value_kind:     hidden_global_offset_y
      - .offset:         3296
        .size:           8
        .value_kind:     hidden_global_offset_z
      - .offset:         3304
        .size:           2
        .value_kind:     hidden_grid_dims
    .group_segment_fixed_size: 0
    .kernarg_segment_align: 8
    .kernarg_segment_size: 3496
    .language:       OpenCL C
    .language_version:
      - 2
      - 0
    .max_flat_workgroup_size: 512
    .name:           _ZN2at6native12_GLOBAL__N_125multi_tensor_apply_kernelINS1_28TensorListScalarListMetadataIhLi1EEENS1_25BinaryOpScalarListFunctorIhLi1ELi1ELi0EEEJSt5minusIhEEEEvT_T0_DpT1_
    .private_segment_fixed_size: 0
    .sgpr_count:     22
    .sgpr_spill_count: 0
    .symbol:         _ZN2at6native12_GLOBAL__N_125multi_tensor_apply_kernelINS1_28TensorListScalarListMetadataIhLi1EEENS1_25BinaryOpScalarListFunctorIhLi1ELi1ELi0EEEJSt5minusIhEEEEvT_T0_DpT1_.kd
    .uniform_work_group_size: 1
    .uses_dynamic_stack: false
    .vgpr_count:     22
    .vgpr_spill_count: 0
    .wavefront_size: 32
    .workgroup_processor_mode: 1
  - .args:
      - .offset:         0
        .size:           3232
        .value_kind:     by_value
      - .offset:         3232
        .size:           1
        .value_kind:     by_value
      - .offset:         3233
        .size:           1
        .value_kind:     by_value
      - .offset:         3240
        .size:           4
        .value_kind:     hidden_block_count_x
      - .offset:         3244
        .size:           4
        .value_kind:     hidden_block_count_y
      - .offset:         3248
        .size:           4
        .value_kind:     hidden_block_count_z
      - .offset:         3252
        .size:           2
        .value_kind:     hidden_group_size_x
      - .offset:         3254
        .size:           2
        .value_kind:     hidden_group_size_y
      - .offset:         3256
        .size:           2
        .value_kind:     hidden_group_size_z
      - .offset:         3258
        .size:           2
        .value_kind:     hidden_remainder_x
      - .offset:         3260
        .size:           2
        .value_kind:     hidden_remainder_y
      - .offset:         3262
        .size:           2
        .value_kind:     hidden_remainder_z
      - .offset:         3280
        .size:           8
        .value_kind:     hidden_global_offset_x
      - .offset:         3288
        .size:           8
        .value_kind:     hidden_global_offset_y
      - .offset:         3296
        .size:           8
        .value_kind:     hidden_global_offset_z
      - .offset:         3304
        .size:           2
        .value_kind:     hidden_grid_dims
    .group_segment_fixed_size: 0
    .kernarg_segment_align: 8
    .kernarg_segment_size: 3496
    .language:       OpenCL C
    .language_version:
      - 2
      - 0
    .max_flat_workgroup_size: 512
    .name:           _ZN2at6native12_GLOBAL__N_125multi_tensor_apply_kernelINS1_28TensorListScalarListMetadataIaLi1EEENS1_25BinaryOpScalarListFunctorIaLi1ELi1ELi0EEEJSt5minusIaEEEEvT_T0_DpT1_
    .private_segment_fixed_size: 0
    .sgpr_count:     22
    .sgpr_spill_count: 0
    .symbol:         _ZN2at6native12_GLOBAL__N_125multi_tensor_apply_kernelINS1_28TensorListScalarListMetadataIaLi1EEENS1_25BinaryOpScalarListFunctorIaLi1ELi1ELi0EEEJSt5minusIaEEEEvT_T0_DpT1_.kd
    .uniform_work_group_size: 1
    .uses_dynamic_stack: false
    .vgpr_count:     22
    .vgpr_spill_count: 0
    .wavefront_size: 32
    .workgroup_processor_mode: 1
  - .args:
      - .offset:         0
        .size:           3520
        .value_kind:     by_value
      - .offset:         3520
        .size:           1
        .value_kind:     by_value
      - .offset:         3521
        .size:           1
        .value_kind:     by_value
      - .offset:         3528
        .size:           4
        .value_kind:     hidden_block_count_x
      - .offset:         3532
        .size:           4
        .value_kind:     hidden_block_count_y
      - .offset:         3536
        .size:           4
        .value_kind:     hidden_block_count_z
      - .offset:         3540
        .size:           2
        .value_kind:     hidden_group_size_x
      - .offset:         3542
        .size:           2
        .value_kind:     hidden_group_size_y
      - .offset:         3544
        .size:           2
        .value_kind:     hidden_group_size_z
      - .offset:         3546
        .size:           2
        .value_kind:     hidden_remainder_x
      - .offset:         3548
        .size:           2
        .value_kind:     hidden_remainder_y
      - .offset:         3550
        .size:           2
        .value_kind:     hidden_remainder_z
      - .offset:         3568
        .size:           8
        .value_kind:     hidden_global_offset_x
      - .offset:         3576
        .size:           8
        .value_kind:     hidden_global_offset_y
      - .offset:         3584
        .size:           8
        .value_kind:     hidden_global_offset_z
      - .offset:         3592
        .size:           2
        .value_kind:     hidden_grid_dims
    .group_segment_fixed_size: 0
    .kernarg_segment_align: 8
    .kernarg_segment_size: 3784
    .language:       OpenCL C
    .language_version:
      - 2
      - 0
    .max_flat_workgroup_size: 512
    .name:           _ZN2at6native12_GLOBAL__N_125multi_tensor_apply_kernelINS1_28TensorListScalarListMetadataIiLi1EEENS1_25BinaryOpScalarListFunctorIiLi1ELi1ELi0EEEJSt5minusIiEEEEvT_T0_DpT1_
    .private_segment_fixed_size: 0
    .sgpr_count:     26
    .sgpr_spill_count: 0
    .symbol:         _ZN2at6native12_GLOBAL__N_125multi_tensor_apply_kernelINS1_28TensorListScalarListMetadataIiLi1EEENS1_25BinaryOpScalarListFunctorIiLi1ELi1ELi0EEEJSt5minusIiEEEEvT_T0_DpT1_.kd
    .uniform_work_group_size: 1
    .uses_dynamic_stack: false
    .vgpr_count:     16
    .vgpr_spill_count: 0
    .wavefront_size: 32
    .workgroup_processor_mode: 1
  - .args:
      - .offset:         0
        .size:           3904
        .value_kind:     by_value
      - .offset:         3904
        .size:           1
        .value_kind:     by_value
      - .offset:         3905
        .size:           1
        .value_kind:     by_value
      - .offset:         3912
        .size:           4
        .value_kind:     hidden_block_count_x
      - .offset:         3916
        .size:           4
        .value_kind:     hidden_block_count_y
      - .offset:         3920
        .size:           4
        .value_kind:     hidden_block_count_z
      - .offset:         3924
        .size:           2
        .value_kind:     hidden_group_size_x
      - .offset:         3926
        .size:           2
        .value_kind:     hidden_group_size_y
      - .offset:         3928
        .size:           2
        .value_kind:     hidden_group_size_z
      - .offset:         3930
        .size:           2
        .value_kind:     hidden_remainder_x
      - .offset:         3932
        .size:           2
        .value_kind:     hidden_remainder_y
      - .offset:         3934
        .size:           2
        .value_kind:     hidden_remainder_z
      - .offset:         3952
        .size:           8
        .value_kind:     hidden_global_offset_x
      - .offset:         3960
        .size:           8
        .value_kind:     hidden_global_offset_y
      - .offset:         3968
        .size:           8
        .value_kind:     hidden_global_offset_z
      - .offset:         3976
        .size:           2
        .value_kind:     hidden_grid_dims
    .group_segment_fixed_size: 0
    .kernarg_segment_align: 8
    .kernarg_segment_size: 4168
    .language:       OpenCL C
    .language_version:
      - 2
      - 0
    .max_flat_workgroup_size: 512
    .name:           _ZN2at6native12_GLOBAL__N_125multi_tensor_apply_kernelINS1_28TensorListScalarListMetadataIlLi1EEENS1_25BinaryOpScalarListFunctorIlLi1ELi1ELi0EEEJSt5minusIlEEEEvT_T0_DpT1_
    .private_segment_fixed_size: 0
    .sgpr_count:     27
    .sgpr_spill_count: 0
    .symbol:         _ZN2at6native12_GLOBAL__N_125multi_tensor_apply_kernelINS1_28TensorListScalarListMetadataIlLi1EEENS1_25BinaryOpScalarListFunctorIlLi1ELi1ELi0EEEJSt5minusIlEEEEvT_T0_DpT1_.kd
    .uniform_work_group_size: 1
    .uses_dynamic_stack: false
    .vgpr_count:     21
    .vgpr_spill_count: 0
    .wavefront_size: 32
    .workgroup_processor_mode: 1
  - .args:
      - .offset:         0
        .size:           3328
        .value_kind:     by_value
      - .offset:         3328
        .size:           1
        .value_kind:     by_value
      - .offset:         3329
        .size:           1
        .value_kind:     by_value
      - .offset:         3336
        .size:           4
        .value_kind:     hidden_block_count_x
      - .offset:         3340
        .size:           4
        .value_kind:     hidden_block_count_y
      - .offset:         3344
        .size:           4
        .value_kind:     hidden_block_count_z
      - .offset:         3348
        .size:           2
        .value_kind:     hidden_group_size_x
      - .offset:         3350
        .size:           2
        .value_kind:     hidden_group_size_y
      - .offset:         3352
        .size:           2
        .value_kind:     hidden_group_size_z
      - .offset:         3354
        .size:           2
        .value_kind:     hidden_remainder_x
      - .offset:         3356
        .size:           2
        .value_kind:     hidden_remainder_y
      - .offset:         3358
        .size:           2
        .value_kind:     hidden_remainder_z
      - .offset:         3376
        .size:           8
        .value_kind:     hidden_global_offset_x
      - .offset:         3384
        .size:           8
        .value_kind:     hidden_global_offset_y
      - .offset:         3392
        .size:           8
        .value_kind:     hidden_global_offset_z
      - .offset:         3400
        .size:           2
        .value_kind:     hidden_grid_dims
    .group_segment_fixed_size: 0
    .kernarg_segment_align: 8
    .kernarg_segment_size: 3592
    .language:       OpenCL C
    .language_version:
      - 2
      - 0
    .max_flat_workgroup_size: 512
    .name:           _ZN2at6native12_GLOBAL__N_125multi_tensor_apply_kernelINS1_28TensorListScalarListMetadataIsLi1EEENS1_25BinaryOpScalarListFunctorIsLi1ELi1ELi0EEEJSt5minusIsEEEEvT_T0_DpT1_
    .private_segment_fixed_size: 0
    .sgpr_count:     24
    .sgpr_spill_count: 0
    .symbol:         _ZN2at6native12_GLOBAL__N_125multi_tensor_apply_kernelINS1_28TensorListScalarListMetadataIsLi1EEENS1_25BinaryOpScalarListFunctorIsLi1ELi1ELi0EEEJSt5minusIsEEEEvT_T0_DpT1_.kd
    .uniform_work_group_size: 1
    .uses_dynamic_stack: false
    .vgpr_count:     17
    .vgpr_spill_count: 0
    .wavefront_size: 32
    .workgroup_processor_mode: 1
  - .args:
      - .offset:         0
        .size:           3904
        .value_kind:     by_value
      - .offset:         3904
        .size:           1
        .value_kind:     by_value
      - .offset:         3905
        .size:           1
        .value_kind:     by_value
      - .offset:         3912
        .size:           4
        .value_kind:     hidden_block_count_x
      - .offset:         3916
        .size:           4
        .value_kind:     hidden_block_count_y
      - .offset:         3920
        .size:           4
        .value_kind:     hidden_block_count_z
      - .offset:         3924
        .size:           2
        .value_kind:     hidden_group_size_x
      - .offset:         3926
        .size:           2
        .value_kind:     hidden_group_size_y
      - .offset:         3928
        .size:           2
        .value_kind:     hidden_group_size_z
      - .offset:         3930
        .size:           2
        .value_kind:     hidden_remainder_x
      - .offset:         3932
        .size:           2
        .value_kind:     hidden_remainder_y
      - .offset:         3934
        .size:           2
        .value_kind:     hidden_remainder_z
      - .offset:         3952
        .size:           8
        .value_kind:     hidden_global_offset_x
      - .offset:         3960
        .size:           8
        .value_kind:     hidden_global_offset_y
      - .offset:         3968
        .size:           8
        .value_kind:     hidden_global_offset_z
      - .offset:         3976
        .size:           2
        .value_kind:     hidden_grid_dims
    .group_segment_fixed_size: 0
    .kernarg_segment_align: 8
    .kernarg_segment_size: 4168
    .language:       OpenCL C
    .language_version:
      - 2
      - 0
    .max_flat_workgroup_size: 512
    .name:           _ZN2at6native12_GLOBAL__N_125multi_tensor_apply_kernelINS1_28TensorListScalarListMetadataIdLi1EEENS1_25BinaryOpScalarListFunctorIdLi1ELi1ELi0EEEJSt5minusIdEEEEvT_T0_DpT1_
    .private_segment_fixed_size: 0
    .sgpr_count:     27
    .sgpr_spill_count: 0
    .symbol:         _ZN2at6native12_GLOBAL__N_125multi_tensor_apply_kernelINS1_28TensorListScalarListMetadataIdLi1EEENS1_25BinaryOpScalarListFunctorIdLi1ELi1ELi0EEEJSt5minusIdEEEEvT_T0_DpT1_.kd
    .uniform_work_group_size: 1
    .uses_dynamic_stack: false
    .vgpr_count:     21
    .vgpr_spill_count: 0
    .wavefront_size: 32
    .workgroup_processor_mode: 1
  - .args:
      - .offset:         0
        .size:           3520
        .value_kind:     by_value
      - .offset:         3520
        .size:           1
        .value_kind:     by_value
      - .offset:         3521
        .size:           1
        .value_kind:     by_value
      - .offset:         3528
        .size:           4
        .value_kind:     hidden_block_count_x
      - .offset:         3532
        .size:           4
        .value_kind:     hidden_block_count_y
      - .offset:         3536
        .size:           4
        .value_kind:     hidden_block_count_z
      - .offset:         3540
        .size:           2
        .value_kind:     hidden_group_size_x
      - .offset:         3542
        .size:           2
        .value_kind:     hidden_group_size_y
      - .offset:         3544
        .size:           2
        .value_kind:     hidden_group_size_z
      - .offset:         3546
        .size:           2
        .value_kind:     hidden_remainder_x
      - .offset:         3548
        .size:           2
        .value_kind:     hidden_remainder_y
      - .offset:         3550
        .size:           2
        .value_kind:     hidden_remainder_z
      - .offset:         3568
        .size:           8
        .value_kind:     hidden_global_offset_x
      - .offset:         3576
        .size:           8
        .value_kind:     hidden_global_offset_y
      - .offset:         3584
        .size:           8
        .value_kind:     hidden_global_offset_z
      - .offset:         3592
        .size:           2
        .value_kind:     hidden_grid_dims
    .group_segment_fixed_size: 0
    .kernarg_segment_align: 8
    .kernarg_segment_size: 3784
    .language:       OpenCL C
    .language_version:
      - 2
      - 0
    .max_flat_workgroup_size: 512
    .name:           _ZN2at6native12_GLOBAL__N_125multi_tensor_apply_kernelINS1_28TensorListScalarListMetadataIfLi1EEENS1_25BinaryOpScalarListFunctorIfLi1ELi1ELi0EEEJSt5minusIfEEEEvT_T0_DpT1_
    .private_segment_fixed_size: 0
    .sgpr_count:     26
    .sgpr_spill_count: 0
    .symbol:         _ZN2at6native12_GLOBAL__N_125multi_tensor_apply_kernelINS1_28TensorListScalarListMetadataIfLi1EEENS1_25BinaryOpScalarListFunctorIfLi1ELi1ELi0EEEJSt5minusIfEEEEvT_T0_DpT1_.kd
    .uniform_work_group_size: 1
    .uses_dynamic_stack: false
    .vgpr_count:     16
    .vgpr_spill_count: 0
    .wavefront_size: 32
    .workgroup_processor_mode: 1
  - .args:
      - .offset:         0
        .size:           3904
        .value_kind:     by_value
      - .offset:         3904
        .size:           1
        .value_kind:     by_value
      - .offset:         3905
        .size:           1
        .value_kind:     by_value
      - .offset:         3912
        .size:           4
        .value_kind:     hidden_block_count_x
      - .offset:         3916
        .size:           4
        .value_kind:     hidden_block_count_y
      - .offset:         3920
        .size:           4
        .value_kind:     hidden_block_count_z
      - .offset:         3924
        .size:           2
        .value_kind:     hidden_group_size_x
      - .offset:         3926
        .size:           2
        .value_kind:     hidden_group_size_y
      - .offset:         3928
        .size:           2
        .value_kind:     hidden_group_size_z
      - .offset:         3930
        .size:           2
        .value_kind:     hidden_remainder_x
      - .offset:         3932
        .size:           2
        .value_kind:     hidden_remainder_y
      - .offset:         3934
        .size:           2
        .value_kind:     hidden_remainder_z
      - .offset:         3952
        .size:           8
        .value_kind:     hidden_global_offset_x
      - .offset:         3960
        .size:           8
        .value_kind:     hidden_global_offset_y
      - .offset:         3968
        .size:           8
        .value_kind:     hidden_global_offset_z
      - .offset:         3976
        .size:           2
        .value_kind:     hidden_grid_dims
    .group_segment_fixed_size: 0
    .kernarg_segment_align: 16
    .kernarg_segment_size: 4168
    .language:       OpenCL C
    .language_version:
      - 2
      - 0
    .max_flat_workgroup_size: 512
    .name:           _ZN2at6native12_GLOBAL__N_125multi_tensor_apply_kernelINS1_28TensorListScalarListMetadataIN3c107complexIdEELi1EEENS1_25BinaryOpScalarListFunctorIS6_Li1ELi1ELi0EEEJSt5minusIS6_EEEEvT_T0_DpT1_
    .private_segment_fixed_size: 0
    .sgpr_count:     29
    .sgpr_spill_count: 0
    .symbol:         _ZN2at6native12_GLOBAL__N_125multi_tensor_apply_kernelINS1_28TensorListScalarListMetadataIN3c107complexIdEELi1EEENS1_25BinaryOpScalarListFunctorIS6_Li1ELi1ELi0EEEJSt5minusIS6_EEEEvT_T0_DpT1_.kd
    .uniform_work_group_size: 1
    .uses_dynamic_stack: false
    .vgpr_count:     31
    .vgpr_spill_count: 0
    .wavefront_size: 32
    .workgroup_processor_mode: 1
  - .args:
      - .offset:         0
        .size:           3904
        .value_kind:     by_value
      - .offset:         3904
        .size:           1
        .value_kind:     by_value
      - .offset:         3905
        .size:           1
        .value_kind:     by_value
      - .offset:         3912
        .size:           4
        .value_kind:     hidden_block_count_x
      - .offset:         3916
        .size:           4
        .value_kind:     hidden_block_count_y
      - .offset:         3920
        .size:           4
        .value_kind:     hidden_block_count_z
      - .offset:         3924
        .size:           2
        .value_kind:     hidden_group_size_x
      - .offset:         3926
        .size:           2
        .value_kind:     hidden_group_size_y
      - .offset:         3928
        .size:           2
        .value_kind:     hidden_group_size_z
      - .offset:         3930
        .size:           2
        .value_kind:     hidden_remainder_x
      - .offset:         3932
        .size:           2
        .value_kind:     hidden_remainder_y
      - .offset:         3934
        .size:           2
        .value_kind:     hidden_remainder_z
      - .offset:         3952
        .size:           8
        .value_kind:     hidden_global_offset_x
      - .offset:         3960
        .size:           8
        .value_kind:     hidden_global_offset_y
      - .offset:         3968
        .size:           8
        .value_kind:     hidden_global_offset_z
      - .offset:         3976
        .size:           2
        .value_kind:     hidden_grid_dims
    .group_segment_fixed_size: 0
    .kernarg_segment_align: 8
    .kernarg_segment_size: 4168
    .language:       OpenCL C
    .language_version:
      - 2
      - 0
    .max_flat_workgroup_size: 512
    .name:           _ZN2at6native12_GLOBAL__N_125multi_tensor_apply_kernelINS1_28TensorListScalarListMetadataIN3c107complexIfEELi1EEENS1_25BinaryOpScalarListFunctorIS6_Li1ELi1ELi0EEEJSt5minusIS6_EEEEvT_T0_DpT1_
    .private_segment_fixed_size: 16
    .sgpr_count:     33
    .sgpr_spill_count: 0
    .symbol:         _ZN2at6native12_GLOBAL__N_125multi_tensor_apply_kernelINS1_28TensorListScalarListMetadataIN3c107complexIfEELi1EEENS1_25BinaryOpScalarListFunctorIS6_Li1ELi1ELi0EEEJSt5minusIS6_EEEEvT_T0_DpT1_.kd
    .uniform_work_group_size: 1
    .uses_dynamic_stack: false
    .vgpr_count:     18
    .vgpr_spill_count: 0
    .wavefront_size: 32
    .workgroup_processor_mode: 1
  - .args:
      - .offset:         0
        .size:           3232
        .value_kind:     by_value
      - .offset:         3232
        .size:           1
        .value_kind:     by_value
      - .offset:         3233
        .size:           1
        .value_kind:     by_value
      - .offset:         3240
        .size:           4
        .value_kind:     hidden_block_count_x
      - .offset:         3244
        .size:           4
        .value_kind:     hidden_block_count_y
      - .offset:         3248
        .size:           4
        .value_kind:     hidden_block_count_z
      - .offset:         3252
        .size:           2
        .value_kind:     hidden_group_size_x
      - .offset:         3254
        .size:           2
        .value_kind:     hidden_group_size_y
      - .offset:         3256
        .size:           2
        .value_kind:     hidden_group_size_z
      - .offset:         3258
        .size:           2
        .value_kind:     hidden_remainder_x
      - .offset:         3260
        .size:           2
        .value_kind:     hidden_remainder_y
      - .offset:         3262
        .size:           2
        .value_kind:     hidden_remainder_z
      - .offset:         3280
        .size:           8
        .value_kind:     hidden_global_offset_x
      - .offset:         3288
        .size:           8
        .value_kind:     hidden_global_offset_y
      - .offset:         3296
        .size:           8
        .value_kind:     hidden_global_offset_z
      - .offset:         3304
        .size:           2
        .value_kind:     hidden_grid_dims
    .group_segment_fixed_size: 0
    .kernarg_segment_align: 8
    .kernarg_segment_size: 3496
    .language:       OpenCL C
    .language_version:
      - 2
      - 0
    .max_flat_workgroup_size: 512
    .name:           _ZN2at6native12_GLOBAL__N_125multi_tensor_apply_kernelINS1_28TensorListScalarListMetadataIbLi1EEENS1_25BinaryOpScalarListFunctorIbLi1ELi1ELi0EEEJSt5minusIbEEEEvT_T0_DpT1_
    .private_segment_fixed_size: 0
    .sgpr_count:     29
    .sgpr_spill_count: 0
    .symbol:         _ZN2at6native12_GLOBAL__N_125multi_tensor_apply_kernelINS1_28TensorListScalarListMetadataIbLi1EEENS1_25BinaryOpScalarListFunctorIbLi1ELi1ELi0EEEJSt5minusIbEEEEvT_T0_DpT1_.kd
    .uniform_work_group_size: 1
    .uses_dynamic_stack: false
    .vgpr_count:     18
    .vgpr_spill_count: 0
    .wavefront_size: 32
    .workgroup_processor_mode: 1
  - .args:
      - .offset:         0
        .size:           3520
        .value_kind:     by_value
      - .offset:         3520
        .size:           1
        .value_kind:     by_value
      - .offset:         3521
        .size:           1
        .value_kind:     by_value
      - .offset:         3528
        .size:           4
        .value_kind:     hidden_block_count_x
      - .offset:         3532
        .size:           4
        .value_kind:     hidden_block_count_y
      - .offset:         3536
        .size:           4
        .value_kind:     hidden_block_count_z
      - .offset:         3540
        .size:           2
        .value_kind:     hidden_group_size_x
      - .offset:         3542
        .size:           2
        .value_kind:     hidden_group_size_y
      - .offset:         3544
        .size:           2
        .value_kind:     hidden_group_size_z
      - .offset:         3546
        .size:           2
        .value_kind:     hidden_remainder_x
      - .offset:         3548
        .size:           2
        .value_kind:     hidden_remainder_y
      - .offset:         3550
        .size:           2
        .value_kind:     hidden_remainder_z
      - .offset:         3568
        .size:           8
        .value_kind:     hidden_global_offset_x
      - .offset:         3576
        .size:           8
        .value_kind:     hidden_global_offset_y
      - .offset:         3584
        .size:           8
        .value_kind:     hidden_global_offset_z
      - .offset:         3592
        .size:           2
        .value_kind:     hidden_grid_dims
    .group_segment_fixed_size: 0
    .kernarg_segment_align: 8
    .kernarg_segment_size: 3784
    .language:       OpenCL C
    .language_version:
      - 2
      - 0
    .max_flat_workgroup_size: 512
    .name:           _ZN2at6native12_GLOBAL__N_125multi_tensor_apply_kernelINS1_28TensorListScalarListMetadataIfLi1EEENS1_25BinaryOpScalarListFunctorIN3c104HalfELi1ELi1ELi0EEEJSt5minusIfEEEEvT_T0_DpT1_
    .private_segment_fixed_size: 0
    .sgpr_count:     25
    .sgpr_spill_count: 0
    .symbol:         _ZN2at6native12_GLOBAL__N_125multi_tensor_apply_kernelINS1_28TensorListScalarListMetadataIfLi1EEENS1_25BinaryOpScalarListFunctorIN3c104HalfELi1ELi1ELi0EEEJSt5minusIfEEEEvT_T0_DpT1_.kd
    .uniform_work_group_size: 1
    .uses_dynamic_stack: false
    .vgpr_count:     16
    .vgpr_spill_count: 0
    .wavefront_size: 32
    .workgroup_processor_mode: 1
  - .args:
      - .offset:         0
        .size:           3520
        .value_kind:     by_value
      - .offset:         3520
        .size:           1
        .value_kind:     by_value
      - .offset:         3521
        .size:           1
        .value_kind:     by_value
      - .offset:         3528
        .size:           4
        .value_kind:     hidden_block_count_x
      - .offset:         3532
        .size:           4
        .value_kind:     hidden_block_count_y
      - .offset:         3536
        .size:           4
        .value_kind:     hidden_block_count_z
      - .offset:         3540
        .size:           2
        .value_kind:     hidden_group_size_x
      - .offset:         3542
        .size:           2
        .value_kind:     hidden_group_size_y
      - .offset:         3544
        .size:           2
        .value_kind:     hidden_group_size_z
      - .offset:         3546
        .size:           2
        .value_kind:     hidden_remainder_x
      - .offset:         3548
        .size:           2
        .value_kind:     hidden_remainder_y
      - .offset:         3550
        .size:           2
        .value_kind:     hidden_remainder_z
      - .offset:         3568
        .size:           8
        .value_kind:     hidden_global_offset_x
      - .offset:         3576
        .size:           8
        .value_kind:     hidden_global_offset_y
      - .offset:         3584
        .size:           8
        .value_kind:     hidden_global_offset_z
      - .offset:         3592
        .size:           2
        .value_kind:     hidden_grid_dims
    .group_segment_fixed_size: 0
    .kernarg_segment_align: 8
    .kernarg_segment_size: 3784
    .language:       OpenCL C
    .language_version:
      - 2
      - 0
    .max_flat_workgroup_size: 512
    .name:           _ZN2at6native12_GLOBAL__N_125multi_tensor_apply_kernelINS1_28TensorListScalarListMetadataIfLi1EEENS1_25BinaryOpScalarListFunctorIN3c108BFloat16ELi1ELi1ELi0EEEJSt5minusIfEEEEvT_T0_DpT1_
    .private_segment_fixed_size: 0
    .sgpr_count:     25
    .sgpr_spill_count: 0
    .symbol:         _ZN2at6native12_GLOBAL__N_125multi_tensor_apply_kernelINS1_28TensorListScalarListMetadataIfLi1EEENS1_25BinaryOpScalarListFunctorIN3c108BFloat16ELi1ELi1ELi0EEEJSt5minusIfEEEEvT_T0_DpT1_.kd
    .uniform_work_group_size: 1
    .uses_dynamic_stack: false
    .vgpr_count:     17
    .vgpr_spill_count: 0
    .wavefront_size: 32
    .workgroup_processor_mode: 1
  - .args:
      - .offset:         0
        .size:           3200
        .value_kind:     by_value
      - .offset:         3200
        .size:           1
        .value_kind:     by_value
      - .offset:         3201
        .size:           1
        .value_kind:     by_value
      - .offset:         3208
        .size:           4
        .value_kind:     hidden_block_count_x
      - .offset:         3212
        .size:           4
        .value_kind:     hidden_block_count_y
      - .offset:         3216
        .size:           4
        .value_kind:     hidden_block_count_z
      - .offset:         3220
        .size:           2
        .value_kind:     hidden_group_size_x
      - .offset:         3222
        .size:           2
        .value_kind:     hidden_group_size_y
      - .offset:         3224
        .size:           2
        .value_kind:     hidden_group_size_z
      - .offset:         3226
        .size:           2
        .value_kind:     hidden_remainder_x
      - .offset:         3228
        .size:           2
        .value_kind:     hidden_remainder_y
      - .offset:         3230
        .size:           2
        .value_kind:     hidden_remainder_z
      - .offset:         3248
        .size:           8
        .value_kind:     hidden_global_offset_x
      - .offset:         3256
        .size:           8
        .value_kind:     hidden_global_offset_y
      - .offset:         3264
        .size:           8
        .value_kind:     hidden_global_offset_z
      - .offset:         3272
        .size:           2
        .value_kind:     hidden_grid_dims
    .group_segment_fixed_size: 0
    .kernarg_segment_align: 8
    .kernarg_segment_size: 3464
    .language:       OpenCL C
    .language_version:
      - 2
      - 0
    .max_flat_workgroup_size: 512
    .name:           _ZN2at6native12_GLOBAL__N_125multi_tensor_apply_kernelINS1_28TensorListScalarListMetadataIhLi2EEENS1_25BinaryOpScalarListFunctorIhLi2ELi1ELi1EEEJSt5minusIhEEEEvT_T0_DpT1_
    .private_segment_fixed_size: 0
    .sgpr_count:     24
    .sgpr_spill_count: 0
    .symbol:         _ZN2at6native12_GLOBAL__N_125multi_tensor_apply_kernelINS1_28TensorListScalarListMetadataIhLi2EEENS1_25BinaryOpScalarListFunctorIhLi2ELi1ELi1EEEJSt5minusIhEEEEvT_T0_DpT1_.kd
    .uniform_work_group_size: 1
    .uses_dynamic_stack: false
    .vgpr_count:     30
    .vgpr_spill_count: 0
    .wavefront_size: 32
    .workgroup_processor_mode: 1
  - .args:
      - .offset:         0
        .size:           3200
        .value_kind:     by_value
      - .offset:         3200
        .size:           1
        .value_kind:     by_value
      - .offset:         3201
        .size:           1
        .value_kind:     by_value
      - .offset:         3208
        .size:           4
        .value_kind:     hidden_block_count_x
      - .offset:         3212
        .size:           4
        .value_kind:     hidden_block_count_y
      - .offset:         3216
        .size:           4
        .value_kind:     hidden_block_count_z
      - .offset:         3220
        .size:           2
        .value_kind:     hidden_group_size_x
      - .offset:         3222
        .size:           2
        .value_kind:     hidden_group_size_y
      - .offset:         3224
        .size:           2
        .value_kind:     hidden_group_size_z
      - .offset:         3226
        .size:           2
        .value_kind:     hidden_remainder_x
      - .offset:         3228
        .size:           2
        .value_kind:     hidden_remainder_y
      - .offset:         3230
        .size:           2
        .value_kind:     hidden_remainder_z
      - .offset:         3248
        .size:           8
        .value_kind:     hidden_global_offset_x
      - .offset:         3256
        .size:           8
        .value_kind:     hidden_global_offset_y
      - .offset:         3264
        .size:           8
        .value_kind:     hidden_global_offset_z
      - .offset:         3272
        .size:           2
        .value_kind:     hidden_grid_dims
    .group_segment_fixed_size: 0
    .kernarg_segment_align: 8
    .kernarg_segment_size: 3464
    .language:       OpenCL C
    .language_version:
      - 2
      - 0
    .max_flat_workgroup_size: 512
    .name:           _ZN2at6native12_GLOBAL__N_125multi_tensor_apply_kernelINS1_28TensorListScalarListMetadataIaLi2EEENS1_25BinaryOpScalarListFunctorIaLi2ELi1ELi1EEEJSt5minusIaEEEEvT_T0_DpT1_
    .private_segment_fixed_size: 0
    .sgpr_count:     24
    .sgpr_spill_count: 0
    .symbol:         _ZN2at6native12_GLOBAL__N_125multi_tensor_apply_kernelINS1_28TensorListScalarListMetadataIaLi2EEENS1_25BinaryOpScalarListFunctorIaLi2ELi1ELi1EEEJSt5minusIaEEEEvT_T0_DpT1_.kd
    .uniform_work_group_size: 1
    .uses_dynamic_stack: false
    .vgpr_count:     30
    .vgpr_spill_count: 0
    .wavefront_size: 32
    .workgroup_processor_mode: 1
  - .args:
      - .offset:         0
        .size:           3392
        .value_kind:     by_value
      - .offset:         3392
        .size:           1
        .value_kind:     by_value
      - .offset:         3393
        .size:           1
        .value_kind:     by_value
      - .offset:         3400
        .size:           4
        .value_kind:     hidden_block_count_x
      - .offset:         3404
        .size:           4
        .value_kind:     hidden_block_count_y
      - .offset:         3408
        .size:           4
        .value_kind:     hidden_block_count_z
      - .offset:         3412
        .size:           2
        .value_kind:     hidden_group_size_x
      - .offset:         3414
        .size:           2
        .value_kind:     hidden_group_size_y
      - .offset:         3416
        .size:           2
        .value_kind:     hidden_group_size_z
      - .offset:         3418
        .size:           2
        .value_kind:     hidden_remainder_x
      - .offset:         3420
        .size:           2
        .value_kind:     hidden_remainder_y
      - .offset:         3422
        .size:           2
        .value_kind:     hidden_remainder_z
      - .offset:         3440
        .size:           8
        .value_kind:     hidden_global_offset_x
      - .offset:         3448
        .size:           8
        .value_kind:     hidden_global_offset_y
      - .offset:         3456
        .size:           8
        .value_kind:     hidden_global_offset_z
      - .offset:         3464
        .size:           2
        .value_kind:     hidden_grid_dims
    .group_segment_fixed_size: 0
    .kernarg_segment_align: 8
    .kernarg_segment_size: 3656
    .language:       OpenCL C
    .language_version:
      - 2
      - 0
    .max_flat_workgroup_size: 512
    .name:           _ZN2at6native12_GLOBAL__N_125multi_tensor_apply_kernelINS1_28TensorListScalarListMetadataIiLi2EEENS1_25BinaryOpScalarListFunctorIiLi2ELi1ELi1EEEJSt5minusIiEEEEvT_T0_DpT1_
    .private_segment_fixed_size: 0
    .sgpr_count:     26
    .sgpr_spill_count: 0
    .symbol:         _ZN2at6native12_GLOBAL__N_125multi_tensor_apply_kernelINS1_28TensorListScalarListMetadataIiLi2EEENS1_25BinaryOpScalarListFunctorIiLi2ELi1ELi1EEEJSt5minusIiEEEEvT_T0_DpT1_.kd
    .uniform_work_group_size: 1
    .uses_dynamic_stack: false
    .vgpr_count:     29
    .vgpr_spill_count: 0
    .wavefront_size: 32
    .workgroup_processor_mode: 1
  - .args:
      - .offset:         0
        .size:           3648
        .value_kind:     by_value
      - .offset:         3648
        .size:           1
        .value_kind:     by_value
      - .offset:         3649
        .size:           1
        .value_kind:     by_value
      - .offset:         3656
        .size:           4
        .value_kind:     hidden_block_count_x
      - .offset:         3660
        .size:           4
        .value_kind:     hidden_block_count_y
      - .offset:         3664
        .size:           4
        .value_kind:     hidden_block_count_z
      - .offset:         3668
        .size:           2
        .value_kind:     hidden_group_size_x
      - .offset:         3670
        .size:           2
        .value_kind:     hidden_group_size_y
      - .offset:         3672
        .size:           2
        .value_kind:     hidden_group_size_z
      - .offset:         3674
        .size:           2
        .value_kind:     hidden_remainder_x
      - .offset:         3676
        .size:           2
        .value_kind:     hidden_remainder_y
      - .offset:         3678
        .size:           2
        .value_kind:     hidden_remainder_z
      - .offset:         3696
        .size:           8
        .value_kind:     hidden_global_offset_x
      - .offset:         3704
        .size:           8
        .value_kind:     hidden_global_offset_y
      - .offset:         3712
        .size:           8
        .value_kind:     hidden_global_offset_z
      - .offset:         3720
        .size:           2
        .value_kind:     hidden_grid_dims
    .group_segment_fixed_size: 0
    .kernarg_segment_align: 8
    .kernarg_segment_size: 3912
    .language:       OpenCL C
    .language_version:
      - 2
      - 0
    .max_flat_workgroup_size: 512
    .name:           _ZN2at6native12_GLOBAL__N_125multi_tensor_apply_kernelINS1_28TensorListScalarListMetadataIlLi2EEENS1_25BinaryOpScalarListFunctorIlLi2ELi1ELi1EEEJSt5minusIlEEEEvT_T0_DpT1_
    .private_segment_fixed_size: 0
    .sgpr_count:     27
    .sgpr_spill_count: 0
    .symbol:         _ZN2at6native12_GLOBAL__N_125multi_tensor_apply_kernelINS1_28TensorListScalarListMetadataIlLi2EEENS1_25BinaryOpScalarListFunctorIlLi2ELi1ELi1EEEJSt5minusIlEEEEvT_T0_DpT1_.kd
    .uniform_work_group_size: 1
    .uses_dynamic_stack: false
    .vgpr_count:     33
    .vgpr_spill_count: 0
    .wavefront_size: 32
    .workgroup_processor_mode: 1
  - .args:
      - .offset:         0
        .size:           3264
        .value_kind:     by_value
      - .offset:         3264
        .size:           1
        .value_kind:     by_value
      - .offset:         3265
        .size:           1
        .value_kind:     by_value
      - .offset:         3272
        .size:           4
        .value_kind:     hidden_block_count_x
      - .offset:         3276
        .size:           4
        .value_kind:     hidden_block_count_y
      - .offset:         3280
        .size:           4
        .value_kind:     hidden_block_count_z
      - .offset:         3284
        .size:           2
        .value_kind:     hidden_group_size_x
      - .offset:         3286
        .size:           2
        .value_kind:     hidden_group_size_y
      - .offset:         3288
        .size:           2
        .value_kind:     hidden_group_size_z
      - .offset:         3290
        .size:           2
        .value_kind:     hidden_remainder_x
      - .offset:         3292
        .size:           2
        .value_kind:     hidden_remainder_y
      - .offset:         3294
        .size:           2
        .value_kind:     hidden_remainder_z
      - .offset:         3312
        .size:           8
        .value_kind:     hidden_global_offset_x
      - .offset:         3320
        .size:           8
        .value_kind:     hidden_global_offset_y
      - .offset:         3328
        .size:           8
        .value_kind:     hidden_global_offset_z
      - .offset:         3336
        .size:           2
        .value_kind:     hidden_grid_dims
    .group_segment_fixed_size: 0
    .kernarg_segment_align: 8
    .kernarg_segment_size: 3528
    .language:       OpenCL C
    .language_version:
      - 2
      - 0
    .max_flat_workgroup_size: 512
    .name:           _ZN2at6native12_GLOBAL__N_125multi_tensor_apply_kernelINS1_28TensorListScalarListMetadataIsLi2EEENS1_25BinaryOpScalarListFunctorIsLi2ELi1ELi1EEEJSt5minusIsEEEEvT_T0_DpT1_
    .private_segment_fixed_size: 0
    .sgpr_count:     25
    .sgpr_spill_count: 0
    .symbol:         _ZN2at6native12_GLOBAL__N_125multi_tensor_apply_kernelINS1_28TensorListScalarListMetadataIsLi2EEENS1_25BinaryOpScalarListFunctorIsLi2ELi1ELi1EEEJSt5minusIsEEEEvT_T0_DpT1_.kd
    .uniform_work_group_size: 1
    .uses_dynamic_stack: false
    .vgpr_count:     30
    .vgpr_spill_count: 0
    .wavefront_size: 32
    .workgroup_processor_mode: 1
  - .args:
      - .offset:         0
        .size:           3648
        .value_kind:     by_value
      - .offset:         3648
        .size:           1
        .value_kind:     by_value
      - .offset:         3649
        .size:           1
        .value_kind:     by_value
      - .offset:         3656
        .size:           4
        .value_kind:     hidden_block_count_x
      - .offset:         3660
        .size:           4
        .value_kind:     hidden_block_count_y
      - .offset:         3664
        .size:           4
        .value_kind:     hidden_block_count_z
      - .offset:         3668
        .size:           2
        .value_kind:     hidden_group_size_x
      - .offset:         3670
        .size:           2
        .value_kind:     hidden_group_size_y
      - .offset:         3672
        .size:           2
        .value_kind:     hidden_group_size_z
      - .offset:         3674
        .size:           2
        .value_kind:     hidden_remainder_x
      - .offset:         3676
        .size:           2
        .value_kind:     hidden_remainder_y
      - .offset:         3678
        .size:           2
        .value_kind:     hidden_remainder_z
      - .offset:         3696
        .size:           8
        .value_kind:     hidden_global_offset_x
      - .offset:         3704
        .size:           8
        .value_kind:     hidden_global_offset_y
      - .offset:         3712
        .size:           8
        .value_kind:     hidden_global_offset_z
      - .offset:         3720
        .size:           2
        .value_kind:     hidden_grid_dims
    .group_segment_fixed_size: 0
    .kernarg_segment_align: 8
    .kernarg_segment_size: 3912
    .language:       OpenCL C
    .language_version:
      - 2
      - 0
    .max_flat_workgroup_size: 512
    .name:           _ZN2at6native12_GLOBAL__N_125multi_tensor_apply_kernelINS1_28TensorListScalarListMetadataIdLi2EEENS1_25BinaryOpScalarListFunctorIdLi2ELi1ELi1EEEJSt5minusIdEEEEvT_T0_DpT1_
    .private_segment_fixed_size: 0
    .sgpr_count:     27
    .sgpr_spill_count: 0
    .symbol:         _ZN2at6native12_GLOBAL__N_125multi_tensor_apply_kernelINS1_28TensorListScalarListMetadataIdLi2EEENS1_25BinaryOpScalarListFunctorIdLi2ELi1ELi1EEEJSt5minusIdEEEEvT_T0_DpT1_.kd
    .uniform_work_group_size: 1
    .uses_dynamic_stack: false
    .vgpr_count:     33
    .vgpr_spill_count: 0
    .wavefront_size: 32
    .workgroup_processor_mode: 1
  - .args:
      - .offset:         0
        .size:           3392
        .value_kind:     by_value
      - .offset:         3392
        .size:           1
        .value_kind:     by_value
      - .offset:         3393
        .size:           1
        .value_kind:     by_value
      - .offset:         3400
        .size:           4
        .value_kind:     hidden_block_count_x
      - .offset:         3404
        .size:           4
        .value_kind:     hidden_block_count_y
      - .offset:         3408
        .size:           4
        .value_kind:     hidden_block_count_z
      - .offset:         3412
        .size:           2
        .value_kind:     hidden_group_size_x
      - .offset:         3414
        .size:           2
        .value_kind:     hidden_group_size_y
      - .offset:         3416
        .size:           2
        .value_kind:     hidden_group_size_z
      - .offset:         3418
        .size:           2
        .value_kind:     hidden_remainder_x
      - .offset:         3420
        .size:           2
        .value_kind:     hidden_remainder_y
      - .offset:         3422
        .size:           2
        .value_kind:     hidden_remainder_z
      - .offset:         3440
        .size:           8
        .value_kind:     hidden_global_offset_x
      - .offset:         3448
        .size:           8
        .value_kind:     hidden_global_offset_y
      - .offset:         3456
        .size:           8
        .value_kind:     hidden_global_offset_z
      - .offset:         3464
        .size:           2
        .value_kind:     hidden_grid_dims
    .group_segment_fixed_size: 0
    .kernarg_segment_align: 8
    .kernarg_segment_size: 3656
    .language:       OpenCL C
    .language_version:
      - 2
      - 0
    .max_flat_workgroup_size: 512
    .name:           _ZN2at6native12_GLOBAL__N_125multi_tensor_apply_kernelINS1_28TensorListScalarListMetadataIfLi2EEENS1_25BinaryOpScalarListFunctorIfLi2ELi1ELi1EEEJSt5minusIfEEEEvT_T0_DpT1_
    .private_segment_fixed_size: 0
    .sgpr_count:     26
    .sgpr_spill_count: 0
    .symbol:         _ZN2at6native12_GLOBAL__N_125multi_tensor_apply_kernelINS1_28TensorListScalarListMetadataIfLi2EEENS1_25BinaryOpScalarListFunctorIfLi2ELi1ELi1EEEJSt5minusIfEEEEvT_T0_DpT1_.kd
    .uniform_work_group_size: 1
    .uses_dynamic_stack: false
    .vgpr_count:     29
    .vgpr_spill_count: 0
    .wavefront_size: 32
    .workgroup_processor_mode: 1
  - .args:
      - .offset:         0
        .size:           4000
        .value_kind:     by_value
      - .offset:         4000
        .size:           1
        .value_kind:     by_value
      - .offset:         4001
        .size:           1
        .value_kind:     by_value
      - .offset:         4008
        .size:           4
        .value_kind:     hidden_block_count_x
      - .offset:         4012
        .size:           4
        .value_kind:     hidden_block_count_y
      - .offset:         4016
        .size:           4
        .value_kind:     hidden_block_count_z
      - .offset:         4020
        .size:           2
        .value_kind:     hidden_group_size_x
      - .offset:         4022
        .size:           2
        .value_kind:     hidden_group_size_y
      - .offset:         4024
        .size:           2
        .value_kind:     hidden_group_size_z
      - .offset:         4026
        .size:           2
        .value_kind:     hidden_remainder_x
      - .offset:         4028
        .size:           2
        .value_kind:     hidden_remainder_y
      - .offset:         4030
        .size:           2
        .value_kind:     hidden_remainder_z
      - .offset:         4048
        .size:           8
        .value_kind:     hidden_global_offset_x
      - .offset:         4056
        .size:           8
        .value_kind:     hidden_global_offset_y
      - .offset:         4064
        .size:           8
        .value_kind:     hidden_global_offset_z
      - .offset:         4072
        .size:           2
        .value_kind:     hidden_grid_dims
    .group_segment_fixed_size: 0
    .kernarg_segment_align: 16
    .kernarg_segment_size: 4264
    .language:       OpenCL C
    .language_version:
      - 2
      - 0
    .max_flat_workgroup_size: 512
    .name:           _ZN2at6native12_GLOBAL__N_125multi_tensor_apply_kernelINS1_28TensorListScalarListMetadataIN3c107complexIdEELi2EEENS1_25BinaryOpScalarListFunctorIS6_Li2ELi1ELi1EEEJSt5minusIS6_EEEEvT_T0_DpT1_
    .private_segment_fixed_size: 0
    .sgpr_count:     29
    .sgpr_spill_count: 0
    .symbol:         _ZN2at6native12_GLOBAL__N_125multi_tensor_apply_kernelINS1_28TensorListScalarListMetadataIN3c107complexIdEELi2EEENS1_25BinaryOpScalarListFunctorIS6_Li2ELi1ELi1EEEJSt5minusIS6_EEEEvT_T0_DpT1_.kd
    .uniform_work_group_size: 1
    .uses_dynamic_stack: false
    .vgpr_count:     25
    .vgpr_spill_count: 0
    .wavefront_size: 32
    .workgroup_processor_mode: 1
  - .args:
      - .offset:         0
        .size:           3648
        .value_kind:     by_value
      - .offset:         3648
        .size:           1
        .value_kind:     by_value
      - .offset:         3649
        .size:           1
        .value_kind:     by_value
      - .offset:         3656
        .size:           4
        .value_kind:     hidden_block_count_x
      - .offset:         3660
        .size:           4
        .value_kind:     hidden_block_count_y
      - .offset:         3664
        .size:           4
        .value_kind:     hidden_block_count_z
      - .offset:         3668
        .size:           2
        .value_kind:     hidden_group_size_x
      - .offset:         3670
        .size:           2
        .value_kind:     hidden_group_size_y
      - .offset:         3672
        .size:           2
        .value_kind:     hidden_group_size_z
      - .offset:         3674
        .size:           2
        .value_kind:     hidden_remainder_x
      - .offset:         3676
        .size:           2
        .value_kind:     hidden_remainder_y
      - .offset:         3678
        .size:           2
        .value_kind:     hidden_remainder_z
      - .offset:         3696
        .size:           8
        .value_kind:     hidden_global_offset_x
      - .offset:         3704
        .size:           8
        .value_kind:     hidden_global_offset_y
      - .offset:         3712
        .size:           8
        .value_kind:     hidden_global_offset_z
      - .offset:         3720
        .size:           2
        .value_kind:     hidden_grid_dims
    .group_segment_fixed_size: 0
    .kernarg_segment_align: 8
    .kernarg_segment_size: 3912
    .language:       OpenCL C
    .language_version:
      - 2
      - 0
    .max_flat_workgroup_size: 512
    .name:           _ZN2at6native12_GLOBAL__N_125multi_tensor_apply_kernelINS1_28TensorListScalarListMetadataIN3c107complexIfEELi2EEENS1_25BinaryOpScalarListFunctorIS6_Li2ELi1ELi1EEEJSt5minusIS6_EEEEvT_T0_DpT1_
    .private_segment_fixed_size: 16
    .sgpr_count:     31
    .sgpr_spill_count: 0
    .symbol:         _ZN2at6native12_GLOBAL__N_125multi_tensor_apply_kernelINS1_28TensorListScalarListMetadataIN3c107complexIfEELi2EEENS1_25BinaryOpScalarListFunctorIS6_Li2ELi1ELi1EEEJSt5minusIS6_EEEEvT_T0_DpT1_.kd
    .uniform_work_group_size: 1
    .uses_dynamic_stack: false
    .vgpr_count:     20
    .vgpr_spill_count: 0
    .wavefront_size: 32
    .workgroup_processor_mode: 1
  - .args:
      - .offset:         0
        .size:           3200
        .value_kind:     by_value
      - .offset:         3200
        .size:           1
        .value_kind:     by_value
      - .offset:         3201
        .size:           1
        .value_kind:     by_value
      - .offset:         3208
        .size:           4
        .value_kind:     hidden_block_count_x
      - .offset:         3212
        .size:           4
        .value_kind:     hidden_block_count_y
      - .offset:         3216
        .size:           4
        .value_kind:     hidden_block_count_z
      - .offset:         3220
        .size:           2
        .value_kind:     hidden_group_size_x
      - .offset:         3222
        .size:           2
        .value_kind:     hidden_group_size_y
      - .offset:         3224
        .size:           2
        .value_kind:     hidden_group_size_z
      - .offset:         3226
        .size:           2
        .value_kind:     hidden_remainder_x
      - .offset:         3228
        .size:           2
        .value_kind:     hidden_remainder_y
      - .offset:         3230
        .size:           2
        .value_kind:     hidden_remainder_z
      - .offset:         3248
        .size:           8
        .value_kind:     hidden_global_offset_x
      - .offset:         3256
        .size:           8
        .value_kind:     hidden_global_offset_y
      - .offset:         3264
        .size:           8
        .value_kind:     hidden_global_offset_z
      - .offset:         3272
        .size:           2
        .value_kind:     hidden_grid_dims
    .group_segment_fixed_size: 0
    .kernarg_segment_align: 8
    .kernarg_segment_size: 3464
    .language:       OpenCL C
    .language_version:
      - 2
      - 0
    .max_flat_workgroup_size: 512
    .name:           _ZN2at6native12_GLOBAL__N_125multi_tensor_apply_kernelINS1_28TensorListScalarListMetadataIbLi2EEENS1_25BinaryOpScalarListFunctorIbLi2ELi1ELi1EEEJSt5minusIbEEEEvT_T0_DpT1_
    .private_segment_fixed_size: 0
    .sgpr_count:     31
    .sgpr_spill_count: 0
    .symbol:         _ZN2at6native12_GLOBAL__N_125multi_tensor_apply_kernelINS1_28TensorListScalarListMetadataIbLi2EEENS1_25BinaryOpScalarListFunctorIbLi2ELi1ELi1EEEJSt5minusIbEEEEvT_T0_DpT1_.kd
    .uniform_work_group_size: 1
    .uses_dynamic_stack: false
    .vgpr_count:     26
    .vgpr_spill_count: 0
    .wavefront_size: 32
    .workgroup_processor_mode: 1
  - .args:
      - .offset:         0
        .size:           3392
        .value_kind:     by_value
      - .offset:         3392
        .size:           1
        .value_kind:     by_value
      - .offset:         3393
        .size:           1
        .value_kind:     by_value
      - .offset:         3400
        .size:           4
        .value_kind:     hidden_block_count_x
      - .offset:         3404
        .size:           4
        .value_kind:     hidden_block_count_y
      - .offset:         3408
        .size:           4
        .value_kind:     hidden_block_count_z
      - .offset:         3412
        .size:           2
        .value_kind:     hidden_group_size_x
      - .offset:         3414
        .size:           2
        .value_kind:     hidden_group_size_y
      - .offset:         3416
        .size:           2
        .value_kind:     hidden_group_size_z
      - .offset:         3418
        .size:           2
        .value_kind:     hidden_remainder_x
      - .offset:         3420
        .size:           2
        .value_kind:     hidden_remainder_y
      - .offset:         3422
        .size:           2
        .value_kind:     hidden_remainder_z
      - .offset:         3440
        .size:           8
        .value_kind:     hidden_global_offset_x
      - .offset:         3448
        .size:           8
        .value_kind:     hidden_global_offset_y
      - .offset:         3456
        .size:           8
        .value_kind:     hidden_global_offset_z
      - .offset:         3464
        .size:           2
        .value_kind:     hidden_grid_dims
    .group_segment_fixed_size: 0
    .kernarg_segment_align: 8
    .kernarg_segment_size: 3656
    .language:       OpenCL C
    .language_version:
      - 2
      - 0
    .max_flat_workgroup_size: 512
    .name:           _ZN2at6native12_GLOBAL__N_125multi_tensor_apply_kernelINS1_28TensorListScalarListMetadataIfLi2EEENS1_25BinaryOpScalarListFunctorIN3c104HalfELi2ELi1ELi1EEEJSt5minusIfEEEEvT_T0_DpT1_
    .private_segment_fixed_size: 0
    .sgpr_count:     26
    .sgpr_spill_count: 0
    .symbol:         _ZN2at6native12_GLOBAL__N_125multi_tensor_apply_kernelINS1_28TensorListScalarListMetadataIfLi2EEENS1_25BinaryOpScalarListFunctorIN3c104HalfELi2ELi1ELi1EEEJSt5minusIfEEEEvT_T0_DpT1_.kd
    .uniform_work_group_size: 1
    .uses_dynamic_stack: false
    .vgpr_count:     29
    .vgpr_spill_count: 0
    .wavefront_size: 32
    .workgroup_processor_mode: 1
  - .args:
      - .offset:         0
        .size:           3392
        .value_kind:     by_value
      - .offset:         3392
        .size:           1
        .value_kind:     by_value
      - .offset:         3393
        .size:           1
        .value_kind:     by_value
      - .offset:         3400
        .size:           4
        .value_kind:     hidden_block_count_x
      - .offset:         3404
        .size:           4
        .value_kind:     hidden_block_count_y
      - .offset:         3408
        .size:           4
        .value_kind:     hidden_block_count_z
      - .offset:         3412
        .size:           2
        .value_kind:     hidden_group_size_x
      - .offset:         3414
        .size:           2
        .value_kind:     hidden_group_size_y
      - .offset:         3416
        .size:           2
        .value_kind:     hidden_group_size_z
      - .offset:         3418
        .size:           2
        .value_kind:     hidden_remainder_x
      - .offset:         3420
        .size:           2
        .value_kind:     hidden_remainder_y
      - .offset:         3422
        .size:           2
        .value_kind:     hidden_remainder_z
      - .offset:         3440
        .size:           8
        .value_kind:     hidden_global_offset_x
      - .offset:         3448
        .size:           8
        .value_kind:     hidden_global_offset_y
      - .offset:         3456
        .size:           8
        .value_kind:     hidden_global_offset_z
      - .offset:         3464
        .size:           2
        .value_kind:     hidden_grid_dims
    .group_segment_fixed_size: 0
    .kernarg_segment_align: 8
    .kernarg_segment_size: 3656
    .language:       OpenCL C
    .language_version:
      - 2
      - 0
    .max_flat_workgroup_size: 512
    .name:           _ZN2at6native12_GLOBAL__N_125multi_tensor_apply_kernelINS1_28TensorListScalarListMetadataIfLi2EEENS1_25BinaryOpScalarListFunctorIN3c108BFloat16ELi2ELi1ELi1EEEJSt5minusIfEEEEvT_T0_DpT1_
    .private_segment_fixed_size: 0
    .sgpr_count:     26
    .sgpr_spill_count: 0
    .symbol:         _ZN2at6native12_GLOBAL__N_125multi_tensor_apply_kernelINS1_28TensorListScalarListMetadataIfLi2EEENS1_25BinaryOpScalarListFunctorIN3c108BFloat16ELi2ELi1ELi1EEEJSt5minusIfEEEEvT_T0_DpT1_.kd
    .uniform_work_group_size: 1
    .uses_dynamic_stack: false
    .vgpr_count:     30
    .vgpr_spill_count: 0
    .wavefront_size: 32
    .workgroup_processor_mode: 1
  - .args:
      - .offset:         0
        .size:           3232
        .value_kind:     by_value
      - .offset:         3232
        .size:           1
        .value_kind:     by_value
      - .offset:         3233
        .size:           1
        .value_kind:     by_value
      - .offset:         3240
        .size:           4
        .value_kind:     hidden_block_count_x
      - .offset:         3244
        .size:           4
        .value_kind:     hidden_block_count_y
      - .offset:         3248
        .size:           4
        .value_kind:     hidden_block_count_z
      - .offset:         3252
        .size:           2
        .value_kind:     hidden_group_size_x
      - .offset:         3254
        .size:           2
        .value_kind:     hidden_group_size_y
      - .offset:         3256
        .size:           2
        .value_kind:     hidden_group_size_z
      - .offset:         3258
        .size:           2
        .value_kind:     hidden_remainder_x
      - .offset:         3260
        .size:           2
        .value_kind:     hidden_remainder_y
      - .offset:         3262
        .size:           2
        .value_kind:     hidden_remainder_z
      - .offset:         3280
        .size:           8
        .value_kind:     hidden_global_offset_x
      - .offset:         3288
        .size:           8
        .value_kind:     hidden_global_offset_y
      - .offset:         3296
        .size:           8
        .value_kind:     hidden_global_offset_z
      - .offset:         3304
        .size:           2
        .value_kind:     hidden_grid_dims
    .group_segment_fixed_size: 0
    .kernarg_segment_align: 8
    .kernarg_segment_size: 3496
    .language:       OpenCL C
    .language_version:
      - 2
      - 0
    .max_flat_workgroup_size: 512
    .name:           _ZN2at6native12_GLOBAL__N_125multi_tensor_apply_kernelINS1_28TensorListScalarListMetadataIhLi1EEENS1_25BinaryOpScalarListFunctorIhLi1ELi1ELi0EEEJNS0_7minimumIhEEEEEvT_T0_DpT1_
    .private_segment_fixed_size: 0
    .sgpr_count:     24
    .sgpr_spill_count: 0
    .symbol:         _ZN2at6native12_GLOBAL__N_125multi_tensor_apply_kernelINS1_28TensorListScalarListMetadataIhLi1EEENS1_25BinaryOpScalarListFunctorIhLi1ELi1ELi0EEEJNS0_7minimumIhEEEEEvT_T0_DpT1_.kd
    .uniform_work_group_size: 1
    .uses_dynamic_stack: false
    .vgpr_count:     21
    .vgpr_spill_count: 0
    .wavefront_size: 32
    .workgroup_processor_mode: 1
  - .args:
      - .offset:         0
        .size:           3232
        .value_kind:     by_value
      - .offset:         3232
        .size:           1
        .value_kind:     by_value
      - .offset:         3233
        .size:           1
        .value_kind:     by_value
      - .offset:         3240
        .size:           4
        .value_kind:     hidden_block_count_x
      - .offset:         3244
        .size:           4
        .value_kind:     hidden_block_count_y
      - .offset:         3248
        .size:           4
        .value_kind:     hidden_block_count_z
      - .offset:         3252
        .size:           2
        .value_kind:     hidden_group_size_x
      - .offset:         3254
        .size:           2
        .value_kind:     hidden_group_size_y
      - .offset:         3256
        .size:           2
        .value_kind:     hidden_group_size_z
      - .offset:         3258
        .size:           2
        .value_kind:     hidden_remainder_x
      - .offset:         3260
        .size:           2
        .value_kind:     hidden_remainder_y
      - .offset:         3262
        .size:           2
        .value_kind:     hidden_remainder_z
      - .offset:         3280
        .size:           8
        .value_kind:     hidden_global_offset_x
      - .offset:         3288
        .size:           8
        .value_kind:     hidden_global_offset_y
      - .offset:         3296
        .size:           8
        .value_kind:     hidden_global_offset_z
      - .offset:         3304
        .size:           2
        .value_kind:     hidden_grid_dims
    .group_segment_fixed_size: 0
    .kernarg_segment_align: 8
    .kernarg_segment_size: 3496
    .language:       OpenCL C
    .language_version:
      - 2
      - 0
    .max_flat_workgroup_size: 512
    .name:           _ZN2at6native12_GLOBAL__N_125multi_tensor_apply_kernelINS1_28TensorListScalarListMetadataIaLi1EEENS1_25BinaryOpScalarListFunctorIaLi1ELi1ELi0EEEJNS0_7minimumIaEEEEEvT_T0_DpT1_
    .private_segment_fixed_size: 0
    .sgpr_count:     24
    .sgpr_spill_count: 0
    .symbol:         _ZN2at6native12_GLOBAL__N_125multi_tensor_apply_kernelINS1_28TensorListScalarListMetadataIaLi1EEENS1_25BinaryOpScalarListFunctorIaLi1ELi1ELi0EEEJNS0_7minimumIaEEEEEvT_T0_DpT1_.kd
    .uniform_work_group_size: 1
    .uses_dynamic_stack: false
    .vgpr_count:     21
    .vgpr_spill_count: 0
    .wavefront_size: 32
    .workgroup_processor_mode: 1
  - .args:
      - .offset:         0
        .size:           3520
        .value_kind:     by_value
      - .offset:         3520
        .size:           1
        .value_kind:     by_value
      - .offset:         3521
        .size:           1
        .value_kind:     by_value
      - .offset:         3528
        .size:           4
        .value_kind:     hidden_block_count_x
      - .offset:         3532
        .size:           4
        .value_kind:     hidden_block_count_y
      - .offset:         3536
        .size:           4
        .value_kind:     hidden_block_count_z
      - .offset:         3540
        .size:           2
        .value_kind:     hidden_group_size_x
      - .offset:         3542
        .size:           2
        .value_kind:     hidden_group_size_y
      - .offset:         3544
        .size:           2
        .value_kind:     hidden_group_size_z
      - .offset:         3546
        .size:           2
        .value_kind:     hidden_remainder_x
      - .offset:         3548
        .size:           2
        .value_kind:     hidden_remainder_y
      - .offset:         3550
        .size:           2
        .value_kind:     hidden_remainder_z
      - .offset:         3568
        .size:           8
        .value_kind:     hidden_global_offset_x
      - .offset:         3576
        .size:           8
        .value_kind:     hidden_global_offset_y
      - .offset:         3584
        .size:           8
        .value_kind:     hidden_global_offset_z
      - .offset:         3592
        .size:           2
        .value_kind:     hidden_grid_dims
    .group_segment_fixed_size: 0
    .kernarg_segment_align: 8
    .kernarg_segment_size: 3784
    .language:       OpenCL C
    .language_version:
      - 2
      - 0
    .max_flat_workgroup_size: 512
    .name:           _ZN2at6native12_GLOBAL__N_125multi_tensor_apply_kernelINS1_28TensorListScalarListMetadataIiLi1EEENS1_25BinaryOpScalarListFunctorIiLi1ELi1ELi0EEEJNS0_7minimumIiEEEEEvT_T0_DpT1_
    .private_segment_fixed_size: 0
    .sgpr_count:     26
    .sgpr_spill_count: 0
    .symbol:         _ZN2at6native12_GLOBAL__N_125multi_tensor_apply_kernelINS1_28TensorListScalarListMetadataIiLi1EEENS1_25BinaryOpScalarListFunctorIiLi1ELi1ELi0EEEJNS0_7minimumIiEEEEEvT_T0_DpT1_.kd
    .uniform_work_group_size: 1
    .uses_dynamic_stack: false
    .vgpr_count:     16
    .vgpr_spill_count: 0
    .wavefront_size: 32
    .workgroup_processor_mode: 1
  - .args:
      - .offset:         0
        .size:           3904
        .value_kind:     by_value
      - .offset:         3904
        .size:           1
        .value_kind:     by_value
      - .offset:         3905
        .size:           1
        .value_kind:     by_value
      - .offset:         3912
        .size:           4
        .value_kind:     hidden_block_count_x
      - .offset:         3916
        .size:           4
        .value_kind:     hidden_block_count_y
      - .offset:         3920
        .size:           4
        .value_kind:     hidden_block_count_z
      - .offset:         3924
        .size:           2
        .value_kind:     hidden_group_size_x
      - .offset:         3926
        .size:           2
        .value_kind:     hidden_group_size_y
      - .offset:         3928
        .size:           2
        .value_kind:     hidden_group_size_z
      - .offset:         3930
        .size:           2
        .value_kind:     hidden_remainder_x
      - .offset:         3932
        .size:           2
        .value_kind:     hidden_remainder_y
      - .offset:         3934
        .size:           2
        .value_kind:     hidden_remainder_z
      - .offset:         3952
        .size:           8
        .value_kind:     hidden_global_offset_x
      - .offset:         3960
        .size:           8
        .value_kind:     hidden_global_offset_y
      - .offset:         3968
        .size:           8
        .value_kind:     hidden_global_offset_z
      - .offset:         3976
        .size:           2
        .value_kind:     hidden_grid_dims
    .group_segment_fixed_size: 0
    .kernarg_segment_align: 8
    .kernarg_segment_size: 4168
    .language:       OpenCL C
    .language_version:
      - 2
      - 0
    .max_flat_workgroup_size: 512
    .name:           _ZN2at6native12_GLOBAL__N_125multi_tensor_apply_kernelINS1_28TensorListScalarListMetadataIlLi1EEENS1_25BinaryOpScalarListFunctorIlLi1ELi1ELi0EEEJNS0_7minimumIlEEEEEvT_T0_DpT1_
    .private_segment_fixed_size: 0
    .sgpr_count:     27
    .sgpr_spill_count: 0
    .symbol:         _ZN2at6native12_GLOBAL__N_125multi_tensor_apply_kernelINS1_28TensorListScalarListMetadataIlLi1EEENS1_25BinaryOpScalarListFunctorIlLi1ELi1ELi0EEEJNS0_7minimumIlEEEEEvT_T0_DpT1_.kd
    .uniform_work_group_size: 1
    .uses_dynamic_stack: false
    .vgpr_count:     21
    .vgpr_spill_count: 0
    .wavefront_size: 32
    .workgroup_processor_mode: 1
  - .args:
      - .offset:         0
        .size:           3328
        .value_kind:     by_value
      - .offset:         3328
        .size:           1
        .value_kind:     by_value
      - .offset:         3329
        .size:           1
        .value_kind:     by_value
      - .offset:         3336
        .size:           4
        .value_kind:     hidden_block_count_x
      - .offset:         3340
        .size:           4
        .value_kind:     hidden_block_count_y
      - .offset:         3344
        .size:           4
        .value_kind:     hidden_block_count_z
      - .offset:         3348
        .size:           2
        .value_kind:     hidden_group_size_x
      - .offset:         3350
        .size:           2
        .value_kind:     hidden_group_size_y
      - .offset:         3352
        .size:           2
        .value_kind:     hidden_group_size_z
      - .offset:         3354
        .size:           2
        .value_kind:     hidden_remainder_x
      - .offset:         3356
        .size:           2
        .value_kind:     hidden_remainder_y
      - .offset:         3358
        .size:           2
        .value_kind:     hidden_remainder_z
      - .offset:         3376
        .size:           8
        .value_kind:     hidden_global_offset_x
      - .offset:         3384
        .size:           8
        .value_kind:     hidden_global_offset_y
      - .offset:         3392
        .size:           8
        .value_kind:     hidden_global_offset_z
      - .offset:         3400
        .size:           2
        .value_kind:     hidden_grid_dims
    .group_segment_fixed_size: 0
    .kernarg_segment_align: 8
    .kernarg_segment_size: 3592
    .language:       OpenCL C
    .language_version:
      - 2
      - 0
    .max_flat_workgroup_size: 512
    .name:           _ZN2at6native12_GLOBAL__N_125multi_tensor_apply_kernelINS1_28TensorListScalarListMetadataIsLi1EEENS1_25BinaryOpScalarListFunctorIsLi1ELi1ELi0EEEJNS0_7minimumIsEEEEEvT_T0_DpT1_
    .private_segment_fixed_size: 0
    .sgpr_count:     24
    .sgpr_spill_count: 0
    .symbol:         _ZN2at6native12_GLOBAL__N_125multi_tensor_apply_kernelINS1_28TensorListScalarListMetadataIsLi1EEENS1_25BinaryOpScalarListFunctorIsLi1ELi1ELi0EEEJNS0_7minimumIsEEEEEvT_T0_DpT1_.kd
    .uniform_work_group_size: 1
    .uses_dynamic_stack: false
    .vgpr_count:     17
    .vgpr_spill_count: 0
    .wavefront_size: 32
    .workgroup_processor_mode: 1
  - .args:
      - .offset:         0
        .size:           3904
        .value_kind:     by_value
      - .offset:         3904
        .size:           1
        .value_kind:     by_value
      - .offset:         3905
        .size:           1
        .value_kind:     by_value
      - .offset:         3912
        .size:           4
        .value_kind:     hidden_block_count_x
      - .offset:         3916
        .size:           4
        .value_kind:     hidden_block_count_y
      - .offset:         3920
        .size:           4
        .value_kind:     hidden_block_count_z
      - .offset:         3924
        .size:           2
        .value_kind:     hidden_group_size_x
      - .offset:         3926
        .size:           2
        .value_kind:     hidden_group_size_y
      - .offset:         3928
        .size:           2
        .value_kind:     hidden_group_size_z
      - .offset:         3930
        .size:           2
        .value_kind:     hidden_remainder_x
      - .offset:         3932
        .size:           2
        .value_kind:     hidden_remainder_y
      - .offset:         3934
        .size:           2
        .value_kind:     hidden_remainder_z
      - .offset:         3952
        .size:           8
        .value_kind:     hidden_global_offset_x
      - .offset:         3960
        .size:           8
        .value_kind:     hidden_global_offset_y
      - .offset:         3968
        .size:           8
        .value_kind:     hidden_global_offset_z
      - .offset:         3976
        .size:           2
        .value_kind:     hidden_grid_dims
    .group_segment_fixed_size: 0
    .kernarg_segment_align: 8
    .kernarg_segment_size: 4168
    .language:       OpenCL C
    .language_version:
      - 2
      - 0
    .max_flat_workgroup_size: 512
    .name:           _ZN2at6native12_GLOBAL__N_125multi_tensor_apply_kernelINS1_28TensorListScalarListMetadataIdLi1EEENS1_25BinaryOpScalarListFunctorIdLi1ELi1ELi0EEEJNS0_7minimumIdEEEEEvT_T0_DpT1_
    .private_segment_fixed_size: 0
    .sgpr_count:     27
    .sgpr_spill_count: 0
    .symbol:         _ZN2at6native12_GLOBAL__N_125multi_tensor_apply_kernelINS1_28TensorListScalarListMetadataIdLi1EEENS1_25BinaryOpScalarListFunctorIdLi1ELi1ELi0EEEJNS0_7minimumIdEEEEEvT_T0_DpT1_.kd
    .uniform_work_group_size: 1
    .uses_dynamic_stack: false
    .vgpr_count:     21
    .vgpr_spill_count: 0
    .wavefront_size: 32
    .workgroup_processor_mode: 1
  - .args:
      - .offset:         0
        .size:           3520
        .value_kind:     by_value
      - .offset:         3520
        .size:           1
        .value_kind:     by_value
      - .offset:         3521
        .size:           1
        .value_kind:     by_value
      - .offset:         3528
        .size:           4
        .value_kind:     hidden_block_count_x
      - .offset:         3532
        .size:           4
        .value_kind:     hidden_block_count_y
      - .offset:         3536
        .size:           4
        .value_kind:     hidden_block_count_z
      - .offset:         3540
        .size:           2
        .value_kind:     hidden_group_size_x
      - .offset:         3542
        .size:           2
        .value_kind:     hidden_group_size_y
      - .offset:         3544
        .size:           2
        .value_kind:     hidden_group_size_z
      - .offset:         3546
        .size:           2
        .value_kind:     hidden_remainder_x
      - .offset:         3548
        .size:           2
        .value_kind:     hidden_remainder_y
      - .offset:         3550
        .size:           2
        .value_kind:     hidden_remainder_z
      - .offset:         3568
        .size:           8
        .value_kind:     hidden_global_offset_x
      - .offset:         3576
        .size:           8
        .value_kind:     hidden_global_offset_y
      - .offset:         3584
        .size:           8
        .value_kind:     hidden_global_offset_z
      - .offset:         3592
        .size:           2
        .value_kind:     hidden_grid_dims
    .group_segment_fixed_size: 0
    .kernarg_segment_align: 8
    .kernarg_segment_size: 3784
    .language:       OpenCL C
    .language_version:
      - 2
      - 0
    .max_flat_workgroup_size: 512
    .name:           _ZN2at6native12_GLOBAL__N_125multi_tensor_apply_kernelINS1_28TensorListScalarListMetadataIfLi1EEENS1_25BinaryOpScalarListFunctorIfLi1ELi1ELi0EEEJNS0_7minimumIfEEEEEvT_T0_DpT1_
    .private_segment_fixed_size: 0
    .sgpr_count:     26
    .sgpr_spill_count: 0
    .symbol:         _ZN2at6native12_GLOBAL__N_125multi_tensor_apply_kernelINS1_28TensorListScalarListMetadataIfLi1EEENS1_25BinaryOpScalarListFunctorIfLi1ELi1ELi0EEEJNS0_7minimumIfEEEEEvT_T0_DpT1_.kd
    .uniform_work_group_size: 1
    .uses_dynamic_stack: false
    .vgpr_count:     16
    .vgpr_spill_count: 0
    .wavefront_size: 32
    .workgroup_processor_mode: 1
  - .args:
      - .offset:         0
        .size:           3520
        .value_kind:     by_value
      - .offset:         3520
        .size:           1
        .value_kind:     by_value
      - .offset:         3521
        .size:           1
        .value_kind:     by_value
      - .offset:         3528
        .size:           4
        .value_kind:     hidden_block_count_x
      - .offset:         3532
        .size:           4
        .value_kind:     hidden_block_count_y
      - .offset:         3536
        .size:           4
        .value_kind:     hidden_block_count_z
      - .offset:         3540
        .size:           2
        .value_kind:     hidden_group_size_x
      - .offset:         3542
        .size:           2
        .value_kind:     hidden_group_size_y
      - .offset:         3544
        .size:           2
        .value_kind:     hidden_group_size_z
      - .offset:         3546
        .size:           2
        .value_kind:     hidden_remainder_x
      - .offset:         3548
        .size:           2
        .value_kind:     hidden_remainder_y
      - .offset:         3550
        .size:           2
        .value_kind:     hidden_remainder_z
      - .offset:         3568
        .size:           8
        .value_kind:     hidden_global_offset_x
      - .offset:         3576
        .size:           8
        .value_kind:     hidden_global_offset_y
      - .offset:         3584
        .size:           8
        .value_kind:     hidden_global_offset_z
      - .offset:         3592
        .size:           2
        .value_kind:     hidden_grid_dims
    .group_segment_fixed_size: 0
    .kernarg_segment_align: 8
    .kernarg_segment_size: 3784
    .language:       OpenCL C
    .language_version:
      - 2
      - 0
    .max_flat_workgroup_size: 512
    .name:           _ZN2at6native12_GLOBAL__N_125multi_tensor_apply_kernelINS1_28TensorListScalarListMetadataIfLi1EEENS1_25BinaryOpScalarListFunctorIN3c104HalfELi1ELi1ELi0EEEJNS0_7minimumIfEEEEEvT_T0_DpT1_
    .private_segment_fixed_size: 0
    .sgpr_count:     25
    .sgpr_spill_count: 0
    .symbol:         _ZN2at6native12_GLOBAL__N_125multi_tensor_apply_kernelINS1_28TensorListScalarListMetadataIfLi1EEENS1_25BinaryOpScalarListFunctorIN3c104HalfELi1ELi1ELi0EEEJNS0_7minimumIfEEEEEvT_T0_DpT1_.kd
    .uniform_work_group_size: 1
    .uses_dynamic_stack: false
    .vgpr_count:     17
    .vgpr_spill_count: 0
    .wavefront_size: 32
    .workgroup_processor_mode: 1
  - .args:
      - .offset:         0
        .size:           3520
        .value_kind:     by_value
      - .offset:         3520
        .size:           1
        .value_kind:     by_value
      - .offset:         3521
        .size:           1
        .value_kind:     by_value
      - .offset:         3528
        .size:           4
        .value_kind:     hidden_block_count_x
      - .offset:         3532
        .size:           4
        .value_kind:     hidden_block_count_y
      - .offset:         3536
        .size:           4
        .value_kind:     hidden_block_count_z
      - .offset:         3540
        .size:           2
        .value_kind:     hidden_group_size_x
      - .offset:         3542
        .size:           2
        .value_kind:     hidden_group_size_y
      - .offset:         3544
        .size:           2
        .value_kind:     hidden_group_size_z
      - .offset:         3546
        .size:           2
        .value_kind:     hidden_remainder_x
      - .offset:         3548
        .size:           2
        .value_kind:     hidden_remainder_y
      - .offset:         3550
        .size:           2
        .value_kind:     hidden_remainder_z
      - .offset:         3568
        .size:           8
        .value_kind:     hidden_global_offset_x
      - .offset:         3576
        .size:           8
        .value_kind:     hidden_global_offset_y
      - .offset:         3584
        .size:           8
        .value_kind:     hidden_global_offset_z
      - .offset:         3592
        .size:           2
        .value_kind:     hidden_grid_dims
    .group_segment_fixed_size: 0
    .kernarg_segment_align: 8
    .kernarg_segment_size: 3784
    .language:       OpenCL C
    .language_version:
      - 2
      - 0
    .max_flat_workgroup_size: 512
    .name:           _ZN2at6native12_GLOBAL__N_125multi_tensor_apply_kernelINS1_28TensorListScalarListMetadataIfLi1EEENS1_25BinaryOpScalarListFunctorIN3c108BFloat16ELi1ELi1ELi0EEEJNS0_7minimumIfEEEEEvT_T0_DpT1_
    .private_segment_fixed_size: 0
    .sgpr_count:     25
    .sgpr_spill_count: 0
    .symbol:         _ZN2at6native12_GLOBAL__N_125multi_tensor_apply_kernelINS1_28TensorListScalarListMetadataIfLi1EEENS1_25BinaryOpScalarListFunctorIN3c108BFloat16ELi1ELi1ELi0EEEJNS0_7minimumIfEEEEEvT_T0_DpT1_.kd
    .uniform_work_group_size: 1
    .uses_dynamic_stack: false
    .vgpr_count:     17
    .vgpr_spill_count: 0
    .wavefront_size: 32
    .workgroup_processor_mode: 1
  - .args:
      - .offset:         0
        .size:           3200
        .value_kind:     by_value
      - .offset:         3200
        .size:           1
        .value_kind:     by_value
      - .offset:         3201
        .size:           1
        .value_kind:     by_value
      - .offset:         3208
        .size:           4
        .value_kind:     hidden_block_count_x
      - .offset:         3212
        .size:           4
        .value_kind:     hidden_block_count_y
      - .offset:         3216
        .size:           4
        .value_kind:     hidden_block_count_z
      - .offset:         3220
        .size:           2
        .value_kind:     hidden_group_size_x
      - .offset:         3222
        .size:           2
        .value_kind:     hidden_group_size_y
      - .offset:         3224
        .size:           2
        .value_kind:     hidden_group_size_z
      - .offset:         3226
        .size:           2
        .value_kind:     hidden_remainder_x
      - .offset:         3228
        .size:           2
        .value_kind:     hidden_remainder_y
      - .offset:         3230
        .size:           2
        .value_kind:     hidden_remainder_z
      - .offset:         3248
        .size:           8
        .value_kind:     hidden_global_offset_x
      - .offset:         3256
        .size:           8
        .value_kind:     hidden_global_offset_y
      - .offset:         3264
        .size:           8
        .value_kind:     hidden_global_offset_z
      - .offset:         3272
        .size:           2
        .value_kind:     hidden_grid_dims
    .group_segment_fixed_size: 0
    .kernarg_segment_align: 8
    .kernarg_segment_size: 3464
    .language:       OpenCL C
    .language_version:
      - 2
      - 0
    .max_flat_workgroup_size: 512
    .name:           _ZN2at6native12_GLOBAL__N_125multi_tensor_apply_kernelINS1_28TensorListScalarListMetadataIhLi2EEENS1_25BinaryOpScalarListFunctorIhLi2ELi1ELi1EEEJNS0_7minimumIhEEEEEvT_T0_DpT1_
    .private_segment_fixed_size: 0
    .sgpr_count:     26
    .sgpr_spill_count: 0
    .symbol:         _ZN2at6native12_GLOBAL__N_125multi_tensor_apply_kernelINS1_28TensorListScalarListMetadataIhLi2EEENS1_25BinaryOpScalarListFunctorIhLi2ELi1ELi1EEEJNS0_7minimumIhEEEEEvT_T0_DpT1_.kd
    .uniform_work_group_size: 1
    .uses_dynamic_stack: false
    .vgpr_count:     29
    .vgpr_spill_count: 0
    .wavefront_size: 32
    .workgroup_processor_mode: 1
  - .args:
      - .offset:         0
        .size:           3200
        .value_kind:     by_value
      - .offset:         3200
        .size:           1
        .value_kind:     by_value
      - .offset:         3201
        .size:           1
        .value_kind:     by_value
      - .offset:         3208
        .size:           4
        .value_kind:     hidden_block_count_x
      - .offset:         3212
        .size:           4
        .value_kind:     hidden_block_count_y
      - .offset:         3216
        .size:           4
        .value_kind:     hidden_block_count_z
      - .offset:         3220
        .size:           2
        .value_kind:     hidden_group_size_x
      - .offset:         3222
        .size:           2
        .value_kind:     hidden_group_size_y
      - .offset:         3224
        .size:           2
        .value_kind:     hidden_group_size_z
      - .offset:         3226
        .size:           2
        .value_kind:     hidden_remainder_x
      - .offset:         3228
        .size:           2
        .value_kind:     hidden_remainder_y
      - .offset:         3230
        .size:           2
        .value_kind:     hidden_remainder_z
      - .offset:         3248
        .size:           8
        .value_kind:     hidden_global_offset_x
      - .offset:         3256
        .size:           8
        .value_kind:     hidden_global_offset_y
      - .offset:         3264
        .size:           8
        .value_kind:     hidden_global_offset_z
      - .offset:         3272
        .size:           2
        .value_kind:     hidden_grid_dims
    .group_segment_fixed_size: 0
    .kernarg_segment_align: 8
    .kernarg_segment_size: 3464
    .language:       OpenCL C
    .language_version:
      - 2
      - 0
    .max_flat_workgroup_size: 512
    .name:           _ZN2at6native12_GLOBAL__N_125multi_tensor_apply_kernelINS1_28TensorListScalarListMetadataIaLi2EEENS1_25BinaryOpScalarListFunctorIaLi2ELi1ELi1EEEJNS0_7minimumIaEEEEEvT_T0_DpT1_
    .private_segment_fixed_size: 0
    .sgpr_count:     26
    .sgpr_spill_count: 0
    .symbol:         _ZN2at6native12_GLOBAL__N_125multi_tensor_apply_kernelINS1_28TensorListScalarListMetadataIaLi2EEENS1_25BinaryOpScalarListFunctorIaLi2ELi1ELi1EEEJNS0_7minimumIaEEEEEvT_T0_DpT1_.kd
    .uniform_work_group_size: 1
    .uses_dynamic_stack: false
    .vgpr_count:     29
    .vgpr_spill_count: 0
    .wavefront_size: 32
    .workgroup_processor_mode: 1
  - .args:
      - .offset:         0
        .size:           3392
        .value_kind:     by_value
      - .offset:         3392
        .size:           1
        .value_kind:     by_value
      - .offset:         3393
        .size:           1
        .value_kind:     by_value
      - .offset:         3400
        .size:           4
        .value_kind:     hidden_block_count_x
      - .offset:         3404
        .size:           4
        .value_kind:     hidden_block_count_y
      - .offset:         3408
        .size:           4
        .value_kind:     hidden_block_count_z
      - .offset:         3412
        .size:           2
        .value_kind:     hidden_group_size_x
      - .offset:         3414
        .size:           2
        .value_kind:     hidden_group_size_y
      - .offset:         3416
        .size:           2
        .value_kind:     hidden_group_size_z
      - .offset:         3418
        .size:           2
        .value_kind:     hidden_remainder_x
      - .offset:         3420
        .size:           2
        .value_kind:     hidden_remainder_y
      - .offset:         3422
        .size:           2
        .value_kind:     hidden_remainder_z
      - .offset:         3440
        .size:           8
        .value_kind:     hidden_global_offset_x
      - .offset:         3448
        .size:           8
        .value_kind:     hidden_global_offset_y
      - .offset:         3456
        .size:           8
        .value_kind:     hidden_global_offset_z
      - .offset:         3464
        .size:           2
        .value_kind:     hidden_grid_dims
    .group_segment_fixed_size: 0
    .kernarg_segment_align: 8
    .kernarg_segment_size: 3656
    .language:       OpenCL C
    .language_version:
      - 2
      - 0
    .max_flat_workgroup_size: 512
    .name:           _ZN2at6native12_GLOBAL__N_125multi_tensor_apply_kernelINS1_28TensorListScalarListMetadataIiLi2EEENS1_25BinaryOpScalarListFunctorIiLi2ELi1ELi1EEEJNS0_7minimumIiEEEEEvT_T0_DpT1_
    .private_segment_fixed_size: 0
    .sgpr_count:     26
    .sgpr_spill_count: 0
    .symbol:         _ZN2at6native12_GLOBAL__N_125multi_tensor_apply_kernelINS1_28TensorListScalarListMetadataIiLi2EEENS1_25BinaryOpScalarListFunctorIiLi2ELi1ELi1EEEJNS0_7minimumIiEEEEEvT_T0_DpT1_.kd
    .uniform_work_group_size: 1
    .uses_dynamic_stack: false
    .vgpr_count:     29
    .vgpr_spill_count: 0
    .wavefront_size: 32
    .workgroup_processor_mode: 1
  - .args:
      - .offset:         0
        .size:           3648
        .value_kind:     by_value
      - .offset:         3648
        .size:           1
        .value_kind:     by_value
      - .offset:         3649
        .size:           1
        .value_kind:     by_value
      - .offset:         3656
        .size:           4
        .value_kind:     hidden_block_count_x
      - .offset:         3660
        .size:           4
        .value_kind:     hidden_block_count_y
      - .offset:         3664
        .size:           4
        .value_kind:     hidden_block_count_z
      - .offset:         3668
        .size:           2
        .value_kind:     hidden_group_size_x
      - .offset:         3670
        .size:           2
        .value_kind:     hidden_group_size_y
      - .offset:         3672
        .size:           2
        .value_kind:     hidden_group_size_z
      - .offset:         3674
        .size:           2
        .value_kind:     hidden_remainder_x
      - .offset:         3676
        .size:           2
        .value_kind:     hidden_remainder_y
      - .offset:         3678
        .size:           2
        .value_kind:     hidden_remainder_z
      - .offset:         3696
        .size:           8
        .value_kind:     hidden_global_offset_x
      - .offset:         3704
        .size:           8
        .value_kind:     hidden_global_offset_y
      - .offset:         3712
        .size:           8
        .value_kind:     hidden_global_offset_z
      - .offset:         3720
        .size:           2
        .value_kind:     hidden_grid_dims
    .group_segment_fixed_size: 0
    .kernarg_segment_align: 8
    .kernarg_segment_size: 3912
    .language:       OpenCL C
    .language_version:
      - 2
      - 0
    .max_flat_workgroup_size: 512
    .name:           _ZN2at6native12_GLOBAL__N_125multi_tensor_apply_kernelINS1_28TensorListScalarListMetadataIlLi2EEENS1_25BinaryOpScalarListFunctorIlLi2ELi1ELi1EEEJNS0_7minimumIlEEEEEvT_T0_DpT1_
    .private_segment_fixed_size: 0
    .sgpr_count:     27
    .sgpr_spill_count: 0
    .symbol:         _ZN2at6native12_GLOBAL__N_125multi_tensor_apply_kernelINS1_28TensorListScalarListMetadataIlLi2EEENS1_25BinaryOpScalarListFunctorIlLi2ELi1ELi1EEEJNS0_7minimumIlEEEEEvT_T0_DpT1_.kd
    .uniform_work_group_size: 1
    .uses_dynamic_stack: false
    .vgpr_count:     33
    .vgpr_spill_count: 0
    .wavefront_size: 32
    .workgroup_processor_mode: 1
  - .args:
      - .offset:         0
        .size:           3264
        .value_kind:     by_value
      - .offset:         3264
        .size:           1
        .value_kind:     by_value
      - .offset:         3265
        .size:           1
        .value_kind:     by_value
      - .offset:         3272
        .size:           4
        .value_kind:     hidden_block_count_x
      - .offset:         3276
        .size:           4
        .value_kind:     hidden_block_count_y
      - .offset:         3280
        .size:           4
        .value_kind:     hidden_block_count_z
      - .offset:         3284
        .size:           2
        .value_kind:     hidden_group_size_x
      - .offset:         3286
        .size:           2
        .value_kind:     hidden_group_size_y
      - .offset:         3288
        .size:           2
        .value_kind:     hidden_group_size_z
      - .offset:         3290
        .size:           2
        .value_kind:     hidden_remainder_x
      - .offset:         3292
        .size:           2
        .value_kind:     hidden_remainder_y
      - .offset:         3294
        .size:           2
        .value_kind:     hidden_remainder_z
      - .offset:         3312
        .size:           8
        .value_kind:     hidden_global_offset_x
      - .offset:         3320
        .size:           8
        .value_kind:     hidden_global_offset_y
      - .offset:         3328
        .size:           8
        .value_kind:     hidden_global_offset_z
      - .offset:         3336
        .size:           2
        .value_kind:     hidden_grid_dims
    .group_segment_fixed_size: 0
    .kernarg_segment_align: 8
    .kernarg_segment_size: 3528
    .language:       OpenCL C
    .language_version:
      - 2
      - 0
    .max_flat_workgroup_size: 512
    .name:           _ZN2at6native12_GLOBAL__N_125multi_tensor_apply_kernelINS1_28TensorListScalarListMetadataIsLi2EEENS1_25BinaryOpScalarListFunctorIsLi2ELi1ELi1EEEJNS0_7minimumIsEEEEEvT_T0_DpT1_
    .private_segment_fixed_size: 0
    .sgpr_count:     25
    .sgpr_spill_count: 0
    .symbol:         _ZN2at6native12_GLOBAL__N_125multi_tensor_apply_kernelINS1_28TensorListScalarListMetadataIsLi2EEENS1_25BinaryOpScalarListFunctorIsLi2ELi1ELi1EEEJNS0_7minimumIsEEEEEvT_T0_DpT1_.kd
    .uniform_work_group_size: 1
    .uses_dynamic_stack: false
    .vgpr_count:     30
    .vgpr_spill_count: 0
    .wavefront_size: 32
    .workgroup_processor_mode: 1
  - .args:
      - .offset:         0
        .size:           3648
        .value_kind:     by_value
      - .offset:         3648
        .size:           1
        .value_kind:     by_value
      - .offset:         3649
        .size:           1
        .value_kind:     by_value
      - .offset:         3656
        .size:           4
        .value_kind:     hidden_block_count_x
      - .offset:         3660
        .size:           4
        .value_kind:     hidden_block_count_y
      - .offset:         3664
        .size:           4
        .value_kind:     hidden_block_count_z
      - .offset:         3668
        .size:           2
        .value_kind:     hidden_group_size_x
      - .offset:         3670
        .size:           2
        .value_kind:     hidden_group_size_y
      - .offset:         3672
        .size:           2
        .value_kind:     hidden_group_size_z
      - .offset:         3674
        .size:           2
        .value_kind:     hidden_remainder_x
      - .offset:         3676
        .size:           2
        .value_kind:     hidden_remainder_y
      - .offset:         3678
        .size:           2
        .value_kind:     hidden_remainder_z
      - .offset:         3696
        .size:           8
        .value_kind:     hidden_global_offset_x
      - .offset:         3704
        .size:           8
        .value_kind:     hidden_global_offset_y
      - .offset:         3712
        .size:           8
        .value_kind:     hidden_global_offset_z
      - .offset:         3720
        .size:           2
        .value_kind:     hidden_grid_dims
    .group_segment_fixed_size: 0
    .kernarg_segment_align: 8
    .kernarg_segment_size: 3912
    .language:       OpenCL C
    .language_version:
      - 2
      - 0
    .max_flat_workgroup_size: 512
    .name:           _ZN2at6native12_GLOBAL__N_125multi_tensor_apply_kernelINS1_28TensorListScalarListMetadataIdLi2EEENS1_25BinaryOpScalarListFunctorIdLi2ELi1ELi1EEEJNS0_7minimumIdEEEEEvT_T0_DpT1_
    .private_segment_fixed_size: 0
    .sgpr_count:     27
    .sgpr_spill_count: 0
    .symbol:         _ZN2at6native12_GLOBAL__N_125multi_tensor_apply_kernelINS1_28TensorListScalarListMetadataIdLi2EEENS1_25BinaryOpScalarListFunctorIdLi2ELi1ELi1EEEJNS0_7minimumIdEEEEEvT_T0_DpT1_.kd
    .uniform_work_group_size: 1
    .uses_dynamic_stack: false
    .vgpr_count:     33
    .vgpr_spill_count: 0
    .wavefront_size: 32
    .workgroup_processor_mode: 1
  - .args:
      - .offset:         0
        .size:           3392
        .value_kind:     by_value
      - .offset:         3392
        .size:           1
        .value_kind:     by_value
      - .offset:         3393
        .size:           1
        .value_kind:     by_value
      - .offset:         3400
        .size:           4
        .value_kind:     hidden_block_count_x
      - .offset:         3404
        .size:           4
        .value_kind:     hidden_block_count_y
      - .offset:         3408
        .size:           4
        .value_kind:     hidden_block_count_z
      - .offset:         3412
        .size:           2
        .value_kind:     hidden_group_size_x
      - .offset:         3414
        .size:           2
        .value_kind:     hidden_group_size_y
      - .offset:         3416
        .size:           2
        .value_kind:     hidden_group_size_z
      - .offset:         3418
        .size:           2
        .value_kind:     hidden_remainder_x
      - .offset:         3420
        .size:           2
        .value_kind:     hidden_remainder_y
      - .offset:         3422
        .size:           2
        .value_kind:     hidden_remainder_z
      - .offset:         3440
        .size:           8
        .value_kind:     hidden_global_offset_x
      - .offset:         3448
        .size:           8
        .value_kind:     hidden_global_offset_y
      - .offset:         3456
        .size:           8
        .value_kind:     hidden_global_offset_z
      - .offset:         3464
        .size:           2
        .value_kind:     hidden_grid_dims
    .group_segment_fixed_size: 0
    .kernarg_segment_align: 8
    .kernarg_segment_size: 3656
    .language:       OpenCL C
    .language_version:
      - 2
      - 0
    .max_flat_workgroup_size: 512
    .name:           _ZN2at6native12_GLOBAL__N_125multi_tensor_apply_kernelINS1_28TensorListScalarListMetadataIfLi2EEENS1_25BinaryOpScalarListFunctorIfLi2ELi1ELi1EEEJNS0_7minimumIfEEEEEvT_T0_DpT1_
    .private_segment_fixed_size: 0
    .sgpr_count:     26
    .sgpr_spill_count: 0
    .symbol:         _ZN2at6native12_GLOBAL__N_125multi_tensor_apply_kernelINS1_28TensorListScalarListMetadataIfLi2EEENS1_25BinaryOpScalarListFunctorIfLi2ELi1ELi1EEEJNS0_7minimumIfEEEEEvT_T0_DpT1_.kd
    .uniform_work_group_size: 1
    .uses_dynamic_stack: false
    .vgpr_count:     29
    .vgpr_spill_count: 0
    .wavefront_size: 32
    .workgroup_processor_mode: 1
  - .args:
      - .offset:         0
        .size:           3392
        .value_kind:     by_value
      - .offset:         3392
        .size:           1
        .value_kind:     by_value
      - .offset:         3393
        .size:           1
        .value_kind:     by_value
      - .offset:         3400
        .size:           4
        .value_kind:     hidden_block_count_x
      - .offset:         3404
        .size:           4
        .value_kind:     hidden_block_count_y
      - .offset:         3408
        .size:           4
        .value_kind:     hidden_block_count_z
      - .offset:         3412
        .size:           2
        .value_kind:     hidden_group_size_x
      - .offset:         3414
        .size:           2
        .value_kind:     hidden_group_size_y
      - .offset:         3416
        .size:           2
        .value_kind:     hidden_group_size_z
      - .offset:         3418
        .size:           2
        .value_kind:     hidden_remainder_x
      - .offset:         3420
        .size:           2
        .value_kind:     hidden_remainder_y
      - .offset:         3422
        .size:           2
        .value_kind:     hidden_remainder_z
      - .offset:         3440
        .size:           8
        .value_kind:     hidden_global_offset_x
      - .offset:         3448
        .size:           8
        .value_kind:     hidden_global_offset_y
      - .offset:         3456
        .size:           8
        .value_kind:     hidden_global_offset_z
      - .offset:         3464
        .size:           2
        .value_kind:     hidden_grid_dims
    .group_segment_fixed_size: 0
    .kernarg_segment_align: 8
    .kernarg_segment_size: 3656
    .language:       OpenCL C
    .language_version:
      - 2
      - 0
    .max_flat_workgroup_size: 512
    .name:           _ZN2at6native12_GLOBAL__N_125multi_tensor_apply_kernelINS1_28TensorListScalarListMetadataIfLi2EEENS1_25BinaryOpScalarListFunctorIN3c104HalfELi2ELi1ELi1EEEJNS0_7minimumIfEEEEEvT_T0_DpT1_
    .private_segment_fixed_size: 0
    .sgpr_count:     26
    .sgpr_spill_count: 0
    .symbol:         _ZN2at6native12_GLOBAL__N_125multi_tensor_apply_kernelINS1_28TensorListScalarListMetadataIfLi2EEENS1_25BinaryOpScalarListFunctorIN3c104HalfELi2ELi1ELi1EEEJNS0_7minimumIfEEEEEvT_T0_DpT1_.kd
    .uniform_work_group_size: 1
    .uses_dynamic_stack: false
    .vgpr_count:     30
    .vgpr_spill_count: 0
    .wavefront_size: 32
    .workgroup_processor_mode: 1
  - .args:
      - .offset:         0
        .size:           3392
        .value_kind:     by_value
      - .offset:         3392
        .size:           1
        .value_kind:     by_value
      - .offset:         3393
        .size:           1
        .value_kind:     by_value
      - .offset:         3400
        .size:           4
        .value_kind:     hidden_block_count_x
      - .offset:         3404
        .size:           4
        .value_kind:     hidden_block_count_y
      - .offset:         3408
        .size:           4
        .value_kind:     hidden_block_count_z
      - .offset:         3412
        .size:           2
        .value_kind:     hidden_group_size_x
      - .offset:         3414
        .size:           2
        .value_kind:     hidden_group_size_y
      - .offset:         3416
        .size:           2
        .value_kind:     hidden_group_size_z
      - .offset:         3418
        .size:           2
        .value_kind:     hidden_remainder_x
      - .offset:         3420
        .size:           2
        .value_kind:     hidden_remainder_y
      - .offset:         3422
        .size:           2
        .value_kind:     hidden_remainder_z
      - .offset:         3440
        .size:           8
        .value_kind:     hidden_global_offset_x
      - .offset:         3448
        .size:           8
        .value_kind:     hidden_global_offset_y
      - .offset:         3456
        .size:           8
        .value_kind:     hidden_global_offset_z
      - .offset:         3464
        .size:           2
        .value_kind:     hidden_grid_dims
    .group_segment_fixed_size: 0
    .kernarg_segment_align: 8
    .kernarg_segment_size: 3656
    .language:       OpenCL C
    .language_version:
      - 2
      - 0
    .max_flat_workgroup_size: 512
    .name:           _ZN2at6native12_GLOBAL__N_125multi_tensor_apply_kernelINS1_28TensorListScalarListMetadataIfLi2EEENS1_25BinaryOpScalarListFunctorIN3c108BFloat16ELi2ELi1ELi1EEEJNS0_7minimumIfEEEEEvT_T0_DpT1_
    .private_segment_fixed_size: 0
    .sgpr_count:     26
    .sgpr_spill_count: 0
    .symbol:         _ZN2at6native12_GLOBAL__N_125multi_tensor_apply_kernelINS1_28TensorListScalarListMetadataIfLi2EEENS1_25BinaryOpScalarListFunctorIN3c108BFloat16ELi2ELi1ELi1EEEJNS0_7minimumIfEEEEEvT_T0_DpT1_.kd
    .uniform_work_group_size: 1
    .uses_dynamic_stack: false
    .vgpr_count:     30
    .vgpr_spill_count: 0
    .wavefront_size: 32
    .workgroup_processor_mode: 1
  - .args:
      - .offset:         0
        .size:           3232
        .value_kind:     by_value
      - .offset:         3232
        .size:           1
        .value_kind:     by_value
      - .offset:         3233
        .size:           1
        .value_kind:     by_value
      - .offset:         3240
        .size:           4
        .value_kind:     hidden_block_count_x
      - .offset:         3244
        .size:           4
        .value_kind:     hidden_block_count_y
      - .offset:         3248
        .size:           4
        .value_kind:     hidden_block_count_z
      - .offset:         3252
        .size:           2
        .value_kind:     hidden_group_size_x
      - .offset:         3254
        .size:           2
        .value_kind:     hidden_group_size_y
      - .offset:         3256
        .size:           2
        .value_kind:     hidden_group_size_z
      - .offset:         3258
        .size:           2
        .value_kind:     hidden_remainder_x
      - .offset:         3260
        .size:           2
        .value_kind:     hidden_remainder_y
      - .offset:         3262
        .size:           2
        .value_kind:     hidden_remainder_z
      - .offset:         3280
        .size:           8
        .value_kind:     hidden_global_offset_x
      - .offset:         3288
        .size:           8
        .value_kind:     hidden_global_offset_y
      - .offset:         3296
        .size:           8
        .value_kind:     hidden_global_offset_z
      - .offset:         3304
        .size:           2
        .value_kind:     hidden_grid_dims
    .group_segment_fixed_size: 0
    .kernarg_segment_align: 8
    .kernarg_segment_size: 3496
    .language:       OpenCL C
    .language_version:
      - 2
      - 0
    .max_flat_workgroup_size: 512
    .name:           _ZN2at6native12_GLOBAL__N_125multi_tensor_apply_kernelINS1_28TensorListScalarListMetadataIhLi1EEENS1_25BinaryOpScalarListFunctorIhLi1ELi1ELi0EEEJNS0_7maximumIhEEEEEvT_T0_DpT1_
    .private_segment_fixed_size: 0
    .sgpr_count:     24
    .sgpr_spill_count: 0
    .symbol:         _ZN2at6native12_GLOBAL__N_125multi_tensor_apply_kernelINS1_28TensorListScalarListMetadataIhLi1EEENS1_25BinaryOpScalarListFunctorIhLi1ELi1ELi0EEEJNS0_7maximumIhEEEEEvT_T0_DpT1_.kd
    .uniform_work_group_size: 1
    .uses_dynamic_stack: false
    .vgpr_count:     21
    .vgpr_spill_count: 0
    .wavefront_size: 32
    .workgroup_processor_mode: 1
  - .args:
      - .offset:         0
        .size:           3232
        .value_kind:     by_value
      - .offset:         3232
        .size:           1
        .value_kind:     by_value
      - .offset:         3233
        .size:           1
        .value_kind:     by_value
      - .offset:         3240
        .size:           4
        .value_kind:     hidden_block_count_x
      - .offset:         3244
        .size:           4
        .value_kind:     hidden_block_count_y
      - .offset:         3248
        .size:           4
        .value_kind:     hidden_block_count_z
      - .offset:         3252
        .size:           2
        .value_kind:     hidden_group_size_x
      - .offset:         3254
        .size:           2
        .value_kind:     hidden_group_size_y
      - .offset:         3256
        .size:           2
        .value_kind:     hidden_group_size_z
      - .offset:         3258
        .size:           2
        .value_kind:     hidden_remainder_x
      - .offset:         3260
        .size:           2
        .value_kind:     hidden_remainder_y
      - .offset:         3262
        .size:           2
        .value_kind:     hidden_remainder_z
      - .offset:         3280
        .size:           8
        .value_kind:     hidden_global_offset_x
      - .offset:         3288
        .size:           8
        .value_kind:     hidden_global_offset_y
      - .offset:         3296
        .size:           8
        .value_kind:     hidden_global_offset_z
      - .offset:         3304
        .size:           2
        .value_kind:     hidden_grid_dims
    .group_segment_fixed_size: 0
    .kernarg_segment_align: 8
    .kernarg_segment_size: 3496
    .language:       OpenCL C
    .language_version:
      - 2
      - 0
    .max_flat_workgroup_size: 512
    .name:           _ZN2at6native12_GLOBAL__N_125multi_tensor_apply_kernelINS1_28TensorListScalarListMetadataIaLi1EEENS1_25BinaryOpScalarListFunctorIaLi1ELi1ELi0EEEJNS0_7maximumIaEEEEEvT_T0_DpT1_
    .private_segment_fixed_size: 0
    .sgpr_count:     24
    .sgpr_spill_count: 0
    .symbol:         _ZN2at6native12_GLOBAL__N_125multi_tensor_apply_kernelINS1_28TensorListScalarListMetadataIaLi1EEENS1_25BinaryOpScalarListFunctorIaLi1ELi1ELi0EEEJNS0_7maximumIaEEEEEvT_T0_DpT1_.kd
    .uniform_work_group_size: 1
    .uses_dynamic_stack: false
    .vgpr_count:     21
    .vgpr_spill_count: 0
    .wavefront_size: 32
    .workgroup_processor_mode: 1
  - .args:
      - .offset:         0
        .size:           3520
        .value_kind:     by_value
      - .offset:         3520
        .size:           1
        .value_kind:     by_value
      - .offset:         3521
        .size:           1
        .value_kind:     by_value
      - .offset:         3528
        .size:           4
        .value_kind:     hidden_block_count_x
      - .offset:         3532
        .size:           4
        .value_kind:     hidden_block_count_y
      - .offset:         3536
        .size:           4
        .value_kind:     hidden_block_count_z
      - .offset:         3540
        .size:           2
        .value_kind:     hidden_group_size_x
      - .offset:         3542
        .size:           2
        .value_kind:     hidden_group_size_y
      - .offset:         3544
        .size:           2
        .value_kind:     hidden_group_size_z
      - .offset:         3546
        .size:           2
        .value_kind:     hidden_remainder_x
      - .offset:         3548
        .size:           2
        .value_kind:     hidden_remainder_y
      - .offset:         3550
        .size:           2
        .value_kind:     hidden_remainder_z
      - .offset:         3568
        .size:           8
        .value_kind:     hidden_global_offset_x
      - .offset:         3576
        .size:           8
        .value_kind:     hidden_global_offset_y
      - .offset:         3584
        .size:           8
        .value_kind:     hidden_global_offset_z
      - .offset:         3592
        .size:           2
        .value_kind:     hidden_grid_dims
    .group_segment_fixed_size: 0
    .kernarg_segment_align: 8
    .kernarg_segment_size: 3784
    .language:       OpenCL C
    .language_version:
      - 2
      - 0
    .max_flat_workgroup_size: 512
    .name:           _ZN2at6native12_GLOBAL__N_125multi_tensor_apply_kernelINS1_28TensorListScalarListMetadataIiLi1EEENS1_25BinaryOpScalarListFunctorIiLi1ELi1ELi0EEEJNS0_7maximumIiEEEEEvT_T0_DpT1_
    .private_segment_fixed_size: 0
    .sgpr_count:     26
    .sgpr_spill_count: 0
    .symbol:         _ZN2at6native12_GLOBAL__N_125multi_tensor_apply_kernelINS1_28TensorListScalarListMetadataIiLi1EEENS1_25BinaryOpScalarListFunctorIiLi1ELi1ELi0EEEJNS0_7maximumIiEEEEEvT_T0_DpT1_.kd
    .uniform_work_group_size: 1
    .uses_dynamic_stack: false
    .vgpr_count:     16
    .vgpr_spill_count: 0
    .wavefront_size: 32
    .workgroup_processor_mode: 1
  - .args:
      - .offset:         0
        .size:           3904
        .value_kind:     by_value
      - .offset:         3904
        .size:           1
        .value_kind:     by_value
      - .offset:         3905
        .size:           1
        .value_kind:     by_value
      - .offset:         3912
        .size:           4
        .value_kind:     hidden_block_count_x
      - .offset:         3916
        .size:           4
        .value_kind:     hidden_block_count_y
      - .offset:         3920
        .size:           4
        .value_kind:     hidden_block_count_z
      - .offset:         3924
        .size:           2
        .value_kind:     hidden_group_size_x
      - .offset:         3926
        .size:           2
        .value_kind:     hidden_group_size_y
      - .offset:         3928
        .size:           2
        .value_kind:     hidden_group_size_z
      - .offset:         3930
        .size:           2
        .value_kind:     hidden_remainder_x
      - .offset:         3932
        .size:           2
        .value_kind:     hidden_remainder_y
      - .offset:         3934
        .size:           2
        .value_kind:     hidden_remainder_z
      - .offset:         3952
        .size:           8
        .value_kind:     hidden_global_offset_x
      - .offset:         3960
        .size:           8
        .value_kind:     hidden_global_offset_y
      - .offset:         3968
        .size:           8
        .value_kind:     hidden_global_offset_z
      - .offset:         3976
        .size:           2
        .value_kind:     hidden_grid_dims
    .group_segment_fixed_size: 0
    .kernarg_segment_align: 8
    .kernarg_segment_size: 4168
    .language:       OpenCL C
    .language_version:
      - 2
      - 0
    .max_flat_workgroup_size: 512
    .name:           _ZN2at6native12_GLOBAL__N_125multi_tensor_apply_kernelINS1_28TensorListScalarListMetadataIlLi1EEENS1_25BinaryOpScalarListFunctorIlLi1ELi1ELi0EEEJNS0_7maximumIlEEEEEvT_T0_DpT1_
    .private_segment_fixed_size: 0
    .sgpr_count:     27
    .sgpr_spill_count: 0
    .symbol:         _ZN2at6native12_GLOBAL__N_125multi_tensor_apply_kernelINS1_28TensorListScalarListMetadataIlLi1EEENS1_25BinaryOpScalarListFunctorIlLi1ELi1ELi0EEEJNS0_7maximumIlEEEEEvT_T0_DpT1_.kd
    .uniform_work_group_size: 1
    .uses_dynamic_stack: false
    .vgpr_count:     21
    .vgpr_spill_count: 0
    .wavefront_size: 32
    .workgroup_processor_mode: 1
  - .args:
      - .offset:         0
        .size:           3328
        .value_kind:     by_value
      - .offset:         3328
        .size:           1
        .value_kind:     by_value
      - .offset:         3329
        .size:           1
        .value_kind:     by_value
      - .offset:         3336
        .size:           4
        .value_kind:     hidden_block_count_x
      - .offset:         3340
        .size:           4
        .value_kind:     hidden_block_count_y
      - .offset:         3344
        .size:           4
        .value_kind:     hidden_block_count_z
      - .offset:         3348
        .size:           2
        .value_kind:     hidden_group_size_x
      - .offset:         3350
        .size:           2
        .value_kind:     hidden_group_size_y
      - .offset:         3352
        .size:           2
        .value_kind:     hidden_group_size_z
      - .offset:         3354
        .size:           2
        .value_kind:     hidden_remainder_x
      - .offset:         3356
        .size:           2
        .value_kind:     hidden_remainder_y
      - .offset:         3358
        .size:           2
        .value_kind:     hidden_remainder_z
      - .offset:         3376
        .size:           8
        .value_kind:     hidden_global_offset_x
      - .offset:         3384
        .size:           8
        .value_kind:     hidden_global_offset_y
      - .offset:         3392
        .size:           8
        .value_kind:     hidden_global_offset_z
      - .offset:         3400
        .size:           2
        .value_kind:     hidden_grid_dims
    .group_segment_fixed_size: 0
    .kernarg_segment_align: 8
    .kernarg_segment_size: 3592
    .language:       OpenCL C
    .language_version:
      - 2
      - 0
    .max_flat_workgroup_size: 512
    .name:           _ZN2at6native12_GLOBAL__N_125multi_tensor_apply_kernelINS1_28TensorListScalarListMetadataIsLi1EEENS1_25BinaryOpScalarListFunctorIsLi1ELi1ELi0EEEJNS0_7maximumIsEEEEEvT_T0_DpT1_
    .private_segment_fixed_size: 0
    .sgpr_count:     24
    .sgpr_spill_count: 0
    .symbol:         _ZN2at6native12_GLOBAL__N_125multi_tensor_apply_kernelINS1_28TensorListScalarListMetadataIsLi1EEENS1_25BinaryOpScalarListFunctorIsLi1ELi1ELi0EEEJNS0_7maximumIsEEEEEvT_T0_DpT1_.kd
    .uniform_work_group_size: 1
    .uses_dynamic_stack: false
    .vgpr_count:     17
    .vgpr_spill_count: 0
    .wavefront_size: 32
    .workgroup_processor_mode: 1
  - .args:
      - .offset:         0
        .size:           3904
        .value_kind:     by_value
      - .offset:         3904
        .size:           1
        .value_kind:     by_value
      - .offset:         3905
        .size:           1
        .value_kind:     by_value
      - .offset:         3912
        .size:           4
        .value_kind:     hidden_block_count_x
      - .offset:         3916
        .size:           4
        .value_kind:     hidden_block_count_y
      - .offset:         3920
        .size:           4
        .value_kind:     hidden_block_count_z
      - .offset:         3924
        .size:           2
        .value_kind:     hidden_group_size_x
      - .offset:         3926
        .size:           2
        .value_kind:     hidden_group_size_y
      - .offset:         3928
        .size:           2
        .value_kind:     hidden_group_size_z
      - .offset:         3930
        .size:           2
        .value_kind:     hidden_remainder_x
      - .offset:         3932
        .size:           2
        .value_kind:     hidden_remainder_y
      - .offset:         3934
        .size:           2
        .value_kind:     hidden_remainder_z
      - .offset:         3952
        .size:           8
        .value_kind:     hidden_global_offset_x
      - .offset:         3960
        .size:           8
        .value_kind:     hidden_global_offset_y
      - .offset:         3968
        .size:           8
        .value_kind:     hidden_global_offset_z
      - .offset:         3976
        .size:           2
        .value_kind:     hidden_grid_dims
    .group_segment_fixed_size: 0
    .kernarg_segment_align: 8
    .kernarg_segment_size: 4168
    .language:       OpenCL C
    .language_version:
      - 2
      - 0
    .max_flat_workgroup_size: 512
    .name:           _ZN2at6native12_GLOBAL__N_125multi_tensor_apply_kernelINS1_28TensorListScalarListMetadataIdLi1EEENS1_25BinaryOpScalarListFunctorIdLi1ELi1ELi0EEEJNS0_7maximumIdEEEEEvT_T0_DpT1_
    .private_segment_fixed_size: 0
    .sgpr_count:     27
    .sgpr_spill_count: 0
    .symbol:         _ZN2at6native12_GLOBAL__N_125multi_tensor_apply_kernelINS1_28TensorListScalarListMetadataIdLi1EEENS1_25BinaryOpScalarListFunctorIdLi1ELi1ELi0EEEJNS0_7maximumIdEEEEEvT_T0_DpT1_.kd
    .uniform_work_group_size: 1
    .uses_dynamic_stack: false
    .vgpr_count:     21
    .vgpr_spill_count: 0
    .wavefront_size: 32
    .workgroup_processor_mode: 1
  - .args:
      - .offset:         0
        .size:           3520
        .value_kind:     by_value
      - .offset:         3520
        .size:           1
        .value_kind:     by_value
      - .offset:         3521
        .size:           1
        .value_kind:     by_value
      - .offset:         3528
        .size:           4
        .value_kind:     hidden_block_count_x
      - .offset:         3532
        .size:           4
        .value_kind:     hidden_block_count_y
      - .offset:         3536
        .size:           4
        .value_kind:     hidden_block_count_z
      - .offset:         3540
        .size:           2
        .value_kind:     hidden_group_size_x
      - .offset:         3542
        .size:           2
        .value_kind:     hidden_group_size_y
      - .offset:         3544
        .size:           2
        .value_kind:     hidden_group_size_z
      - .offset:         3546
        .size:           2
        .value_kind:     hidden_remainder_x
      - .offset:         3548
        .size:           2
        .value_kind:     hidden_remainder_y
      - .offset:         3550
        .size:           2
        .value_kind:     hidden_remainder_z
      - .offset:         3568
        .size:           8
        .value_kind:     hidden_global_offset_x
      - .offset:         3576
        .size:           8
        .value_kind:     hidden_global_offset_y
      - .offset:         3584
        .size:           8
        .value_kind:     hidden_global_offset_z
      - .offset:         3592
        .size:           2
        .value_kind:     hidden_grid_dims
    .group_segment_fixed_size: 0
    .kernarg_segment_align: 8
    .kernarg_segment_size: 3784
    .language:       OpenCL C
    .language_version:
      - 2
      - 0
    .max_flat_workgroup_size: 512
    .name:           _ZN2at6native12_GLOBAL__N_125multi_tensor_apply_kernelINS1_28TensorListScalarListMetadataIfLi1EEENS1_25BinaryOpScalarListFunctorIfLi1ELi1ELi0EEEJNS0_7maximumIfEEEEEvT_T0_DpT1_
    .private_segment_fixed_size: 0
    .sgpr_count:     26
    .sgpr_spill_count: 0
    .symbol:         _ZN2at6native12_GLOBAL__N_125multi_tensor_apply_kernelINS1_28TensorListScalarListMetadataIfLi1EEENS1_25BinaryOpScalarListFunctorIfLi1ELi1ELi0EEEJNS0_7maximumIfEEEEEvT_T0_DpT1_.kd
    .uniform_work_group_size: 1
    .uses_dynamic_stack: false
    .vgpr_count:     16
    .vgpr_spill_count: 0
    .wavefront_size: 32
    .workgroup_processor_mode: 1
  - .args:
      - .offset:         0
        .size:           3520
        .value_kind:     by_value
      - .offset:         3520
        .size:           1
        .value_kind:     by_value
      - .offset:         3521
        .size:           1
        .value_kind:     by_value
      - .offset:         3528
        .size:           4
        .value_kind:     hidden_block_count_x
      - .offset:         3532
        .size:           4
        .value_kind:     hidden_block_count_y
      - .offset:         3536
        .size:           4
        .value_kind:     hidden_block_count_z
      - .offset:         3540
        .size:           2
        .value_kind:     hidden_group_size_x
      - .offset:         3542
        .size:           2
        .value_kind:     hidden_group_size_y
      - .offset:         3544
        .size:           2
        .value_kind:     hidden_group_size_z
      - .offset:         3546
        .size:           2
        .value_kind:     hidden_remainder_x
      - .offset:         3548
        .size:           2
        .value_kind:     hidden_remainder_y
      - .offset:         3550
        .size:           2
        .value_kind:     hidden_remainder_z
      - .offset:         3568
        .size:           8
        .value_kind:     hidden_global_offset_x
      - .offset:         3576
        .size:           8
        .value_kind:     hidden_global_offset_y
      - .offset:         3584
        .size:           8
        .value_kind:     hidden_global_offset_z
      - .offset:         3592
        .size:           2
        .value_kind:     hidden_grid_dims
    .group_segment_fixed_size: 0
    .kernarg_segment_align: 8
    .kernarg_segment_size: 3784
    .language:       OpenCL C
    .language_version:
      - 2
      - 0
    .max_flat_workgroup_size: 512
    .name:           _ZN2at6native12_GLOBAL__N_125multi_tensor_apply_kernelINS1_28TensorListScalarListMetadataIfLi1EEENS1_25BinaryOpScalarListFunctorIN3c104HalfELi1ELi1ELi0EEEJNS0_7maximumIfEEEEEvT_T0_DpT1_
    .private_segment_fixed_size: 0
    .sgpr_count:     25
    .sgpr_spill_count: 0
    .symbol:         _ZN2at6native12_GLOBAL__N_125multi_tensor_apply_kernelINS1_28TensorListScalarListMetadataIfLi1EEENS1_25BinaryOpScalarListFunctorIN3c104HalfELi1ELi1ELi0EEEJNS0_7maximumIfEEEEEvT_T0_DpT1_.kd
    .uniform_work_group_size: 1
    .uses_dynamic_stack: false
    .vgpr_count:     17
    .vgpr_spill_count: 0
    .wavefront_size: 32
    .workgroup_processor_mode: 1
  - .args:
      - .offset:         0
        .size:           3520
        .value_kind:     by_value
      - .offset:         3520
        .size:           1
        .value_kind:     by_value
      - .offset:         3521
        .size:           1
        .value_kind:     by_value
      - .offset:         3528
        .size:           4
        .value_kind:     hidden_block_count_x
      - .offset:         3532
        .size:           4
        .value_kind:     hidden_block_count_y
      - .offset:         3536
        .size:           4
        .value_kind:     hidden_block_count_z
      - .offset:         3540
        .size:           2
        .value_kind:     hidden_group_size_x
      - .offset:         3542
        .size:           2
        .value_kind:     hidden_group_size_y
      - .offset:         3544
        .size:           2
        .value_kind:     hidden_group_size_z
      - .offset:         3546
        .size:           2
        .value_kind:     hidden_remainder_x
      - .offset:         3548
        .size:           2
        .value_kind:     hidden_remainder_y
      - .offset:         3550
        .size:           2
        .value_kind:     hidden_remainder_z
      - .offset:         3568
        .size:           8
        .value_kind:     hidden_global_offset_x
      - .offset:         3576
        .size:           8
        .value_kind:     hidden_global_offset_y
      - .offset:         3584
        .size:           8
        .value_kind:     hidden_global_offset_z
      - .offset:         3592
        .size:           2
        .value_kind:     hidden_grid_dims
    .group_segment_fixed_size: 0
    .kernarg_segment_align: 8
    .kernarg_segment_size: 3784
    .language:       OpenCL C
    .language_version:
      - 2
      - 0
    .max_flat_workgroup_size: 512
    .name:           _ZN2at6native12_GLOBAL__N_125multi_tensor_apply_kernelINS1_28TensorListScalarListMetadataIfLi1EEENS1_25BinaryOpScalarListFunctorIN3c108BFloat16ELi1ELi1ELi0EEEJNS0_7maximumIfEEEEEvT_T0_DpT1_
    .private_segment_fixed_size: 0
    .sgpr_count:     25
    .sgpr_spill_count: 0
    .symbol:         _ZN2at6native12_GLOBAL__N_125multi_tensor_apply_kernelINS1_28TensorListScalarListMetadataIfLi1EEENS1_25BinaryOpScalarListFunctorIN3c108BFloat16ELi1ELi1ELi0EEEJNS0_7maximumIfEEEEEvT_T0_DpT1_.kd
    .uniform_work_group_size: 1
    .uses_dynamic_stack: false
    .vgpr_count:     17
    .vgpr_spill_count: 0
    .wavefront_size: 32
    .workgroup_processor_mode: 1
  - .args:
      - .offset:         0
        .size:           3200
        .value_kind:     by_value
      - .offset:         3200
        .size:           1
        .value_kind:     by_value
      - .offset:         3201
        .size:           1
        .value_kind:     by_value
      - .offset:         3208
        .size:           4
        .value_kind:     hidden_block_count_x
      - .offset:         3212
        .size:           4
        .value_kind:     hidden_block_count_y
      - .offset:         3216
        .size:           4
        .value_kind:     hidden_block_count_z
      - .offset:         3220
        .size:           2
        .value_kind:     hidden_group_size_x
      - .offset:         3222
        .size:           2
        .value_kind:     hidden_group_size_y
      - .offset:         3224
        .size:           2
        .value_kind:     hidden_group_size_z
      - .offset:         3226
        .size:           2
        .value_kind:     hidden_remainder_x
      - .offset:         3228
        .size:           2
        .value_kind:     hidden_remainder_y
      - .offset:         3230
        .size:           2
        .value_kind:     hidden_remainder_z
      - .offset:         3248
        .size:           8
        .value_kind:     hidden_global_offset_x
      - .offset:         3256
        .size:           8
        .value_kind:     hidden_global_offset_y
      - .offset:         3264
        .size:           8
        .value_kind:     hidden_global_offset_z
      - .offset:         3272
        .size:           2
        .value_kind:     hidden_grid_dims
    .group_segment_fixed_size: 0
    .kernarg_segment_align: 8
    .kernarg_segment_size: 3464
    .language:       OpenCL C
    .language_version:
      - 2
      - 0
    .max_flat_workgroup_size: 512
    .name:           _ZN2at6native12_GLOBAL__N_125multi_tensor_apply_kernelINS1_28TensorListScalarListMetadataIhLi2EEENS1_25BinaryOpScalarListFunctorIhLi2ELi1ELi1EEEJNS0_7maximumIhEEEEEvT_T0_DpT1_
    .private_segment_fixed_size: 0
    .sgpr_count:     26
    .sgpr_spill_count: 0
    .symbol:         _ZN2at6native12_GLOBAL__N_125multi_tensor_apply_kernelINS1_28TensorListScalarListMetadataIhLi2EEENS1_25BinaryOpScalarListFunctorIhLi2ELi1ELi1EEEJNS0_7maximumIhEEEEEvT_T0_DpT1_.kd
    .uniform_work_group_size: 1
    .uses_dynamic_stack: false
    .vgpr_count:     29
    .vgpr_spill_count: 0
    .wavefront_size: 32
    .workgroup_processor_mode: 1
  - .args:
      - .offset:         0
        .size:           3200
        .value_kind:     by_value
      - .offset:         3200
        .size:           1
        .value_kind:     by_value
      - .offset:         3201
        .size:           1
        .value_kind:     by_value
      - .offset:         3208
        .size:           4
        .value_kind:     hidden_block_count_x
      - .offset:         3212
        .size:           4
        .value_kind:     hidden_block_count_y
      - .offset:         3216
        .size:           4
        .value_kind:     hidden_block_count_z
      - .offset:         3220
        .size:           2
        .value_kind:     hidden_group_size_x
      - .offset:         3222
        .size:           2
        .value_kind:     hidden_group_size_y
      - .offset:         3224
        .size:           2
        .value_kind:     hidden_group_size_z
      - .offset:         3226
        .size:           2
        .value_kind:     hidden_remainder_x
      - .offset:         3228
        .size:           2
        .value_kind:     hidden_remainder_y
      - .offset:         3230
        .size:           2
        .value_kind:     hidden_remainder_z
      - .offset:         3248
        .size:           8
        .value_kind:     hidden_global_offset_x
      - .offset:         3256
        .size:           8
        .value_kind:     hidden_global_offset_y
      - .offset:         3264
        .size:           8
        .value_kind:     hidden_global_offset_z
      - .offset:         3272
        .size:           2
        .value_kind:     hidden_grid_dims
    .group_segment_fixed_size: 0
    .kernarg_segment_align: 8
    .kernarg_segment_size: 3464
    .language:       OpenCL C
    .language_version:
      - 2
      - 0
    .max_flat_workgroup_size: 512
    .name:           _ZN2at6native12_GLOBAL__N_125multi_tensor_apply_kernelINS1_28TensorListScalarListMetadataIaLi2EEENS1_25BinaryOpScalarListFunctorIaLi2ELi1ELi1EEEJNS0_7maximumIaEEEEEvT_T0_DpT1_
    .private_segment_fixed_size: 0
    .sgpr_count:     26
    .sgpr_spill_count: 0
    .symbol:         _ZN2at6native12_GLOBAL__N_125multi_tensor_apply_kernelINS1_28TensorListScalarListMetadataIaLi2EEENS1_25BinaryOpScalarListFunctorIaLi2ELi1ELi1EEEJNS0_7maximumIaEEEEEvT_T0_DpT1_.kd
    .uniform_work_group_size: 1
    .uses_dynamic_stack: false
    .vgpr_count:     29
    .vgpr_spill_count: 0
    .wavefront_size: 32
    .workgroup_processor_mode: 1
  - .args:
      - .offset:         0
        .size:           3392
        .value_kind:     by_value
      - .offset:         3392
        .size:           1
        .value_kind:     by_value
      - .offset:         3393
        .size:           1
        .value_kind:     by_value
      - .offset:         3400
        .size:           4
        .value_kind:     hidden_block_count_x
      - .offset:         3404
        .size:           4
        .value_kind:     hidden_block_count_y
      - .offset:         3408
        .size:           4
        .value_kind:     hidden_block_count_z
      - .offset:         3412
        .size:           2
        .value_kind:     hidden_group_size_x
      - .offset:         3414
        .size:           2
        .value_kind:     hidden_group_size_y
      - .offset:         3416
        .size:           2
        .value_kind:     hidden_group_size_z
      - .offset:         3418
        .size:           2
        .value_kind:     hidden_remainder_x
      - .offset:         3420
        .size:           2
        .value_kind:     hidden_remainder_y
      - .offset:         3422
        .size:           2
        .value_kind:     hidden_remainder_z
      - .offset:         3440
        .size:           8
        .value_kind:     hidden_global_offset_x
      - .offset:         3448
        .size:           8
        .value_kind:     hidden_global_offset_y
      - .offset:         3456
        .size:           8
        .value_kind:     hidden_global_offset_z
      - .offset:         3464
        .size:           2
        .value_kind:     hidden_grid_dims
    .group_segment_fixed_size: 0
    .kernarg_segment_align: 8
    .kernarg_segment_size: 3656
    .language:       OpenCL C
    .language_version:
      - 2
      - 0
    .max_flat_workgroup_size: 512
    .name:           _ZN2at6native12_GLOBAL__N_125multi_tensor_apply_kernelINS1_28TensorListScalarListMetadataIiLi2EEENS1_25BinaryOpScalarListFunctorIiLi2ELi1ELi1EEEJNS0_7maximumIiEEEEEvT_T0_DpT1_
    .private_segment_fixed_size: 0
    .sgpr_count:     26
    .sgpr_spill_count: 0
    .symbol:         _ZN2at6native12_GLOBAL__N_125multi_tensor_apply_kernelINS1_28TensorListScalarListMetadataIiLi2EEENS1_25BinaryOpScalarListFunctorIiLi2ELi1ELi1EEEJNS0_7maximumIiEEEEEvT_T0_DpT1_.kd
    .uniform_work_group_size: 1
    .uses_dynamic_stack: false
    .vgpr_count:     29
    .vgpr_spill_count: 0
    .wavefront_size: 32
    .workgroup_processor_mode: 1
  - .args:
      - .offset:         0
        .size:           3648
        .value_kind:     by_value
      - .offset:         3648
        .size:           1
        .value_kind:     by_value
      - .offset:         3649
        .size:           1
        .value_kind:     by_value
      - .offset:         3656
        .size:           4
        .value_kind:     hidden_block_count_x
      - .offset:         3660
        .size:           4
        .value_kind:     hidden_block_count_y
      - .offset:         3664
        .size:           4
        .value_kind:     hidden_block_count_z
      - .offset:         3668
        .size:           2
        .value_kind:     hidden_group_size_x
      - .offset:         3670
        .size:           2
        .value_kind:     hidden_group_size_y
      - .offset:         3672
        .size:           2
        .value_kind:     hidden_group_size_z
      - .offset:         3674
        .size:           2
        .value_kind:     hidden_remainder_x
      - .offset:         3676
        .size:           2
        .value_kind:     hidden_remainder_y
      - .offset:         3678
        .size:           2
        .value_kind:     hidden_remainder_z
      - .offset:         3696
        .size:           8
        .value_kind:     hidden_global_offset_x
      - .offset:         3704
        .size:           8
        .value_kind:     hidden_global_offset_y
      - .offset:         3712
        .size:           8
        .value_kind:     hidden_global_offset_z
      - .offset:         3720
        .size:           2
        .value_kind:     hidden_grid_dims
    .group_segment_fixed_size: 0
    .kernarg_segment_align: 8
    .kernarg_segment_size: 3912
    .language:       OpenCL C
    .language_version:
      - 2
      - 0
    .max_flat_workgroup_size: 512
    .name:           _ZN2at6native12_GLOBAL__N_125multi_tensor_apply_kernelINS1_28TensorListScalarListMetadataIlLi2EEENS1_25BinaryOpScalarListFunctorIlLi2ELi1ELi1EEEJNS0_7maximumIlEEEEEvT_T0_DpT1_
    .private_segment_fixed_size: 0
    .sgpr_count:     27
    .sgpr_spill_count: 0
    .symbol:         _ZN2at6native12_GLOBAL__N_125multi_tensor_apply_kernelINS1_28TensorListScalarListMetadataIlLi2EEENS1_25BinaryOpScalarListFunctorIlLi2ELi1ELi1EEEJNS0_7maximumIlEEEEEvT_T0_DpT1_.kd
    .uniform_work_group_size: 1
    .uses_dynamic_stack: false
    .vgpr_count:     33
    .vgpr_spill_count: 0
    .wavefront_size: 32
    .workgroup_processor_mode: 1
  - .args:
      - .offset:         0
        .size:           3264
        .value_kind:     by_value
      - .offset:         3264
        .size:           1
        .value_kind:     by_value
      - .offset:         3265
        .size:           1
        .value_kind:     by_value
      - .offset:         3272
        .size:           4
        .value_kind:     hidden_block_count_x
      - .offset:         3276
        .size:           4
        .value_kind:     hidden_block_count_y
      - .offset:         3280
        .size:           4
        .value_kind:     hidden_block_count_z
      - .offset:         3284
        .size:           2
        .value_kind:     hidden_group_size_x
      - .offset:         3286
        .size:           2
        .value_kind:     hidden_group_size_y
      - .offset:         3288
        .size:           2
        .value_kind:     hidden_group_size_z
      - .offset:         3290
        .size:           2
        .value_kind:     hidden_remainder_x
      - .offset:         3292
        .size:           2
        .value_kind:     hidden_remainder_y
      - .offset:         3294
        .size:           2
        .value_kind:     hidden_remainder_z
      - .offset:         3312
        .size:           8
        .value_kind:     hidden_global_offset_x
      - .offset:         3320
        .size:           8
        .value_kind:     hidden_global_offset_y
      - .offset:         3328
        .size:           8
        .value_kind:     hidden_global_offset_z
      - .offset:         3336
        .size:           2
        .value_kind:     hidden_grid_dims
    .group_segment_fixed_size: 0
    .kernarg_segment_align: 8
    .kernarg_segment_size: 3528
    .language:       OpenCL C
    .language_version:
      - 2
      - 0
    .max_flat_workgroup_size: 512
    .name:           _ZN2at6native12_GLOBAL__N_125multi_tensor_apply_kernelINS1_28TensorListScalarListMetadataIsLi2EEENS1_25BinaryOpScalarListFunctorIsLi2ELi1ELi1EEEJNS0_7maximumIsEEEEEvT_T0_DpT1_
    .private_segment_fixed_size: 0
    .sgpr_count:     25
    .sgpr_spill_count: 0
    .symbol:         _ZN2at6native12_GLOBAL__N_125multi_tensor_apply_kernelINS1_28TensorListScalarListMetadataIsLi2EEENS1_25BinaryOpScalarListFunctorIsLi2ELi1ELi1EEEJNS0_7maximumIsEEEEEvT_T0_DpT1_.kd
    .uniform_work_group_size: 1
    .uses_dynamic_stack: false
    .vgpr_count:     30
    .vgpr_spill_count: 0
    .wavefront_size: 32
    .workgroup_processor_mode: 1
  - .args:
      - .offset:         0
        .size:           3648
        .value_kind:     by_value
      - .offset:         3648
        .size:           1
        .value_kind:     by_value
      - .offset:         3649
        .size:           1
        .value_kind:     by_value
      - .offset:         3656
        .size:           4
        .value_kind:     hidden_block_count_x
      - .offset:         3660
        .size:           4
        .value_kind:     hidden_block_count_y
      - .offset:         3664
        .size:           4
        .value_kind:     hidden_block_count_z
      - .offset:         3668
        .size:           2
        .value_kind:     hidden_group_size_x
      - .offset:         3670
        .size:           2
        .value_kind:     hidden_group_size_y
      - .offset:         3672
        .size:           2
        .value_kind:     hidden_group_size_z
      - .offset:         3674
        .size:           2
        .value_kind:     hidden_remainder_x
      - .offset:         3676
        .size:           2
        .value_kind:     hidden_remainder_y
      - .offset:         3678
        .size:           2
        .value_kind:     hidden_remainder_z
      - .offset:         3696
        .size:           8
        .value_kind:     hidden_global_offset_x
      - .offset:         3704
        .size:           8
        .value_kind:     hidden_global_offset_y
      - .offset:         3712
        .size:           8
        .value_kind:     hidden_global_offset_z
      - .offset:         3720
        .size:           2
        .value_kind:     hidden_grid_dims
    .group_segment_fixed_size: 0
    .kernarg_segment_align: 8
    .kernarg_segment_size: 3912
    .language:       OpenCL C
    .language_version:
      - 2
      - 0
    .max_flat_workgroup_size: 512
    .name:           _ZN2at6native12_GLOBAL__N_125multi_tensor_apply_kernelINS1_28TensorListScalarListMetadataIdLi2EEENS1_25BinaryOpScalarListFunctorIdLi2ELi1ELi1EEEJNS0_7maximumIdEEEEEvT_T0_DpT1_
    .private_segment_fixed_size: 0
    .sgpr_count:     27
    .sgpr_spill_count: 0
    .symbol:         _ZN2at6native12_GLOBAL__N_125multi_tensor_apply_kernelINS1_28TensorListScalarListMetadataIdLi2EEENS1_25BinaryOpScalarListFunctorIdLi2ELi1ELi1EEEJNS0_7maximumIdEEEEEvT_T0_DpT1_.kd
    .uniform_work_group_size: 1
    .uses_dynamic_stack: false
    .vgpr_count:     33
    .vgpr_spill_count: 0
    .wavefront_size: 32
    .workgroup_processor_mode: 1
  - .args:
      - .offset:         0
        .size:           3392
        .value_kind:     by_value
      - .offset:         3392
        .size:           1
        .value_kind:     by_value
      - .offset:         3393
        .size:           1
        .value_kind:     by_value
      - .offset:         3400
        .size:           4
        .value_kind:     hidden_block_count_x
      - .offset:         3404
        .size:           4
        .value_kind:     hidden_block_count_y
      - .offset:         3408
        .size:           4
        .value_kind:     hidden_block_count_z
      - .offset:         3412
        .size:           2
        .value_kind:     hidden_group_size_x
      - .offset:         3414
        .size:           2
        .value_kind:     hidden_group_size_y
      - .offset:         3416
        .size:           2
        .value_kind:     hidden_group_size_z
      - .offset:         3418
        .size:           2
        .value_kind:     hidden_remainder_x
      - .offset:         3420
        .size:           2
        .value_kind:     hidden_remainder_y
      - .offset:         3422
        .size:           2
        .value_kind:     hidden_remainder_z
      - .offset:         3440
        .size:           8
        .value_kind:     hidden_global_offset_x
      - .offset:         3448
        .size:           8
        .value_kind:     hidden_global_offset_y
      - .offset:         3456
        .size:           8
        .value_kind:     hidden_global_offset_z
      - .offset:         3464
        .size:           2
        .value_kind:     hidden_grid_dims
    .group_segment_fixed_size: 0
    .kernarg_segment_align: 8
    .kernarg_segment_size: 3656
    .language:       OpenCL C
    .language_version:
      - 2
      - 0
    .max_flat_workgroup_size: 512
    .name:           _ZN2at6native12_GLOBAL__N_125multi_tensor_apply_kernelINS1_28TensorListScalarListMetadataIfLi2EEENS1_25BinaryOpScalarListFunctorIfLi2ELi1ELi1EEEJNS0_7maximumIfEEEEEvT_T0_DpT1_
    .private_segment_fixed_size: 0
    .sgpr_count:     26
    .sgpr_spill_count: 0
    .symbol:         _ZN2at6native12_GLOBAL__N_125multi_tensor_apply_kernelINS1_28TensorListScalarListMetadataIfLi2EEENS1_25BinaryOpScalarListFunctorIfLi2ELi1ELi1EEEJNS0_7maximumIfEEEEEvT_T0_DpT1_.kd
    .uniform_work_group_size: 1
    .uses_dynamic_stack: false
    .vgpr_count:     29
    .vgpr_spill_count: 0
    .wavefront_size: 32
    .workgroup_processor_mode: 1
  - .args:
      - .offset:         0
        .size:           3392
        .value_kind:     by_value
      - .offset:         3392
        .size:           1
        .value_kind:     by_value
      - .offset:         3393
        .size:           1
        .value_kind:     by_value
      - .offset:         3400
        .size:           4
        .value_kind:     hidden_block_count_x
      - .offset:         3404
        .size:           4
        .value_kind:     hidden_block_count_y
      - .offset:         3408
        .size:           4
        .value_kind:     hidden_block_count_z
      - .offset:         3412
        .size:           2
        .value_kind:     hidden_group_size_x
      - .offset:         3414
        .size:           2
        .value_kind:     hidden_group_size_y
      - .offset:         3416
        .size:           2
        .value_kind:     hidden_group_size_z
      - .offset:         3418
        .size:           2
        .value_kind:     hidden_remainder_x
      - .offset:         3420
        .size:           2
        .value_kind:     hidden_remainder_y
      - .offset:         3422
        .size:           2
        .value_kind:     hidden_remainder_z
      - .offset:         3440
        .size:           8
        .value_kind:     hidden_global_offset_x
      - .offset:         3448
        .size:           8
        .value_kind:     hidden_global_offset_y
      - .offset:         3456
        .size:           8
        .value_kind:     hidden_global_offset_z
      - .offset:         3464
        .size:           2
        .value_kind:     hidden_grid_dims
    .group_segment_fixed_size: 0
    .kernarg_segment_align: 8
    .kernarg_segment_size: 3656
    .language:       OpenCL C
    .language_version:
      - 2
      - 0
    .max_flat_workgroup_size: 512
    .name:           _ZN2at6native12_GLOBAL__N_125multi_tensor_apply_kernelINS1_28TensorListScalarListMetadataIfLi2EEENS1_25BinaryOpScalarListFunctorIN3c104HalfELi2ELi1ELi1EEEJNS0_7maximumIfEEEEEvT_T0_DpT1_
    .private_segment_fixed_size: 0
    .sgpr_count:     26
    .sgpr_spill_count: 0
    .symbol:         _ZN2at6native12_GLOBAL__N_125multi_tensor_apply_kernelINS1_28TensorListScalarListMetadataIfLi2EEENS1_25BinaryOpScalarListFunctorIN3c104HalfELi2ELi1ELi1EEEJNS0_7maximumIfEEEEEvT_T0_DpT1_.kd
    .uniform_work_group_size: 1
    .uses_dynamic_stack: false
    .vgpr_count:     30
    .vgpr_spill_count: 0
    .wavefront_size: 32
    .workgroup_processor_mode: 1
  - .args:
      - .offset:         0
        .size:           3392
        .value_kind:     by_value
      - .offset:         3392
        .size:           1
        .value_kind:     by_value
      - .offset:         3393
        .size:           1
        .value_kind:     by_value
      - .offset:         3400
        .size:           4
        .value_kind:     hidden_block_count_x
      - .offset:         3404
        .size:           4
        .value_kind:     hidden_block_count_y
      - .offset:         3408
        .size:           4
        .value_kind:     hidden_block_count_z
      - .offset:         3412
        .size:           2
        .value_kind:     hidden_group_size_x
      - .offset:         3414
        .size:           2
        .value_kind:     hidden_group_size_y
      - .offset:         3416
        .size:           2
        .value_kind:     hidden_group_size_z
      - .offset:         3418
        .size:           2
        .value_kind:     hidden_remainder_x
      - .offset:         3420
        .size:           2
        .value_kind:     hidden_remainder_y
      - .offset:         3422
        .size:           2
        .value_kind:     hidden_remainder_z
      - .offset:         3440
        .size:           8
        .value_kind:     hidden_global_offset_x
      - .offset:         3448
        .size:           8
        .value_kind:     hidden_global_offset_y
      - .offset:         3456
        .size:           8
        .value_kind:     hidden_global_offset_z
      - .offset:         3464
        .size:           2
        .value_kind:     hidden_grid_dims
    .group_segment_fixed_size: 0
    .kernarg_segment_align: 8
    .kernarg_segment_size: 3656
    .language:       OpenCL C
    .language_version:
      - 2
      - 0
    .max_flat_workgroup_size: 512
    .name:           _ZN2at6native12_GLOBAL__N_125multi_tensor_apply_kernelINS1_28TensorListScalarListMetadataIfLi2EEENS1_25BinaryOpScalarListFunctorIN3c108BFloat16ELi2ELi1ELi1EEEJNS0_7maximumIfEEEEEvT_T0_DpT1_
    .private_segment_fixed_size: 0
    .sgpr_count:     26
    .sgpr_spill_count: 0
    .symbol:         _ZN2at6native12_GLOBAL__N_125multi_tensor_apply_kernelINS1_28TensorListScalarListMetadataIfLi2EEENS1_25BinaryOpScalarListFunctorIN3c108BFloat16ELi2ELi1ELi1EEEJNS0_7maximumIfEEEEEvT_T0_DpT1_.kd
    .uniform_work_group_size: 1
    .uses_dynamic_stack: false
    .vgpr_count:     30
    .vgpr_spill_count: 0
    .wavefront_size: 32
    .workgroup_processor_mode: 1
amdhsa.target:   amdgcn-amd-amdhsa--gfx1030
amdhsa.version:
  - 1
  - 2
...

	.end_amdgpu_metadata
